;; amdgpu-corpus repo=ROCm/vllm kind=compiled arch=gfx906 opt=O3
	.amdgcn_target "amdgcn-amd-amdhsa--gfx906"
	.amdhsa_code_object_version 6
	.section	.text._ZL16dequantize_blockILi32ELi2EXadL_ZL15dequantize_q4_0PKviiR7__half2EEfEvS1_PT2_i,"axG",@progbits,_ZL16dequantize_blockILi32ELi2EXadL_ZL15dequantize_q4_0PKviiR7__half2EEfEvS1_PT2_i,comdat
	.globl	_ZL16dequantize_blockILi32ELi2EXadL_ZL15dequantize_q4_0PKviiR7__half2EEfEvS1_PT2_i ; -- Begin function _ZL16dequantize_blockILi32ELi2EXadL_ZL15dequantize_q4_0PKviiR7__half2EEfEvS1_PT2_i
	.p2align	8
	.type	_ZL16dequantize_blockILi32ELi2EXadL_ZL15dequantize_q4_0PKviiR7__half2EEfEvS1_PT2_i,@function
_ZL16dequantize_blockILi32ELi2EXadL_ZL15dequantize_q4_0PKviiR7__half2EEfEvS1_PT2_i: ; @_ZL16dequantize_blockILi32ELi2EXadL_ZL15dequantize_q4_0PKviiR7__half2EEfEvS1_PT2_i
; %bb.0:
	s_load_dword s0, s[4:5], 0x24
	s_load_dword s1, s[4:5], 0x10
	s_waitcnt lgkmcnt(0)
	s_and_b32 s0, s0, 0xffff
	s_mul_i32 s6, s6, s0
	v_add_lshl_u32 v0, s6, v0, 1
	v_cmp_gt_i32_e32 vcc, s1, v0
	s_and_saveexec_b64 s[0:1], vcc
	s_cbranch_execz .LBB0_2
; %bb.1:
	s_load_dwordx4 s[0:3], s[4:5], 0x0
	v_ashrrev_i32_e32 v1, 31, v0
	v_lshrrev_b32_e32 v1, 27, v1
	v_add_u32_e32 v1, v0, v1
	v_ashrrev_i32_e32 v2, 5, v1
	v_and_b32_e32 v4, 0xffffffe0, v1
	v_sub_u32_e32 v3, v0, v4
	s_waitcnt lgkmcnt(0)
	v_mad_i64_i32 v[0:1], s[0:1], v2, 18, s[0:1]
	v_ashrrev_i32_e32 v5, 1, v3
	v_ashrrev_i32_e32 v3, 31, v5
	v_add_co_u32_e32 v2, vcc, v0, v5
	v_addc_co_u32_e32 v3, vcc, v1, v3, vcc
	global_load_ubyte v6, v[2:3], off offset:2
	global_load_ushort v7, v[0:1], off
	v_add_u32_e32 v0, v4, v5
	s_mov_b32 s0, 0xc800
	v_mov_b32_e32 v2, s3
	s_waitcnt vmcnt(1)
	v_and_b32_e32 v1, 15, v6
	v_lshrrev_b32_e32 v3, 4, v6
	v_cvt_f32_ubyte0_e32 v1, v1
	v_cvt_f32_ubyte0_e32 v3, v3
	v_cvt_f16_f32_e32 v4, v1
	v_cvt_f16_f32_e32 v3, v3
	s_waitcnt vmcnt(0)
	v_lshl_or_b32 v5, v7, 16, v7
	v_ashrrev_i32_e32 v1, 31, v0
	v_lshlrev_b64 v[0:1], 2, v[0:1]
	v_pack_b32_f16 v3, v4, v3
	v_pk_add_f16 v3, v3, s0 op_sel_hi:[1,0]
	v_pk_mul_f16 v3, v3, v5
	v_cvt_f32_f16_e32 v4, v3
	v_cvt_f32_f16_sdwa v3, v3 dst_sel:DWORD dst_unused:UNUSED_PAD src0_sel:WORD_1
	v_add_co_u32_e32 v0, vcc, s2, v0
	v_addc_co_u32_e32 v1, vcc, v2, v1, vcc
	global_store_dword v[0:1], v4, off
	global_store_dword v[0:1], v3, off offset:64
.LBB0_2:
	s_endpgm
	.section	.rodata,"a",@progbits
	.p2align	6, 0x0
	.amdhsa_kernel _ZL16dequantize_blockILi32ELi2EXadL_ZL15dequantize_q4_0PKviiR7__half2EEfEvS1_PT2_i
		.amdhsa_group_segment_fixed_size 0
		.amdhsa_private_segment_fixed_size 0
		.amdhsa_kernarg_size 280
		.amdhsa_user_sgpr_count 6
		.amdhsa_user_sgpr_private_segment_buffer 1
		.amdhsa_user_sgpr_dispatch_ptr 0
		.amdhsa_user_sgpr_queue_ptr 0
		.amdhsa_user_sgpr_kernarg_segment_ptr 1
		.amdhsa_user_sgpr_dispatch_id 0
		.amdhsa_user_sgpr_flat_scratch_init 0
		.amdhsa_user_sgpr_private_segment_size 0
		.amdhsa_uses_dynamic_stack 0
		.amdhsa_system_sgpr_private_segment_wavefront_offset 0
		.amdhsa_system_sgpr_workgroup_id_x 1
		.amdhsa_system_sgpr_workgroup_id_y 0
		.amdhsa_system_sgpr_workgroup_id_z 0
		.amdhsa_system_sgpr_workgroup_info 0
		.amdhsa_system_vgpr_workitem_id 0
		.amdhsa_next_free_vgpr 8
		.amdhsa_next_free_sgpr 7
		.amdhsa_reserve_vcc 1
		.amdhsa_reserve_flat_scratch 0
		.amdhsa_float_round_mode_32 0
		.amdhsa_float_round_mode_16_64 0
		.amdhsa_float_denorm_mode_32 3
		.amdhsa_float_denorm_mode_16_64 3
		.amdhsa_dx10_clamp 1
		.amdhsa_ieee_mode 1
		.amdhsa_fp16_overflow 0
		.amdhsa_exception_fp_ieee_invalid_op 0
		.amdhsa_exception_fp_denorm_src 0
		.amdhsa_exception_fp_ieee_div_zero 0
		.amdhsa_exception_fp_ieee_overflow 0
		.amdhsa_exception_fp_ieee_underflow 0
		.amdhsa_exception_fp_ieee_inexact 0
		.amdhsa_exception_int_div_zero 0
	.end_amdhsa_kernel
	.section	.text._ZL16dequantize_blockILi32ELi2EXadL_ZL15dequantize_q4_0PKviiR7__half2EEfEvS1_PT2_i,"axG",@progbits,_ZL16dequantize_blockILi32ELi2EXadL_ZL15dequantize_q4_0PKviiR7__half2EEfEvS1_PT2_i,comdat
.Lfunc_end0:
	.size	_ZL16dequantize_blockILi32ELi2EXadL_ZL15dequantize_q4_0PKviiR7__half2EEfEvS1_PT2_i, .Lfunc_end0-_ZL16dequantize_blockILi32ELi2EXadL_ZL15dequantize_q4_0PKviiR7__half2EEfEvS1_PT2_i
                                        ; -- End function
	.set _ZL16dequantize_blockILi32ELi2EXadL_ZL15dequantize_q4_0PKviiR7__half2EEfEvS1_PT2_i.num_vgpr, 8
	.set _ZL16dequantize_blockILi32ELi2EXadL_ZL15dequantize_q4_0PKviiR7__half2EEfEvS1_PT2_i.num_agpr, 0
	.set _ZL16dequantize_blockILi32ELi2EXadL_ZL15dequantize_q4_0PKviiR7__half2EEfEvS1_PT2_i.numbered_sgpr, 7
	.set _ZL16dequantize_blockILi32ELi2EXadL_ZL15dequantize_q4_0PKviiR7__half2EEfEvS1_PT2_i.num_named_barrier, 0
	.set _ZL16dequantize_blockILi32ELi2EXadL_ZL15dequantize_q4_0PKviiR7__half2EEfEvS1_PT2_i.private_seg_size, 0
	.set _ZL16dequantize_blockILi32ELi2EXadL_ZL15dequantize_q4_0PKviiR7__half2EEfEvS1_PT2_i.uses_vcc, 1
	.set _ZL16dequantize_blockILi32ELi2EXadL_ZL15dequantize_q4_0PKviiR7__half2EEfEvS1_PT2_i.uses_flat_scratch, 0
	.set _ZL16dequantize_blockILi32ELi2EXadL_ZL15dequantize_q4_0PKviiR7__half2EEfEvS1_PT2_i.has_dyn_sized_stack, 0
	.set _ZL16dequantize_blockILi32ELi2EXadL_ZL15dequantize_q4_0PKviiR7__half2EEfEvS1_PT2_i.has_recursion, 0
	.set _ZL16dequantize_blockILi32ELi2EXadL_ZL15dequantize_q4_0PKviiR7__half2EEfEvS1_PT2_i.has_indirect_call, 0
	.section	.AMDGPU.csdata,"",@progbits
; Kernel info:
; codeLenInByte = 264
; TotalNumSgprs: 11
; NumVgprs: 8
; ScratchSize: 0
; MemoryBound: 0
; FloatMode: 240
; IeeeMode: 1
; LDSByteSize: 0 bytes/workgroup (compile time only)
; SGPRBlocks: 1
; VGPRBlocks: 1
; NumSGPRsForWavesPerEU: 11
; NumVGPRsForWavesPerEU: 8
; Occupancy: 10
; WaveLimiterHint : 0
; COMPUTE_PGM_RSRC2:SCRATCH_EN: 0
; COMPUTE_PGM_RSRC2:USER_SGPR: 6
; COMPUTE_PGM_RSRC2:TRAP_HANDLER: 0
; COMPUTE_PGM_RSRC2:TGID_X_EN: 1
; COMPUTE_PGM_RSRC2:TGID_Y_EN: 0
; COMPUTE_PGM_RSRC2:TGID_Z_EN: 0
; COMPUTE_PGM_RSRC2:TIDIG_COMP_CNT: 0
	.section	.text._ZL16dequantize_blockILi32ELi2EXadL_ZL15dequantize_q4_1PKviiR7__half2EEfEvS1_PT2_i,"axG",@progbits,_ZL16dequantize_blockILi32ELi2EXadL_ZL15dequantize_q4_1PKviiR7__half2EEfEvS1_PT2_i,comdat
	.globl	_ZL16dequantize_blockILi32ELi2EXadL_ZL15dequantize_q4_1PKviiR7__half2EEfEvS1_PT2_i ; -- Begin function _ZL16dequantize_blockILi32ELi2EXadL_ZL15dequantize_q4_1PKviiR7__half2EEfEvS1_PT2_i
	.p2align	8
	.type	_ZL16dequantize_blockILi32ELi2EXadL_ZL15dequantize_q4_1PKviiR7__half2EEfEvS1_PT2_i,@function
_ZL16dequantize_blockILi32ELi2EXadL_ZL15dequantize_q4_1PKviiR7__half2EEfEvS1_PT2_i: ; @_ZL16dequantize_blockILi32ELi2EXadL_ZL15dequantize_q4_1PKviiR7__half2EEfEvS1_PT2_i
; %bb.0:
	s_load_dword s0, s[4:5], 0x24
	s_load_dword s1, s[4:5], 0x10
	s_waitcnt lgkmcnt(0)
	s_and_b32 s0, s0, 0xffff
	s_mul_i32 s6, s6, s0
	v_add_lshl_u32 v0, s6, v0, 1
	v_cmp_gt_i32_e32 vcc, s1, v0
	s_and_saveexec_b64 s[0:1], vcc
	s_cbranch_execz .LBB1_2
; %bb.1:
	s_load_dwordx4 s[0:3], s[4:5], 0x0
	v_ashrrev_i32_e32 v1, 31, v0
	v_lshrrev_b32_e32 v1, 27, v1
	v_add_u32_e32 v1, v0, v1
	v_ashrrev_i32_e32 v2, 5, v1
	v_and_b32_e32 v4, 0xffffffe0, v1
	v_sub_u32_e32 v3, v0, v4
	s_waitcnt lgkmcnt(0)
	v_mad_i64_i32 v[0:1], s[0:1], v2, 20, s[0:1]
	v_ashrrev_i32_e32 v5, 1, v3
	v_ashrrev_i32_e32 v3, 31, v5
	v_add_co_u32_e32 v2, vcc, v0, v5
	v_addc_co_u32_e32 v3, vcc, v1, v3, vcc
	global_load_ubyte v6, v[2:3], off offset:4
	global_load_dword v7, v[0:1], off
	v_add_u32_e32 v0, v4, v5
	s_mov_b32 s0, 0x10001
	s_mov_b32 s1, 0xffff0000
	v_ashrrev_i32_e32 v1, 31, v0
	v_lshlrev_b64 v[0:1], 2, v[0:1]
	v_mov_b32_e32 v2, s3
	v_add_co_u32_e32 v0, vcc, s2, v0
	v_addc_co_u32_e32 v1, vcc, v2, v1, vcc
	s_waitcnt vmcnt(1)
	v_and_b32_e32 v3, 15, v6
	v_lshrrev_b32_e32 v4, 4, v6
	v_cvt_f32_ubyte0_e32 v3, v3
	v_cvt_f32_ubyte0_e32 v4, v4
	v_cvt_f16_f32_e32 v3, v3
	v_cvt_f16_f32_e32 v4, v4
	s_waitcnt vmcnt(0)
	v_lshrrev_b32_e32 v5, 16, v7
	v_mul_u32_u24_sdwa v6, v7, s0 dst_sel:DWORD dst_unused:UNUSED_PAD src0_sel:WORD_0 src1_sel:DWORD
	v_and_or_b32 v5, v7, s1, v5
	v_pack_b32_f16 v3, v3, v4
	v_pk_fma_f16 v3, v3, v6, v5
	v_cvt_f32_f16_e32 v4, v3
	v_cvt_f32_f16_sdwa v3, v3 dst_sel:DWORD dst_unused:UNUSED_PAD src0_sel:WORD_1
	global_store_dword v[0:1], v4, off
	global_store_dword v[0:1], v3, off offset:64
.LBB1_2:
	s_endpgm
	.section	.rodata,"a",@progbits
	.p2align	6, 0x0
	.amdhsa_kernel _ZL16dequantize_blockILi32ELi2EXadL_ZL15dequantize_q4_1PKviiR7__half2EEfEvS1_PT2_i
		.amdhsa_group_segment_fixed_size 0
		.amdhsa_private_segment_fixed_size 0
		.amdhsa_kernarg_size 280
		.amdhsa_user_sgpr_count 6
		.amdhsa_user_sgpr_private_segment_buffer 1
		.amdhsa_user_sgpr_dispatch_ptr 0
		.amdhsa_user_sgpr_queue_ptr 0
		.amdhsa_user_sgpr_kernarg_segment_ptr 1
		.amdhsa_user_sgpr_dispatch_id 0
		.amdhsa_user_sgpr_flat_scratch_init 0
		.amdhsa_user_sgpr_private_segment_size 0
		.amdhsa_uses_dynamic_stack 0
		.amdhsa_system_sgpr_private_segment_wavefront_offset 0
		.amdhsa_system_sgpr_workgroup_id_x 1
		.amdhsa_system_sgpr_workgroup_id_y 0
		.amdhsa_system_sgpr_workgroup_id_z 0
		.amdhsa_system_sgpr_workgroup_info 0
		.amdhsa_system_vgpr_workitem_id 0
		.amdhsa_next_free_vgpr 8
		.amdhsa_next_free_sgpr 7
		.amdhsa_reserve_vcc 1
		.amdhsa_reserve_flat_scratch 0
		.amdhsa_float_round_mode_32 0
		.amdhsa_float_round_mode_16_64 0
		.amdhsa_float_denorm_mode_32 3
		.amdhsa_float_denorm_mode_16_64 3
		.amdhsa_dx10_clamp 1
		.amdhsa_ieee_mode 1
		.amdhsa_fp16_overflow 0
		.amdhsa_exception_fp_ieee_invalid_op 0
		.amdhsa_exception_fp_denorm_src 0
		.amdhsa_exception_fp_ieee_div_zero 0
		.amdhsa_exception_fp_ieee_overflow 0
		.amdhsa_exception_fp_ieee_underflow 0
		.amdhsa_exception_fp_ieee_inexact 0
		.amdhsa_exception_int_div_zero 0
	.end_amdhsa_kernel
	.section	.text._ZL16dequantize_blockILi32ELi2EXadL_ZL15dequantize_q4_1PKviiR7__half2EEfEvS1_PT2_i,"axG",@progbits,_ZL16dequantize_blockILi32ELi2EXadL_ZL15dequantize_q4_1PKviiR7__half2EEfEvS1_PT2_i,comdat
.Lfunc_end1:
	.size	_ZL16dequantize_blockILi32ELi2EXadL_ZL15dequantize_q4_1PKviiR7__half2EEfEvS1_PT2_i, .Lfunc_end1-_ZL16dequantize_blockILi32ELi2EXadL_ZL15dequantize_q4_1PKviiR7__half2EEfEvS1_PT2_i
                                        ; -- End function
	.set _ZL16dequantize_blockILi32ELi2EXadL_ZL15dequantize_q4_1PKviiR7__half2EEfEvS1_PT2_i.num_vgpr, 8
	.set _ZL16dequantize_blockILi32ELi2EXadL_ZL15dequantize_q4_1PKviiR7__half2EEfEvS1_PT2_i.num_agpr, 0
	.set _ZL16dequantize_blockILi32ELi2EXadL_ZL15dequantize_q4_1PKviiR7__half2EEfEvS1_PT2_i.numbered_sgpr, 7
	.set _ZL16dequantize_blockILi32ELi2EXadL_ZL15dequantize_q4_1PKviiR7__half2EEfEvS1_PT2_i.num_named_barrier, 0
	.set _ZL16dequantize_blockILi32ELi2EXadL_ZL15dequantize_q4_1PKviiR7__half2EEfEvS1_PT2_i.private_seg_size, 0
	.set _ZL16dequantize_blockILi32ELi2EXadL_ZL15dequantize_q4_1PKviiR7__half2EEfEvS1_PT2_i.uses_vcc, 1
	.set _ZL16dequantize_blockILi32ELi2EXadL_ZL15dequantize_q4_1PKviiR7__half2EEfEvS1_PT2_i.uses_flat_scratch, 0
	.set _ZL16dequantize_blockILi32ELi2EXadL_ZL15dequantize_q4_1PKviiR7__half2EEfEvS1_PT2_i.has_dyn_sized_stack, 0
	.set _ZL16dequantize_blockILi32ELi2EXadL_ZL15dequantize_q4_1PKviiR7__half2EEfEvS1_PT2_i.has_recursion, 0
	.set _ZL16dequantize_blockILi32ELi2EXadL_ZL15dequantize_q4_1PKviiR7__half2EEfEvS1_PT2_i.has_indirect_call, 0
	.section	.AMDGPU.csdata,"",@progbits
; Kernel info:
; codeLenInByte = 276
; TotalNumSgprs: 11
; NumVgprs: 8
; ScratchSize: 0
; MemoryBound: 0
; FloatMode: 240
; IeeeMode: 1
; LDSByteSize: 0 bytes/workgroup (compile time only)
; SGPRBlocks: 1
; VGPRBlocks: 1
; NumSGPRsForWavesPerEU: 11
; NumVGPRsForWavesPerEU: 8
; Occupancy: 10
; WaveLimiterHint : 0
; COMPUTE_PGM_RSRC2:SCRATCH_EN: 0
; COMPUTE_PGM_RSRC2:USER_SGPR: 6
; COMPUTE_PGM_RSRC2:TRAP_HANDLER: 0
; COMPUTE_PGM_RSRC2:TGID_X_EN: 1
; COMPUTE_PGM_RSRC2:TGID_Y_EN: 0
; COMPUTE_PGM_RSRC2:TGID_Z_EN: 0
; COMPUTE_PGM_RSRC2:TIDIG_COMP_CNT: 0
	.section	.text._ZL16dequantize_blockILi32ELi2EXadL_ZL15dequantize_q5_0PKviiR7__half2EEfEvS1_PT2_i,"axG",@progbits,_ZL16dequantize_blockILi32ELi2EXadL_ZL15dequantize_q5_0PKviiR7__half2EEfEvS1_PT2_i,comdat
	.globl	_ZL16dequantize_blockILi32ELi2EXadL_ZL15dequantize_q5_0PKviiR7__half2EEfEvS1_PT2_i ; -- Begin function _ZL16dequantize_blockILi32ELi2EXadL_ZL15dequantize_q5_0PKviiR7__half2EEfEvS1_PT2_i
	.p2align	8
	.type	_ZL16dequantize_blockILi32ELi2EXadL_ZL15dequantize_q5_0PKviiR7__half2EEfEvS1_PT2_i,@function
_ZL16dequantize_blockILi32ELi2EXadL_ZL15dequantize_q5_0PKviiR7__half2EEfEvS1_PT2_i: ; @_ZL16dequantize_blockILi32ELi2EXadL_ZL15dequantize_q5_0PKviiR7__half2EEfEvS1_PT2_i
; %bb.0:
	s_load_dword s0, s[4:5], 0x24
	s_load_dword s1, s[4:5], 0x10
	s_waitcnt lgkmcnt(0)
	s_and_b32 s0, s0, 0xffff
	s_mul_i32 s6, s6, s0
	v_add_lshl_u32 v0, s6, v0, 1
	v_cmp_gt_i32_e32 vcc, s1, v0
	s_and_saveexec_b64 s[0:1], vcc
	s_cbranch_execz .LBB2_2
; %bb.1:
	s_load_dwordx4 s[0:3], s[4:5], 0x0
	v_ashrrev_i32_e32 v1, 31, v0
	v_lshrrev_b32_e32 v1, 27, v1
	v_add_u32_e32 v3, v0, v1
	v_ashrrev_i32_e32 v1, 5, v3
	s_waitcnt lgkmcnt(0)
	v_mad_i64_i32 v[1:2], s[0:1], v1, 22, s[0:1]
	v_and_b32_e32 v3, 0xffffffe0, v3
	v_sub_u32_e32 v0, v0, v3
	v_ashrrev_i32_e32 v4, 1, v0
	global_load_dword v5, v[1:2], off
	global_load_ushort v6, v[1:2], off offset:4
	v_ashrrev_i32_e32 v7, 31, v4
	v_add_co_u32_e32 v0, vcc, v1, v4
	v_addc_co_u32_e32 v1, vcc, v2, v7, vcc
	global_load_ubyte v2, v[0:1], off offset:6
	s_mov_b32 s0, 0x1000706
	v_add_u32_e32 v0, v3, v4
	v_add_u32_e32 v8, 12, v4
	s_mov_b32 s1, 0xcc00
	v_ashrrev_i32_e32 v1, 31, v0
	v_lshlrev_b64 v[0:1], 2, v[0:1]
	v_mov_b32_e32 v7, s3
	v_add_co_u32_e32 v0, vcc, s2, v0
	v_addc_co_u32_e32 v1, vcc, v7, v1, vcc
	s_waitcnt vmcnt(1)
	v_perm_b32 v3, v5, v6, s0
	v_lshrrev_b32_e32 v4, v4, v3
	v_lshrrev_b32_e32 v3, v8, v3
	v_lshlrev_b32_e32 v4, 4, v4
	s_waitcnt vmcnt(0)
	v_and_b32_e32 v6, 15, v2
	v_lshrrev_b16_e32 v2, 4, v2
	v_and_or_b32 v2, v3, 16, v2
	v_and_or_b32 v3, v4, 16, v6
	v_cvt_f32_ubyte0_e32 v2, v2
	v_cvt_f32_ubyte0_e32 v3, v3
	v_cvt_f16_f32_e32 v2, v2
	v_cvt_f16_f32_e32 v3, v3
	v_and_b32_e32 v4, 0xffff, v5
	v_lshl_or_b32 v4, v5, 16, v4
	v_pack_b32_f16 v2, v3, v2
	v_pk_add_f16 v2, v2, s1 op_sel_hi:[1,0]
	v_pk_mul_f16 v2, v2, v4
	v_cvt_f32_f16_e32 v3, v2
	v_cvt_f32_f16_sdwa v2, v2 dst_sel:DWORD dst_unused:UNUSED_PAD src0_sel:WORD_1
	global_store_dword v[0:1], v3, off
	global_store_dword v[0:1], v2, off offset:64
.LBB2_2:
	s_endpgm
	.section	.rodata,"a",@progbits
	.p2align	6, 0x0
	.amdhsa_kernel _ZL16dequantize_blockILi32ELi2EXadL_ZL15dequantize_q5_0PKviiR7__half2EEfEvS1_PT2_i
		.amdhsa_group_segment_fixed_size 0
		.amdhsa_private_segment_fixed_size 0
		.amdhsa_kernarg_size 280
		.amdhsa_user_sgpr_count 6
		.amdhsa_user_sgpr_private_segment_buffer 1
		.amdhsa_user_sgpr_dispatch_ptr 0
		.amdhsa_user_sgpr_queue_ptr 0
		.amdhsa_user_sgpr_kernarg_segment_ptr 1
		.amdhsa_user_sgpr_dispatch_id 0
		.amdhsa_user_sgpr_flat_scratch_init 0
		.amdhsa_user_sgpr_private_segment_size 0
		.amdhsa_uses_dynamic_stack 0
		.amdhsa_system_sgpr_private_segment_wavefront_offset 0
		.amdhsa_system_sgpr_workgroup_id_x 1
		.amdhsa_system_sgpr_workgroup_id_y 0
		.amdhsa_system_sgpr_workgroup_id_z 0
		.amdhsa_system_sgpr_workgroup_info 0
		.amdhsa_system_vgpr_workitem_id 0
		.amdhsa_next_free_vgpr 9
		.amdhsa_next_free_sgpr 7
		.amdhsa_reserve_vcc 1
		.amdhsa_reserve_flat_scratch 0
		.amdhsa_float_round_mode_32 0
		.amdhsa_float_round_mode_16_64 0
		.amdhsa_float_denorm_mode_32 3
		.amdhsa_float_denorm_mode_16_64 3
		.amdhsa_dx10_clamp 1
		.amdhsa_ieee_mode 1
		.amdhsa_fp16_overflow 0
		.amdhsa_exception_fp_ieee_invalid_op 0
		.amdhsa_exception_fp_denorm_src 0
		.amdhsa_exception_fp_ieee_div_zero 0
		.amdhsa_exception_fp_ieee_overflow 0
		.amdhsa_exception_fp_ieee_underflow 0
		.amdhsa_exception_fp_ieee_inexact 0
		.amdhsa_exception_int_div_zero 0
	.end_amdhsa_kernel
	.section	.text._ZL16dequantize_blockILi32ELi2EXadL_ZL15dequantize_q5_0PKviiR7__half2EEfEvS1_PT2_i,"axG",@progbits,_ZL16dequantize_blockILi32ELi2EXadL_ZL15dequantize_q5_0PKviiR7__half2EEfEvS1_PT2_i,comdat
.Lfunc_end2:
	.size	_ZL16dequantize_blockILi32ELi2EXadL_ZL15dequantize_q5_0PKviiR7__half2EEfEvS1_PT2_i, .Lfunc_end2-_ZL16dequantize_blockILi32ELi2EXadL_ZL15dequantize_q5_0PKviiR7__half2EEfEvS1_PT2_i
                                        ; -- End function
	.set _ZL16dequantize_blockILi32ELi2EXadL_ZL15dequantize_q5_0PKviiR7__half2EEfEvS1_PT2_i.num_vgpr, 9
	.set _ZL16dequantize_blockILi32ELi2EXadL_ZL15dequantize_q5_0PKviiR7__half2EEfEvS1_PT2_i.num_agpr, 0
	.set _ZL16dequantize_blockILi32ELi2EXadL_ZL15dequantize_q5_0PKviiR7__half2EEfEvS1_PT2_i.numbered_sgpr, 7
	.set _ZL16dequantize_blockILi32ELi2EXadL_ZL15dequantize_q5_0PKviiR7__half2EEfEvS1_PT2_i.num_named_barrier, 0
	.set _ZL16dequantize_blockILi32ELi2EXadL_ZL15dequantize_q5_0PKviiR7__half2EEfEvS1_PT2_i.private_seg_size, 0
	.set _ZL16dequantize_blockILi32ELi2EXadL_ZL15dequantize_q5_0PKviiR7__half2EEfEvS1_PT2_i.uses_vcc, 1
	.set _ZL16dequantize_blockILi32ELi2EXadL_ZL15dequantize_q5_0PKviiR7__half2EEfEvS1_PT2_i.uses_flat_scratch, 0
	.set _ZL16dequantize_blockILi32ELi2EXadL_ZL15dequantize_q5_0PKviiR7__half2EEfEvS1_PT2_i.has_dyn_sized_stack, 0
	.set _ZL16dequantize_blockILi32ELi2EXadL_ZL15dequantize_q5_0PKviiR7__half2EEfEvS1_PT2_i.has_recursion, 0
	.set _ZL16dequantize_blockILi32ELi2EXadL_ZL15dequantize_q5_0PKviiR7__half2EEfEvS1_PT2_i.has_indirect_call, 0
	.section	.AMDGPU.csdata,"",@progbits
; Kernel info:
; codeLenInByte = 328
; TotalNumSgprs: 11
; NumVgprs: 9
; ScratchSize: 0
; MemoryBound: 0
; FloatMode: 240
; IeeeMode: 1
; LDSByteSize: 0 bytes/workgroup (compile time only)
; SGPRBlocks: 1
; VGPRBlocks: 2
; NumSGPRsForWavesPerEU: 11
; NumVGPRsForWavesPerEU: 9
; Occupancy: 10
; WaveLimiterHint : 0
; COMPUTE_PGM_RSRC2:SCRATCH_EN: 0
; COMPUTE_PGM_RSRC2:USER_SGPR: 6
; COMPUTE_PGM_RSRC2:TRAP_HANDLER: 0
; COMPUTE_PGM_RSRC2:TGID_X_EN: 1
; COMPUTE_PGM_RSRC2:TGID_Y_EN: 0
; COMPUTE_PGM_RSRC2:TGID_Z_EN: 0
; COMPUTE_PGM_RSRC2:TIDIG_COMP_CNT: 0
	.section	.text._ZL16dequantize_blockILi32ELi2EXadL_ZL15dequantize_q5_1PKviiR7__half2EEfEvS1_PT2_i,"axG",@progbits,_ZL16dequantize_blockILi32ELi2EXadL_ZL15dequantize_q5_1PKviiR7__half2EEfEvS1_PT2_i,comdat
	.globl	_ZL16dequantize_blockILi32ELi2EXadL_ZL15dequantize_q5_1PKviiR7__half2EEfEvS1_PT2_i ; -- Begin function _ZL16dequantize_blockILi32ELi2EXadL_ZL15dequantize_q5_1PKviiR7__half2EEfEvS1_PT2_i
	.p2align	8
	.type	_ZL16dequantize_blockILi32ELi2EXadL_ZL15dequantize_q5_1PKviiR7__half2EEfEvS1_PT2_i,@function
_ZL16dequantize_blockILi32ELi2EXadL_ZL15dequantize_q5_1PKviiR7__half2EEfEvS1_PT2_i: ; @_ZL16dequantize_blockILi32ELi2EXadL_ZL15dequantize_q5_1PKviiR7__half2EEfEvS1_PT2_i
; %bb.0:
	s_load_dword s0, s[4:5], 0x24
	s_load_dword s1, s[4:5], 0x10
	s_waitcnt lgkmcnt(0)
	s_and_b32 s0, s0, 0xffff
	s_mul_i32 s6, s6, s0
	v_add_lshl_u32 v0, s6, v0, 1
	v_cmp_gt_i32_e32 vcc, s1, v0
	s_and_saveexec_b64 s[0:1], vcc
	s_cbranch_execz .LBB3_2
; %bb.1:
	s_load_dwordx4 s[0:3], s[4:5], 0x0
	v_ashrrev_i32_e32 v1, 31, v0
	v_lshrrev_b32_e32 v1, 27, v1
	v_add_u32_e32 v3, v0, v1
	v_ashrrev_i32_e32 v1, 5, v3
	s_waitcnt lgkmcnt(0)
	v_mad_i64_i32 v[1:2], s[0:1], v1, 24, s[0:1]
	v_and_b32_e32 v5, 0xffffffe0, v3
	v_sub_u32_e32 v0, v0, v5
	v_ashrrev_i32_e32 v6, 1, v0
	v_ashrrev_i32_e32 v7, 31, v6
	v_add_co_u32_e32 v0, vcc, v1, v6
	global_load_dwordx2 v[3:4], v[1:2], off
	v_addc_co_u32_e32 v1, vcc, v2, v7, vcc
	global_load_ubyte v2, v[0:1], off offset:8
	v_add_u32_e32 v8, 12, v6
	v_add_u32_e32 v0, v5, v6
	s_mov_b32 s0, 0x10001
	s_mov_b32 s1, 0xffff0000
	v_ashrrev_i32_e32 v1, 31, v0
	v_lshlrev_b64 v[0:1], 2, v[0:1]
	v_mov_b32_e32 v7, s3
	v_add_co_u32_e32 v0, vcc, s2, v0
	v_addc_co_u32_e32 v1, vcc, v7, v1, vcc
	s_waitcnt vmcnt(1)
	v_lshrrev_b32_e32 v5, v6, v4
	v_lshrrev_b32_e32 v4, v8, v4
	v_lshlrev_b32_e32 v5, 4, v5
	s_waitcnt vmcnt(0)
	v_and_b32_e32 v6, 15, v2
	v_lshrrev_b16_e32 v2, 4, v2
	v_and_or_b32 v5, v5, 16, v6
	v_and_or_b32 v2, v4, 16, v2
	v_cvt_f32_ubyte0_e32 v4, v5
	v_cvt_f32_ubyte0_e32 v2, v2
	v_cvt_f16_f32_e32 v4, v4
	v_cvt_f16_f32_e32 v2, v2
	v_lshrrev_b32_e32 v5, 16, v3
	v_mul_u32_u24_sdwa v6, v3, s0 dst_sel:DWORD dst_unused:UNUSED_PAD src0_sel:WORD_0 src1_sel:DWORD
	v_and_or_b32 v3, v3, s1, v5
	v_pack_b32_f16 v2, v4, v2
	v_pk_fma_f16 v2, v2, v6, v3
	v_cvt_f32_f16_e32 v3, v2
	v_cvt_f32_f16_sdwa v2, v2 dst_sel:DWORD dst_unused:UNUSED_PAD src0_sel:WORD_1
	global_store_dword v[0:1], v3, off
	global_store_dword v[0:1], v2, off offset:64
.LBB3_2:
	s_endpgm
	.section	.rodata,"a",@progbits
	.p2align	6, 0x0
	.amdhsa_kernel _ZL16dequantize_blockILi32ELi2EXadL_ZL15dequantize_q5_1PKviiR7__half2EEfEvS1_PT2_i
		.amdhsa_group_segment_fixed_size 0
		.amdhsa_private_segment_fixed_size 0
		.amdhsa_kernarg_size 280
		.amdhsa_user_sgpr_count 6
		.amdhsa_user_sgpr_private_segment_buffer 1
		.amdhsa_user_sgpr_dispatch_ptr 0
		.amdhsa_user_sgpr_queue_ptr 0
		.amdhsa_user_sgpr_kernarg_segment_ptr 1
		.amdhsa_user_sgpr_dispatch_id 0
		.amdhsa_user_sgpr_flat_scratch_init 0
		.amdhsa_user_sgpr_private_segment_size 0
		.amdhsa_uses_dynamic_stack 0
		.amdhsa_system_sgpr_private_segment_wavefront_offset 0
		.amdhsa_system_sgpr_workgroup_id_x 1
		.amdhsa_system_sgpr_workgroup_id_y 0
		.amdhsa_system_sgpr_workgroup_id_z 0
		.amdhsa_system_sgpr_workgroup_info 0
		.amdhsa_system_vgpr_workitem_id 0
		.amdhsa_next_free_vgpr 9
		.amdhsa_next_free_sgpr 7
		.amdhsa_reserve_vcc 1
		.amdhsa_reserve_flat_scratch 0
		.amdhsa_float_round_mode_32 0
		.amdhsa_float_round_mode_16_64 0
		.amdhsa_float_denorm_mode_32 3
		.amdhsa_float_denorm_mode_16_64 3
		.amdhsa_dx10_clamp 1
		.amdhsa_ieee_mode 1
		.amdhsa_fp16_overflow 0
		.amdhsa_exception_fp_ieee_invalid_op 0
		.amdhsa_exception_fp_denorm_src 0
		.amdhsa_exception_fp_ieee_div_zero 0
		.amdhsa_exception_fp_ieee_overflow 0
		.amdhsa_exception_fp_ieee_underflow 0
		.amdhsa_exception_fp_ieee_inexact 0
		.amdhsa_exception_int_div_zero 0
	.end_amdhsa_kernel
	.section	.text._ZL16dequantize_blockILi32ELi2EXadL_ZL15dequantize_q5_1PKviiR7__half2EEfEvS1_PT2_i,"axG",@progbits,_ZL16dequantize_blockILi32ELi2EXadL_ZL15dequantize_q5_1PKviiR7__half2EEfEvS1_PT2_i,comdat
.Lfunc_end3:
	.size	_ZL16dequantize_blockILi32ELi2EXadL_ZL15dequantize_q5_1PKviiR7__half2EEfEvS1_PT2_i, .Lfunc_end3-_ZL16dequantize_blockILi32ELi2EXadL_ZL15dequantize_q5_1PKviiR7__half2EEfEvS1_PT2_i
                                        ; -- End function
	.set _ZL16dequantize_blockILi32ELi2EXadL_ZL15dequantize_q5_1PKviiR7__half2EEfEvS1_PT2_i.num_vgpr, 9
	.set _ZL16dequantize_blockILi32ELi2EXadL_ZL15dequantize_q5_1PKviiR7__half2EEfEvS1_PT2_i.num_agpr, 0
	.set _ZL16dequantize_blockILi32ELi2EXadL_ZL15dequantize_q5_1PKviiR7__half2EEfEvS1_PT2_i.numbered_sgpr, 7
	.set _ZL16dequantize_blockILi32ELi2EXadL_ZL15dequantize_q5_1PKviiR7__half2EEfEvS1_PT2_i.num_named_barrier, 0
	.set _ZL16dequantize_blockILi32ELi2EXadL_ZL15dequantize_q5_1PKviiR7__half2EEfEvS1_PT2_i.private_seg_size, 0
	.set _ZL16dequantize_blockILi32ELi2EXadL_ZL15dequantize_q5_1PKviiR7__half2EEfEvS1_PT2_i.uses_vcc, 1
	.set _ZL16dequantize_blockILi32ELi2EXadL_ZL15dequantize_q5_1PKviiR7__half2EEfEvS1_PT2_i.uses_flat_scratch, 0
	.set _ZL16dequantize_blockILi32ELi2EXadL_ZL15dequantize_q5_1PKviiR7__half2EEfEvS1_PT2_i.has_dyn_sized_stack, 0
	.set _ZL16dequantize_blockILi32ELi2EXadL_ZL15dequantize_q5_1PKviiR7__half2EEfEvS1_PT2_i.has_recursion, 0
	.set _ZL16dequantize_blockILi32ELi2EXadL_ZL15dequantize_q5_1PKviiR7__half2EEfEvS1_PT2_i.has_indirect_call, 0
	.section	.AMDGPU.csdata,"",@progbits
; Kernel info:
; codeLenInByte = 308
; TotalNumSgprs: 11
; NumVgprs: 9
; ScratchSize: 0
; MemoryBound: 0
; FloatMode: 240
; IeeeMode: 1
; LDSByteSize: 0 bytes/workgroup (compile time only)
; SGPRBlocks: 1
; VGPRBlocks: 2
; NumSGPRsForWavesPerEU: 11
; NumVGPRsForWavesPerEU: 9
; Occupancy: 10
; WaveLimiterHint : 0
; COMPUTE_PGM_RSRC2:SCRATCH_EN: 0
; COMPUTE_PGM_RSRC2:USER_SGPR: 6
; COMPUTE_PGM_RSRC2:TRAP_HANDLER: 0
; COMPUTE_PGM_RSRC2:TGID_X_EN: 1
; COMPUTE_PGM_RSRC2:TGID_Y_EN: 0
; COMPUTE_PGM_RSRC2:TGID_Z_EN: 0
; COMPUTE_PGM_RSRC2:TIDIG_COMP_CNT: 0
	.section	.text._ZL16dequantize_blockILi32ELi1EXadL_ZL15dequantize_q8_0PKviiR7__half2EEfEvS1_PT2_i,"axG",@progbits,_ZL16dequantize_blockILi32ELi1EXadL_ZL15dequantize_q8_0PKviiR7__half2EEfEvS1_PT2_i,comdat
	.globl	_ZL16dequantize_blockILi32ELi1EXadL_ZL15dequantize_q8_0PKviiR7__half2EEfEvS1_PT2_i ; -- Begin function _ZL16dequantize_blockILi32ELi1EXadL_ZL15dequantize_q8_0PKviiR7__half2EEfEvS1_PT2_i
	.p2align	8
	.type	_ZL16dequantize_blockILi32ELi1EXadL_ZL15dequantize_q8_0PKviiR7__half2EEfEvS1_PT2_i,@function
_ZL16dequantize_blockILi32ELi1EXadL_ZL15dequantize_q8_0PKviiR7__half2EEfEvS1_PT2_i: ; @_ZL16dequantize_blockILi32ELi1EXadL_ZL15dequantize_q8_0PKviiR7__half2EEfEvS1_PT2_i
; %bb.0:
	s_load_dword s0, s[4:5], 0x24
	s_load_dword s1, s[4:5], 0x10
	s_waitcnt lgkmcnt(0)
	s_and_b32 s0, s0, 0xffff
	s_mul_i32 s6, s6, s0
	v_add_lshl_u32 v0, s6, v0, 1
	v_cmp_gt_i32_e32 vcc, s1, v0
	s_and_saveexec_b64 s[0:1], vcc
	s_cbranch_execz .LBB4_2
; %bb.1:
	s_load_dwordx4 s[0:3], s[4:5], 0x0
	v_ashrrev_i32_e32 v1, 31, v0
	v_lshrrev_b32_e32 v2, 27, v1
	v_add_u32_e32 v2, v0, v2
	v_ashrrev_i32_e32 v3, 5, v2
	v_and_b32_e32 v4, 0xffffffe0, v2
	s_waitcnt lgkmcnt(0)
	v_mad_i64_i32 v[2:3], s[0:1], v3, 34, s[0:1]
	v_sub_u32_e32 v4, v0, v4
	v_ashrrev_i32_e32 v5, 31, v4
	v_add_co_u32_e32 v4, vcc, v2, v4
	v_addc_co_u32_e32 v5, vcc, v3, v5, vcc
	global_load_ushort v6, v[2:3], off
	global_load_ushort v7, v[4:5], off offset:2
	v_lshlrev_b64 v[0:1], 2, v[0:1]
	v_mov_b32_e32 v4, s3
	v_add_co_u32_e32 v0, vcc, s2, v0
	v_addc_co_u32_e32 v1, vcc, v4, v1, vcc
	s_waitcnt vmcnt(1)
	v_lshl_or_b32 v2, v6, 16, v6
	s_waitcnt vmcnt(0)
	v_cvt_f16_i16_sdwa v3, sext(v7) dst_sel:DWORD dst_unused:UNUSED_PAD src0_sel:BYTE_1
	v_cvt_f16_i16_sdwa v5, sext(v7) dst_sel:DWORD dst_unused:UNUSED_PAD src0_sel:BYTE_0
	v_pack_b32_f16 v3, v5, v3
	v_pk_mul_f16 v3, v3, v2
	v_cvt_f32_f16_e32 v2, v3
	v_cvt_f32_f16_sdwa v3, v3 dst_sel:DWORD dst_unused:UNUSED_PAD src0_sel:WORD_1
	global_store_dwordx2 v[0:1], v[2:3], off
.LBB4_2:
	s_endpgm
	.section	.rodata,"a",@progbits
	.p2align	6, 0x0
	.amdhsa_kernel _ZL16dequantize_blockILi32ELi1EXadL_ZL15dequantize_q8_0PKviiR7__half2EEfEvS1_PT2_i
		.amdhsa_group_segment_fixed_size 0
		.amdhsa_private_segment_fixed_size 0
		.amdhsa_kernarg_size 280
		.amdhsa_user_sgpr_count 6
		.amdhsa_user_sgpr_private_segment_buffer 1
		.amdhsa_user_sgpr_dispatch_ptr 0
		.amdhsa_user_sgpr_queue_ptr 0
		.amdhsa_user_sgpr_kernarg_segment_ptr 1
		.amdhsa_user_sgpr_dispatch_id 0
		.amdhsa_user_sgpr_flat_scratch_init 0
		.amdhsa_user_sgpr_private_segment_size 0
		.amdhsa_uses_dynamic_stack 0
		.amdhsa_system_sgpr_private_segment_wavefront_offset 0
		.amdhsa_system_sgpr_workgroup_id_x 1
		.amdhsa_system_sgpr_workgroup_id_y 0
		.amdhsa_system_sgpr_workgroup_id_z 0
		.amdhsa_system_sgpr_workgroup_info 0
		.amdhsa_system_vgpr_workitem_id 0
		.amdhsa_next_free_vgpr 8
		.amdhsa_next_free_sgpr 7
		.amdhsa_reserve_vcc 1
		.amdhsa_reserve_flat_scratch 0
		.amdhsa_float_round_mode_32 0
		.amdhsa_float_round_mode_16_64 0
		.amdhsa_float_denorm_mode_32 3
		.amdhsa_float_denorm_mode_16_64 3
		.amdhsa_dx10_clamp 1
		.amdhsa_ieee_mode 1
		.amdhsa_fp16_overflow 0
		.amdhsa_exception_fp_ieee_invalid_op 0
		.amdhsa_exception_fp_denorm_src 0
		.amdhsa_exception_fp_ieee_div_zero 0
		.amdhsa_exception_fp_ieee_overflow 0
		.amdhsa_exception_fp_ieee_underflow 0
		.amdhsa_exception_fp_ieee_inexact 0
		.amdhsa_exception_int_div_zero 0
	.end_amdhsa_kernel
	.section	.text._ZL16dequantize_blockILi32ELi1EXadL_ZL15dequantize_q8_0PKviiR7__half2EEfEvS1_PT2_i,"axG",@progbits,_ZL16dequantize_blockILi32ELi1EXadL_ZL15dequantize_q8_0PKviiR7__half2EEfEvS1_PT2_i,comdat
.Lfunc_end4:
	.size	_ZL16dequantize_blockILi32ELi1EXadL_ZL15dequantize_q8_0PKviiR7__half2EEfEvS1_PT2_i, .Lfunc_end4-_ZL16dequantize_blockILi32ELi1EXadL_ZL15dequantize_q8_0PKviiR7__half2EEfEvS1_PT2_i
                                        ; -- End function
	.set _ZL16dequantize_blockILi32ELi1EXadL_ZL15dequantize_q8_0PKviiR7__half2EEfEvS1_PT2_i.num_vgpr, 8
	.set _ZL16dequantize_blockILi32ELi1EXadL_ZL15dequantize_q8_0PKviiR7__half2EEfEvS1_PT2_i.num_agpr, 0
	.set _ZL16dequantize_blockILi32ELi1EXadL_ZL15dequantize_q8_0PKviiR7__half2EEfEvS1_PT2_i.numbered_sgpr, 7
	.set _ZL16dequantize_blockILi32ELi1EXadL_ZL15dequantize_q8_0PKviiR7__half2EEfEvS1_PT2_i.num_named_barrier, 0
	.set _ZL16dequantize_blockILi32ELi1EXadL_ZL15dequantize_q8_0PKviiR7__half2EEfEvS1_PT2_i.private_seg_size, 0
	.set _ZL16dequantize_blockILi32ELi1EXadL_ZL15dequantize_q8_0PKviiR7__half2EEfEvS1_PT2_i.uses_vcc, 1
	.set _ZL16dequantize_blockILi32ELi1EXadL_ZL15dequantize_q8_0PKviiR7__half2EEfEvS1_PT2_i.uses_flat_scratch, 0
	.set _ZL16dequantize_blockILi32ELi1EXadL_ZL15dequantize_q8_0PKviiR7__half2EEfEvS1_PT2_i.has_dyn_sized_stack, 0
	.set _ZL16dequantize_blockILi32ELi1EXadL_ZL15dequantize_q8_0PKviiR7__half2EEfEvS1_PT2_i.has_recursion, 0
	.set _ZL16dequantize_blockILi32ELi1EXadL_ZL15dequantize_q8_0PKviiR7__half2EEfEvS1_PT2_i.has_indirect_call, 0
	.section	.AMDGPU.csdata,"",@progbits
; Kernel info:
; codeLenInByte = 220
; TotalNumSgprs: 11
; NumVgprs: 8
; ScratchSize: 0
; MemoryBound: 0
; FloatMode: 240
; IeeeMode: 1
; LDSByteSize: 0 bytes/workgroup (compile time only)
; SGPRBlocks: 1
; VGPRBlocks: 1
; NumSGPRsForWavesPerEU: 11
; NumVGPRsForWavesPerEU: 8
; Occupancy: 10
; WaveLimiterHint : 0
; COMPUTE_PGM_RSRC2:SCRATCH_EN: 0
; COMPUTE_PGM_RSRC2:USER_SGPR: 6
; COMPUTE_PGM_RSRC2:TRAP_HANDLER: 0
; COMPUTE_PGM_RSRC2:TGID_X_EN: 1
; COMPUTE_PGM_RSRC2:TGID_Y_EN: 0
; COMPUTE_PGM_RSRC2:TGID_Z_EN: 0
; COMPUTE_PGM_RSRC2:TIDIG_COMP_CNT: 0
	.section	.text._ZL21dequantize_block_q2_KIfEvPKvPT_,"axG",@progbits,_ZL21dequantize_block_q2_KIfEvPKvPT_,comdat
	.globl	_ZL21dequantize_block_q2_KIfEvPKvPT_ ; -- Begin function _ZL21dequantize_block_q2_KIfEvPKvPT_
	.p2align	8
	.type	_ZL21dequantize_block_q2_KIfEvPKvPT_,@function
_ZL21dequantize_block_q2_KIfEvPKvPT_:   ; @_ZL21dequantize_block_q2_KIfEvPKvPT_
; %bb.0:
	s_load_dwordx4 s[0:3], s[4:5], 0x0
	s_mul_i32 s5, s6, 0x54
	v_lshrrev_b32_e32 v1, 5, v0
	v_bfe_u32 v2, v0, 4, 1
	s_mul_hi_u32 s4, s6, 0x54
	s_waitcnt lgkmcnt(0)
	s_add_u32 s0, s0, s5
	v_lshl_or_b32 v2, v1, 3, v2
	s_addc_u32 s1, s1, s4
	global_load_ubyte v3, v2, s[0:1]
	global_load_ubyte v4, v0, s[0:1] offset:16
	global_load_ubyte v5, v2, s[0:1] offset:2
	;; [unrolled: 1-line block ×4, first 2 shown]
	s_load_dword s4, s[0:1], 0x50
	s_mov_b32 s1, 0
	s_lshl_b32 s0, s6, 8
	s_lshl_b64 s[0:1], s[0:1], 2
	s_add_u32 s0, s2, s0
	v_lshlrev_b32_e32 v1, 9, v1
	s_addc_u32 s1, s3, s1
	v_and_b32_e32 v0, 31, v0
	v_mov_b32_e32 v2, s1
	v_add_co_u32_e32 v1, vcc, s0, v1
	v_lshlrev_b32_e32 v0, 2, v0
	v_addc_co_u32_e32 v2, vcc, 0, v2, vcc
	v_add_co_u32_e32 v0, vcc, v1, v0
	v_addc_co_u32_e32 v1, vcc, 0, v2, vcc
	s_waitcnt lgkmcnt(0)
	s_lshr_b32 s0, s4, 16
	s_waitcnt vmcnt(4)
	v_and_b32_e32 v2, 15, v3
	s_waitcnt vmcnt(3)
	v_and_b32_e32 v8, 3, v4
	;; [unrolled: 2-line block ×3, first 2 shown]
	v_bfe_u32 v10, v4, 2, 2
	v_mul_u32_u24_sdwa v2, v8, v2 dst_sel:DWORD dst_unused:UNUSED_PAD src0_sel:DWORD src1_sel:WORD_0
	s_waitcnt vmcnt(1)
	v_and_b32_e32 v11, 15, v6
	v_bfe_u32 v12, v4, 4, 2
	v_mul_u32_u24_sdwa v8, v10, v9 dst_sel:DWORD dst_unused:UNUSED_PAD src0_sel:DWORD src1_sel:WORD_0
	v_cvt_f32_ubyte0_e32 v2, v2
	s_waitcnt vmcnt(0)
	v_and_b32_e32 v13, 15, v7
	v_lshrrev_b32_e32 v4, 6, v4
	v_mul_u32_u24_sdwa v9, v12, v11 dst_sel:DWORD dst_unused:UNUSED_PAD src0_sel:DWORD src1_sel:WORD_0
	v_cvt_f32_ubyte0_e32 v8, v8
	v_cvt_f16_f32_e32 v2, v2
	v_lshrrev_b16_e32 v3, 4, v3
	v_mul_u32_u24_sdwa v4, v4, v13 dst_sel:DWORD dst_unused:UNUSED_PAD src0_sel:DWORD src1_sel:WORD_0
	v_cvt_f32_ubyte0_e32 v9, v9
	v_cvt_f16_f32_e32 v8, v8
	v_lshrrev_b16_e32 v5, 4, v5
	v_cvt_f16_u16_e32 v3, v3
	v_cvt_f32_ubyte0_e32 v4, v4
	v_cvt_f16_f32_e32 v9, v9
	v_lshrrev_b16_e32 v6, 4, v6
	v_cvt_f16_u16_e32 v5, v5
	v_mul_f16_e32 v3, s0, v3
	v_cvt_f16_f32_e32 v4, v4
	v_lshrrev_b16_e32 v7, 4, v7
	v_cvt_f16_u16_e32 v6, v6
	v_mul_f16_e32 v5, s0, v5
	v_fma_f16 v2, s4, v2, -v3
	v_cvt_f16_u16_e32 v7, v7
	v_mul_f16_e32 v6, s0, v6
	v_fma_f16 v3, s4, v8, -v5
	v_cvt_f32_f16_e32 v2, v2
	v_mul_f16_e32 v7, s0, v7
	v_fma_f16 v5, s4, v9, -v6
	v_cvt_f32_f16_e32 v3, v3
	v_fma_f16 v4, s4, v4, -v7
	v_cvt_f32_f16_e32 v5, v5
	v_cvt_f32_f16_e32 v4, v4
	global_store_dword v[0:1], v2, off
	global_store_dword v[0:1], v3, off offset:128
	global_store_dword v[0:1], v5, off offset:256
	;; [unrolled: 1-line block ×3, first 2 shown]
	s_endpgm
	.section	.rodata,"a",@progbits
	.p2align	6, 0x0
	.amdhsa_kernel _ZL21dequantize_block_q2_KIfEvPKvPT_
		.amdhsa_group_segment_fixed_size 0
		.amdhsa_private_segment_fixed_size 0
		.amdhsa_kernarg_size 16
		.amdhsa_user_sgpr_count 6
		.amdhsa_user_sgpr_private_segment_buffer 1
		.amdhsa_user_sgpr_dispatch_ptr 0
		.amdhsa_user_sgpr_queue_ptr 0
		.amdhsa_user_sgpr_kernarg_segment_ptr 1
		.amdhsa_user_sgpr_dispatch_id 0
		.amdhsa_user_sgpr_flat_scratch_init 0
		.amdhsa_user_sgpr_private_segment_size 0
		.amdhsa_uses_dynamic_stack 0
		.amdhsa_system_sgpr_private_segment_wavefront_offset 0
		.amdhsa_system_sgpr_workgroup_id_x 1
		.amdhsa_system_sgpr_workgroup_id_y 0
		.amdhsa_system_sgpr_workgroup_id_z 0
		.amdhsa_system_sgpr_workgroup_info 0
		.amdhsa_system_vgpr_workitem_id 0
		.amdhsa_next_free_vgpr 14
		.amdhsa_next_free_sgpr 7
		.amdhsa_reserve_vcc 1
		.amdhsa_reserve_flat_scratch 0
		.amdhsa_float_round_mode_32 0
		.amdhsa_float_round_mode_16_64 0
		.amdhsa_float_denorm_mode_32 3
		.amdhsa_float_denorm_mode_16_64 3
		.amdhsa_dx10_clamp 1
		.amdhsa_ieee_mode 1
		.amdhsa_fp16_overflow 0
		.amdhsa_exception_fp_ieee_invalid_op 0
		.amdhsa_exception_fp_denorm_src 0
		.amdhsa_exception_fp_ieee_div_zero 0
		.amdhsa_exception_fp_ieee_overflow 0
		.amdhsa_exception_fp_ieee_underflow 0
		.amdhsa_exception_fp_ieee_inexact 0
		.amdhsa_exception_int_div_zero 0
	.end_amdhsa_kernel
	.section	.text._ZL21dequantize_block_q2_KIfEvPKvPT_,"axG",@progbits,_ZL21dequantize_block_q2_KIfEvPKvPT_,comdat
.Lfunc_end5:
	.size	_ZL21dequantize_block_q2_KIfEvPKvPT_, .Lfunc_end5-_ZL21dequantize_block_q2_KIfEvPKvPT_
                                        ; -- End function
	.set _ZL21dequantize_block_q2_KIfEvPKvPT_.num_vgpr, 14
	.set _ZL21dequantize_block_q2_KIfEvPKvPT_.num_agpr, 0
	.set _ZL21dequantize_block_q2_KIfEvPKvPT_.numbered_sgpr, 7
	.set _ZL21dequantize_block_q2_KIfEvPKvPT_.num_named_barrier, 0
	.set _ZL21dequantize_block_q2_KIfEvPKvPT_.private_seg_size, 0
	.set _ZL21dequantize_block_q2_KIfEvPKvPT_.uses_vcc, 1
	.set _ZL21dequantize_block_q2_KIfEvPKvPT_.uses_flat_scratch, 0
	.set _ZL21dequantize_block_q2_KIfEvPKvPT_.has_dyn_sized_stack, 0
	.set _ZL21dequantize_block_q2_KIfEvPKvPT_.has_recursion, 0
	.set _ZL21dequantize_block_q2_KIfEvPKvPT_.has_indirect_call, 0
	.section	.AMDGPU.csdata,"",@progbits
; Kernel info:
; codeLenInByte = 420
; TotalNumSgprs: 11
; NumVgprs: 14
; ScratchSize: 0
; MemoryBound: 0
; FloatMode: 240
; IeeeMode: 1
; LDSByteSize: 0 bytes/workgroup (compile time only)
; SGPRBlocks: 1
; VGPRBlocks: 3
; NumSGPRsForWavesPerEU: 11
; NumVGPRsForWavesPerEU: 14
; Occupancy: 10
; WaveLimiterHint : 0
; COMPUTE_PGM_RSRC2:SCRATCH_EN: 0
; COMPUTE_PGM_RSRC2:USER_SGPR: 6
; COMPUTE_PGM_RSRC2:TRAP_HANDLER: 0
; COMPUTE_PGM_RSRC2:TGID_X_EN: 1
; COMPUTE_PGM_RSRC2:TGID_Y_EN: 0
; COMPUTE_PGM_RSRC2:TGID_Z_EN: 0
; COMPUTE_PGM_RSRC2:TIDIG_COMP_CNT: 0
	.section	.text._ZL21dequantize_block_q3_KIfEvPKvPT_,"axG",@progbits,_ZL21dequantize_block_q3_KIfEvPKvPT_,comdat
	.globl	_ZL21dequantize_block_q3_KIfEvPKvPT_ ; -- Begin function _ZL21dequantize_block_q3_KIfEvPKvPT_
	.p2align	8
	.type	_ZL21dequantize_block_q3_KIfEvPKvPT_,@function
_ZL21dequantize_block_q3_KIfEvPKvPT_:   ; @_ZL21dequantize_block_q3_KIfEvPKvPT_
; %bb.0:
	v_lshrrev_b32_e32 v4, 5, v0
	v_lshrrev_b32_e32 v6, 3, v0
	v_lshlrev_b32_e32 v1, 2, v4
	s_load_dwordx4 s[8:11], s[4:5], 0x0
	v_sub_u32_e32 v5, v6, v1
	v_lshlrev_b32_e32 v3, 1, v5
	v_bfe_u32 v7, v0, 2, 1
	v_lshl_add_u32 v11, v4, 3, v3
	v_or_b32_e32 v10, v11, v7
	v_cmp_lt_i32_e32 vcc, 3, v10
	s_mov_b32 s7, 0
	v_mov_b32_e32 v1, s6
	v_mov_b32_e32 v2, s7
                                        ; implicit-def: $vgpr9
                                        ; implicit-def: $vgpr8
	s_and_saveexec_b64 s[0:1], vcc
	s_xor_b64 s[2:3], exec, s[0:1]
	s_cbranch_execz .LBB6_10
; %bb.1:
	v_cmp_lt_u32_e32 vcc, 7, v11
	v_mov_b32_e32 v1, s6
	v_mov_b32_e32 v2, s7
                                        ; implicit-def: $vgpr9
                                        ; implicit-def: $vgpr8
	s_and_saveexec_b64 s[0:1], vcc
	s_xor_b64 s[4:5], exec, s[0:1]
	s_cbranch_execz .LBB6_7
; %bb.2:
	s_mul_i32 s0, s6, 0x6e
	s_mul_hi_u32 s1, s6, 0x6e
	s_waitcnt lgkmcnt(0)
	s_add_u32 s0, s8, s0
	s_addc_u32 s1, s9, s1
	global_load_ubyte v9, v10, s[0:1] offset:88
	v_mov_b32_e32 v2, s1
	v_add_co_u32_e64 v1, s[0:1], s0, v10
	v_cmp_lt_u32_e32 vcc, 11, v11
	v_addc_co_u32_e64 v2, s[0:1], 0, v2, s[0:1]
                                        ; implicit-def: $vgpr8
	s_and_saveexec_b64 s[0:1], vcc
	s_xor_b64 s[0:1], exec, s[0:1]
	s_cbranch_execz .LBB6_4
; %bb.3:
	global_load_ubyte v1, v[1:2], off offset:92
	s_waitcnt vmcnt(0)
	v_lshrrev_b16_e32 v8, 2, v1
                                        ; implicit-def: $vgpr1_vgpr2
.LBB6_4:
	s_andn2_saveexec_b64 s[0:1], s[0:1]
	s_cbranch_execz .LBB6_6
; %bb.5:
	global_load_ubyte v8, v[1:2], off offset:96
.LBB6_6:
	s_or_b64 exec, exec, s[0:1]
	v_mov_b32_e32 v1, s6
	s_waitcnt vmcnt(0)
	v_lshrrev_b16_e32 v9, 4, v9
	v_mov_b32_e32 v2, s7
                                        ; implicit-def: $vgpr10
.LBB6_7:
	s_andn2_saveexec_b64 s[0:1], s[4:5]
	s_cbranch_execz .LBB6_9
; %bb.8:
	s_mul_i32 s4, s6, 0x6e
	s_mul_hi_u32 s5, s6, 0x6e
	s_waitcnt lgkmcnt(0)
	s_add_u32 s4, s8, s4
	s_addc_u32 s5, s9, s5
	global_load_ubyte v2, v10, s[4:5] offset:96
	global_load_ubyte v8, v10, s[4:5] offset:100
	s_waitcnt vmcnt(1)
	v_and_b32_e32 v9, 15, v2
	s_waitcnt vmcnt(0)
	v_lshlrev_b16_e32 v8, 2, v8
.LBB6_9:
	s_or_b64 exec, exec, s[0:1]
                                        ; implicit-def: $vgpr10
.LBB6_10:
	s_andn2_saveexec_b64 s[0:1], s[2:3]
	s_cbranch_execz .LBB6_12
; %bb.11:
	s_mul_i32 s3, s6, 0x6e
	s_mul_hi_u32 s2, s6, 0x6e
	s_waitcnt lgkmcnt(0)
	s_add_u32 s3, s8, s3
	s_addc_u32 s2, s9, s2
	v_ashrrev_i32_e32 v2, 31, v10
	v_mov_b32_e32 v9, s2
	v_add_co_u32_e32 v8, vcc, s3, v10
	v_addc_co_u32_e32 v9, vcc, v9, v2, vcc
	global_load_ubyte v2, v[8:9], off offset:96
	global_load_ubyte v10, v[8:9], off offset:104
	s_waitcnt vmcnt(1)
	v_and_b32_e32 v9, 15, v2
	s_waitcnt vmcnt(0)
	v_lshlrev_b16_e32 v8, 4, v10
.LBB6_12:
	s_or_b64 exec, exec, s[0:1]
	s_waitcnt lgkmcnt(0)
	v_mov_b32_e32 v11, s9
	v_lshlrev_b32_e32 v2, 2, v0
	s_movk_i32 s0, 0x6e
	v_mov_b32_e32 v10, s8
	v_and_b32_e32 v12, 12, v2
	v_mad_u64_u32 v[1:2], s[0:1], v1, s0, v[10:11]
	v_and_b32_e32 v0, 0x3e0, v0
	v_lshl_or_b32 v7, v7, 4, v12
	v_add_co_u32_e32 v0, vcc, v1, v0
	v_addc_co_u32_e32 v11, vcc, 0, v2, vcc
	v_add_co_u32_e32 v10, vcc, v0, v7
	v_addc_co_u32_e32 v11, vcc, 0, v11, vcc
	v_add_co_u32_e32 v0, vcc, v1, v7
	global_load_ushort v12, v[1:2], off offset:108
	global_load_dword v13, v[10:11], off offset:32
	v_addc_co_u32_e32 v1, vcc, 0, v2, vcc
	global_load_dword v2, v[0:1], off
	v_and_b32_e32 v1, 48, v8
	v_mov_b32_e32 v8, 32
	v_lshlrev_b32_e32 v0, 5, v5
	v_or_b32_e32 v5, v1, v9
	v_sub_u32_sdwa v5, v5, v8 dst_sel:DWORD dst_unused:UNUSED_PAD src0_sel:BYTE_0 src1_sel:DWORD
	v_cvt_f32_i32_e32 v5, v5
	s_lshl_b32 s0, s6, 8
	s_mov_b32 s1, 0
	s_lshl_b64 s[0:1], s[0:1], 2
	s_add_u32 s0, s10, s0
	v_lshlrev_b32_e32 v4, 9, v4
	v_ashrrev_i32_e32 v1, 31, v0
	s_addc_u32 s1, s11, s1
	v_cvt_f16_f32_e32 v5, v5
	v_lshlrev_b64 v[0:1], 2, v[0:1]
	v_mov_b32_e32 v8, s1
	v_add_co_u32_e32 v4, vcc, s0, v4
	v_addc_co_u32_e32 v8, vcc, 0, v8, vcc
	v_lshlrev_b32_e64 v6, v6, 1
	v_add_co_u32_e32 v4, vcc, v4, v0
	v_addc_co_u32_e32 v8, vcc, v8, v1, vcc
	v_lshlrev_b32_e32 v7, 2, v7
	s_waitcnt vmcnt(2)
	v_mul_f16_e32 v0, v12, v5
	s_waitcnt vmcnt(1)
	v_lshrrev_b32_sdwa v1, v3, v13 dst_sel:DWORD dst_unused:UNUSED_PAD src0_sel:DWORD src1_sel:BYTE_0
	v_lshrrev_b32_sdwa v5, v3, v13 dst_sel:DWORD dst_unused:UNUSED_PAD src0_sel:DWORD src1_sel:BYTE_1
	v_lshrrev_b32_sdwa v9, v3, v13 dst_sel:DWORD dst_unused:UNUSED_PAD src0_sel:DWORD src1_sel:BYTE_2
	s_waitcnt vmcnt(0)
	v_and_b32_sdwa v10, v6, v2 dst_sel:DWORD dst_unused:UNUSED_PAD src0_sel:DWORD src1_sel:BYTE_3
	v_and_b32_sdwa v11, v6, v2 dst_sel:DWORD dst_unused:UNUSED_PAD src0_sel:DWORD src1_sel:BYTE_2
	v_and_b32_sdwa v12, v6, v2 dst_sel:DWORD dst_unused:UNUSED_PAD src0_sel:DWORD src1_sel:BYTE_1
	v_and_b32_sdwa v2, v6, v2 dst_sel:DWORD dst_unused:UNUSED_PAD src0_sel:DWORD src1_sel:BYTE_0
	v_cmp_eq_u32_e32 vcc, 0, v2
	v_cndmask_b32_e64 v2, 0, -4, vcc
	v_cmp_eq_u32_e32 vcc, 0, v12
	v_cndmask_b32_e64 v6, 0, -4, vcc
	;; [unrolled: 2-line block ×3, first 2 shown]
	v_cmp_eq_u32_e32 vcc, 0, v10
	v_lshrrev_b32_sdwa v3, v3, v13 dst_sel:DWORD dst_unused:UNUSED_PAD src0_sel:DWORD src1_sel:BYTE_3
	v_cndmask_b32_e64 v10, 0, -4, vcc
	v_and_or_b32 v1, v1, 3, v2
	v_and_or_b32 v2, v5, 3, v6
	;; [unrolled: 1-line block ×4, first 2 shown]
	v_cvt_f32_i32_e32 v1, v1
	v_cvt_f32_i32_e32 v2, v2
	;; [unrolled: 1-line block ×4, first 2 shown]
	v_cvt_f16_f32_e32 v1, v1
	v_cvt_f16_f32_e32 v2, v2
	v_cvt_f16_f32_e32 v5, v5
	v_cvt_f16_f32_e32 v3, v3
	v_mul_f16_e32 v1, v0, v1
	v_mul_f16_e32 v2, v0, v2
	v_mul_f16_e32 v5, v0, v5
	v_mul_f16_e32 v3, v0, v3
	v_cvt_f32_f16_e32 v0, v1
	v_cvt_f32_f16_e32 v1, v2
	;; [unrolled: 1-line block ×4, first 2 shown]
	v_add_co_u32_e32 v4, vcc, v4, v7
	v_addc_co_u32_e32 v5, vcc, 0, v8, vcc
	global_store_dwordx4 v[4:5], v[0:3], off
	s_endpgm
	.section	.rodata,"a",@progbits
	.p2align	6, 0x0
	.amdhsa_kernel _ZL21dequantize_block_q3_KIfEvPKvPT_
		.amdhsa_group_segment_fixed_size 0
		.amdhsa_private_segment_fixed_size 0
		.amdhsa_kernarg_size 16
		.amdhsa_user_sgpr_count 6
		.amdhsa_user_sgpr_private_segment_buffer 1
		.amdhsa_user_sgpr_dispatch_ptr 0
		.amdhsa_user_sgpr_queue_ptr 0
		.amdhsa_user_sgpr_kernarg_segment_ptr 1
		.amdhsa_user_sgpr_dispatch_id 0
		.amdhsa_user_sgpr_flat_scratch_init 0
		.amdhsa_user_sgpr_private_segment_size 0
		.amdhsa_uses_dynamic_stack 0
		.amdhsa_system_sgpr_private_segment_wavefront_offset 0
		.amdhsa_system_sgpr_workgroup_id_x 1
		.amdhsa_system_sgpr_workgroup_id_y 0
		.amdhsa_system_sgpr_workgroup_id_z 0
		.amdhsa_system_sgpr_workgroup_info 0
		.amdhsa_system_vgpr_workitem_id 0
		.amdhsa_next_free_vgpr 14
		.amdhsa_next_free_sgpr 12
		.amdhsa_reserve_vcc 1
		.amdhsa_reserve_flat_scratch 0
		.amdhsa_float_round_mode_32 0
		.amdhsa_float_round_mode_16_64 0
		.amdhsa_float_denorm_mode_32 3
		.amdhsa_float_denorm_mode_16_64 3
		.amdhsa_dx10_clamp 1
		.amdhsa_ieee_mode 1
		.amdhsa_fp16_overflow 0
		.amdhsa_exception_fp_ieee_invalid_op 0
		.amdhsa_exception_fp_denorm_src 0
		.amdhsa_exception_fp_ieee_div_zero 0
		.amdhsa_exception_fp_ieee_overflow 0
		.amdhsa_exception_fp_ieee_underflow 0
		.amdhsa_exception_fp_ieee_inexact 0
		.amdhsa_exception_int_div_zero 0
	.end_amdhsa_kernel
	.section	.text._ZL21dequantize_block_q3_KIfEvPKvPT_,"axG",@progbits,_ZL21dequantize_block_q3_KIfEvPKvPT_,comdat
.Lfunc_end6:
	.size	_ZL21dequantize_block_q3_KIfEvPKvPT_, .Lfunc_end6-_ZL21dequantize_block_q3_KIfEvPKvPT_
                                        ; -- End function
	.set _ZL21dequantize_block_q3_KIfEvPKvPT_.num_vgpr, 14
	.set _ZL21dequantize_block_q3_KIfEvPKvPT_.num_agpr, 0
	.set _ZL21dequantize_block_q3_KIfEvPKvPT_.numbered_sgpr, 12
	.set _ZL21dequantize_block_q3_KIfEvPKvPT_.num_named_barrier, 0
	.set _ZL21dequantize_block_q3_KIfEvPKvPT_.private_seg_size, 0
	.set _ZL21dequantize_block_q3_KIfEvPKvPT_.uses_vcc, 1
	.set _ZL21dequantize_block_q3_KIfEvPKvPT_.uses_flat_scratch, 0
	.set _ZL21dequantize_block_q3_KIfEvPKvPT_.has_dyn_sized_stack, 0
	.set _ZL21dequantize_block_q3_KIfEvPKvPT_.has_recursion, 0
	.set _ZL21dequantize_block_q3_KIfEvPKvPT_.has_indirect_call, 0
	.section	.AMDGPU.csdata,"",@progbits
; Kernel info:
; codeLenInByte = 824
; TotalNumSgprs: 16
; NumVgprs: 14
; ScratchSize: 0
; MemoryBound: 0
; FloatMode: 240
; IeeeMode: 1
; LDSByteSize: 0 bytes/workgroup (compile time only)
; SGPRBlocks: 1
; VGPRBlocks: 3
; NumSGPRsForWavesPerEU: 16
; NumVGPRsForWavesPerEU: 14
; Occupancy: 10
; WaveLimiterHint : 0
; COMPUTE_PGM_RSRC2:SCRATCH_EN: 0
; COMPUTE_PGM_RSRC2:USER_SGPR: 6
; COMPUTE_PGM_RSRC2:TRAP_HANDLER: 0
; COMPUTE_PGM_RSRC2:TGID_X_EN: 1
; COMPUTE_PGM_RSRC2:TGID_Y_EN: 0
; COMPUTE_PGM_RSRC2:TGID_Z_EN: 0
; COMPUTE_PGM_RSRC2:TIDIG_COMP_CNT: 0
	.section	.text._ZL21dequantize_block_q4_KIfEvPKvPT_,"axG",@progbits,_ZL21dequantize_block_q4_KIfEvPKvPT_,comdat
	.globl	_ZL21dequantize_block_q4_KIfEvPKvPT_ ; -- Begin function _ZL21dequantize_block_q4_KIfEvPKvPT_
	.p2align	8
	.type	_ZL21dequantize_block_q4_KIfEvPKvPT_,@function
_ZL21dequantize_block_q4_KIfEvPKvPT_:   ; @_ZL21dequantize_block_q4_KIfEvPKvPT_
; %bb.0:
	s_load_dwordx2 s[0:1], s[4:5], 0x0
	s_mul_i32 s2, s6, 0x90
	v_lshrrev_b32_e32 v3, 3, v0
	s_mul_hi_u32 s3, s6, 0x90
	v_lshlrev_b32_e32 v1, 1, v3
	s_waitcnt lgkmcnt(0)
	s_add_u32 s2, s0, s2
	s_addc_u32 s3, s1, s3
	v_mov_b32_e32 v2, s3
	v_add_co_u32_e64 v1, s[0:1], s2, v1
	v_cmp_lt_u32_e32 vcc, 15, v0
	v_addc_co_u32_e64 v2, s[0:1], 0, v2, s[0:1]
                                        ; implicit-def: $vgpr5
                                        ; implicit-def: $vgpr4
	s_and_saveexec_b64 s[0:1], vcc
	s_xor_b64 s[0:1], exec, s[0:1]
	s_cbranch_execz .LBB7_2
; %bb.1:
	global_load_ubyte v4, v[1:2], off offset:8
	global_load_ubyte v5, v[1:2], off
	global_load_ubyte v6, v[1:2], off offset:4
	s_waitcnt vmcnt(2)
	v_and_b32_e32 v7, 15, v4
	s_waitcnt vmcnt(1)
	v_lshrrev_b16_e32 v5, 2, v5
	v_lshrrev_b16_e32 v8, 4, v4
	s_waitcnt vmcnt(0)
	v_lshrrev_b16_e32 v4, 2, v6
	v_and_b32_e32 v5, 48, v5
	v_and_b32_e32 v6, 48, v4
	v_or_b32_e32 v4, v5, v7
	v_or_b32_e32 v5, v6, v8
.LBB7_2:
	s_andn2_saveexec_b64 s[0:1], s[0:1]
	s_cbranch_execz .LBB7_4
; %bb.3:
	global_load_ubyte v4, v[1:2], off offset:4
	global_load_ubyte v5, v[1:2], off offset:8
	s_waitcnt vmcnt(1)
	v_and_b32_e32 v4, 63, v4
	s_waitcnt vmcnt(0)
	v_and_b32_e32 v5, 63, v5
.LBB7_4:
	s_or_b64 exec, exec, s[0:1]
	s_load_dwordx2 s[0:1], s[4:5], 0x8
	s_load_dword s7, s[2:3], 0x0
                                        ; implicit-def: $vgpr7
                                        ; implicit-def: $vgpr6
	s_and_saveexec_b64 s[4:5], vcc
	s_xor_b64 s[4:5], exec, s[4:5]
	s_cbranch_execz .LBB7_6
; %bb.5:
	global_load_ubyte v6, v[1:2], off offset:9
	global_load_ubyte v7, v[1:2], off offset:1
	;; [unrolled: 1-line block ×3, first 2 shown]
	s_waitcnt vmcnt(2)
	v_and_b32_e32 v1, 15, v6
	s_waitcnt vmcnt(1)
	v_lshrrev_b16_e32 v2, 2, v7
	v_lshrrev_b16_e32 v7, 4, v6
	s_waitcnt vmcnt(0)
	v_lshrrev_b16_e32 v6, 2, v8
	v_and_b32_e32 v2, 48, v2
	v_and_b32_e32 v8, 48, v6
	v_or_b32_e32 v6, v2, v1
	v_or_b32_e32 v7, v8, v7
                                        ; implicit-def: $vgpr1_vgpr2
.LBB7_6:
	s_andn2_saveexec_b64 s[4:5], s[4:5]
	s_cbranch_execz .LBB7_8
; %bb.7:
	global_load_ubyte v6, v[1:2], off offset:5
	global_load_ubyte v7, v[1:2], off offset:9
	s_waitcnt vmcnt(1)
	v_and_b32_e32 v6, 63, v6
	s_waitcnt vmcnt(0)
	v_and_b32_e32 v7, 63, v7
.LBB7_8:
	s_or_b64 exec, exec, s[4:5]
	v_lshlrev_b32_e32 v1, 5, v3
	v_mov_b32_e32 v2, s3
	v_add_co_u32_e32 v1, vcc, s2, v1
	v_lshlrev_b32_e32 v0, 2, v0
	v_addc_co_u32_e32 v2, vcc, 0, v2, vcc
	v_and_b32_e32 v8, 28, v0
	v_add_co_u32_e32 v0, vcc, v1, v8
	v_addc_co_u32_e32 v1, vcc, 0, v2, vcc
	global_load_dword v0, v[0:1], off offset:16
	s_mov_b32 s3, 0
	s_lshl_b32 s2, s6, 8
	s_waitcnt lgkmcnt(0)
	s_lshr_b32 s4, s7, 16
	s_lshl_b64 s[2:3], s[2:3], 2
	s_add_u32 s0, s0, s2
	v_cvt_f16_u16_sdwa v2, v4 dst_sel:DWORD dst_unused:UNUSED_PAD src0_sel:BYTE_0
	v_lshlrev_b32_e32 v3, 8, v3
	v_cvt_f16_u16_sdwa v4, v6 dst_sel:DWORD dst_unused:UNUSED_PAD src0_sel:BYTE_0
	s_addc_u32 s1, s1, s3
	v_cvt_f16_u16_sdwa v1, v5 dst_sel:DWORD dst_unused:UNUSED_PAD src0_sel:BYTE_0
	v_cvt_f16_u16_sdwa v5, v7 dst_sel:DWORD dst_unused:UNUSED_PAD src0_sel:BYTE_0
	v_mov_b32_e32 v6, 15
	v_mov_b32_e32 v7, 4
	v_mul_f16_e32 v9, s7, v4
	v_mov_b32_e32 v4, s1
	v_add_co_u32_e32 v10, vcc, s0, v3
	v_addc_co_u32_e32 v11, vcc, 0, v4, vcc
	v_mul_f16_e32 v1, s4, v1
	v_mul_f16_e32 v2, s7, v2
	;; [unrolled: 1-line block ×3, first 2 shown]
	v_lshlrev_b32_e32 v8, 2, v8
	v_add_co_u32_e32 v8, vcc, v10, v8
	s_waitcnt vmcnt(0)
	v_lshrrev_b32_e32 v3, 8, v0
	v_lshrrev_b16_e32 v12, 4, v0
	v_and_b32_e32 v4, 15, v0
	v_and_b32_sdwa v13, v0, v6 dst_sel:DWORD dst_unused:UNUSED_PAD src0_sel:WORD_1 src1_sel:DWORD
	v_lshrrev_b32_e32 v14, 20, v0
	v_and_b32_sdwa v6, v0, v6 dst_sel:DWORD dst_unused:UNUSED_PAD src0_sel:BYTE_3 src1_sel:DWORD
	v_lshrrev_b16_sdwa v0, v7, v0 dst_sel:DWORD dst_unused:UNUSED_PAD src0_sel:DWORD src1_sel:BYTE_3
	v_and_b32_e32 v7, 15, v12
	v_and_b32_e32 v12, 15, v3
	v_lshrrev_b16_e32 v3, 4, v3
	v_cvt_f16_u16_e32 v4, v4
	v_cvt_f16_u16_e32 v13, v13
	v_and_b32_e32 v14, 15, v14
	v_cvt_f16_u16_e32 v6, v6
	v_cvt_f16_u16_e32 v12, v12
	v_and_b32_e32 v3, 15, v3
	v_cvt_f16_u16_e32 v0, v0
	v_fma_f16 v4, v2, v4, -v1
	v_cvt_f16_u16_e32 v7, v7
	v_fma_f16 v13, v2, v13, -v1
	;; [unrolled: 2-line block ×3, first 2 shown]
	v_fma_f16 v1, v2, v12, -v1
	v_cvt_f16_u16_e32 v12, v3
	v_fma_f16 v15, v9, v0, -v5
	v_cvt_f32_f16_e32 v0, v4
	v_fma_f16 v4, v9, v7, -v5
	v_cvt_f32_f16_e32 v2, v13
	;; [unrolled: 2-line block ×3, first 2 shown]
	v_cvt_f32_f16_e32 v1, v1
	v_fma_f16 v5, v9, v12, -v5
	v_cvt_f32_f16_e32 v7, v15
	v_cvt_f32_f16_e32 v4, v4
	;; [unrolled: 1-line block ×4, first 2 shown]
	v_addc_co_u32_e32 v9, vcc, 0, v11, vcc
	global_store_dwordx4 v[8:9], v[0:3], off
	global_store_dwordx4 v[8:9], v[4:7], off offset:128
	s_endpgm
	.section	.rodata,"a",@progbits
	.p2align	6, 0x0
	.amdhsa_kernel _ZL21dequantize_block_q4_KIfEvPKvPT_
		.amdhsa_group_segment_fixed_size 0
		.amdhsa_private_segment_fixed_size 0
		.amdhsa_kernarg_size 16
		.amdhsa_user_sgpr_count 6
		.amdhsa_user_sgpr_private_segment_buffer 1
		.amdhsa_user_sgpr_dispatch_ptr 0
		.amdhsa_user_sgpr_queue_ptr 0
		.amdhsa_user_sgpr_kernarg_segment_ptr 1
		.amdhsa_user_sgpr_dispatch_id 0
		.amdhsa_user_sgpr_flat_scratch_init 0
		.amdhsa_user_sgpr_private_segment_size 0
		.amdhsa_uses_dynamic_stack 0
		.amdhsa_system_sgpr_private_segment_wavefront_offset 0
		.amdhsa_system_sgpr_workgroup_id_x 1
		.amdhsa_system_sgpr_workgroup_id_y 0
		.amdhsa_system_sgpr_workgroup_id_z 0
		.amdhsa_system_sgpr_workgroup_info 0
		.amdhsa_system_vgpr_workitem_id 0
		.amdhsa_next_free_vgpr 16
		.amdhsa_next_free_sgpr 8
		.amdhsa_reserve_vcc 1
		.amdhsa_reserve_flat_scratch 0
		.amdhsa_float_round_mode_32 0
		.amdhsa_float_round_mode_16_64 0
		.amdhsa_float_denorm_mode_32 3
		.amdhsa_float_denorm_mode_16_64 3
		.amdhsa_dx10_clamp 1
		.amdhsa_ieee_mode 1
		.amdhsa_fp16_overflow 0
		.amdhsa_exception_fp_ieee_invalid_op 0
		.amdhsa_exception_fp_denorm_src 0
		.amdhsa_exception_fp_ieee_div_zero 0
		.amdhsa_exception_fp_ieee_overflow 0
		.amdhsa_exception_fp_ieee_underflow 0
		.amdhsa_exception_fp_ieee_inexact 0
		.amdhsa_exception_int_div_zero 0
	.end_amdhsa_kernel
	.section	.text._ZL21dequantize_block_q4_KIfEvPKvPT_,"axG",@progbits,_ZL21dequantize_block_q4_KIfEvPKvPT_,comdat
.Lfunc_end7:
	.size	_ZL21dequantize_block_q4_KIfEvPKvPT_, .Lfunc_end7-_ZL21dequantize_block_q4_KIfEvPKvPT_
                                        ; -- End function
	.set _ZL21dequantize_block_q4_KIfEvPKvPT_.num_vgpr, 16
	.set _ZL21dequantize_block_q4_KIfEvPKvPT_.num_agpr, 0
	.set _ZL21dequantize_block_q4_KIfEvPKvPT_.numbered_sgpr, 8
	.set _ZL21dequantize_block_q4_KIfEvPKvPT_.num_named_barrier, 0
	.set _ZL21dequantize_block_q4_KIfEvPKvPT_.private_seg_size, 0
	.set _ZL21dequantize_block_q4_KIfEvPKvPT_.uses_vcc, 1
	.set _ZL21dequantize_block_q4_KIfEvPKvPT_.uses_flat_scratch, 0
	.set _ZL21dequantize_block_q4_KIfEvPKvPT_.has_dyn_sized_stack, 0
	.set _ZL21dequantize_block_q4_KIfEvPKvPT_.has_recursion, 0
	.set _ZL21dequantize_block_q4_KIfEvPKvPT_.has_indirect_call, 0
	.section	.AMDGPU.csdata,"",@progbits
; Kernel info:
; codeLenInByte = 696
; TotalNumSgprs: 12
; NumVgprs: 16
; ScratchSize: 0
; MemoryBound: 0
; FloatMode: 240
; IeeeMode: 1
; LDSByteSize: 0 bytes/workgroup (compile time only)
; SGPRBlocks: 1
; VGPRBlocks: 3
; NumSGPRsForWavesPerEU: 12
; NumVGPRsForWavesPerEU: 16
; Occupancy: 10
; WaveLimiterHint : 1
; COMPUTE_PGM_RSRC2:SCRATCH_EN: 0
; COMPUTE_PGM_RSRC2:USER_SGPR: 6
; COMPUTE_PGM_RSRC2:TRAP_HANDLER: 0
; COMPUTE_PGM_RSRC2:TGID_X_EN: 1
; COMPUTE_PGM_RSRC2:TGID_Y_EN: 0
; COMPUTE_PGM_RSRC2:TGID_Z_EN: 0
; COMPUTE_PGM_RSRC2:TIDIG_COMP_CNT: 0
	.section	.text._ZL21dequantize_block_q5_KIfEvPKvPT_,"axG",@progbits,_ZL21dequantize_block_q5_KIfEvPKvPT_,comdat
	.globl	_ZL21dequantize_block_q5_KIfEvPKvPT_ ; -- Begin function _ZL21dequantize_block_q5_KIfEvPKvPT_
	.p2align	8
	.type	_ZL21dequantize_block_q5_KIfEvPKvPT_,@function
_ZL21dequantize_block_q5_KIfEvPKvPT_:   ; @_ZL21dequantize_block_q5_KIfEvPKvPT_
; %bb.0:
	s_load_dwordx2 s[0:1], s[4:5], 0x0
	s_mul_i32 s2, s6, 0xb0
	v_lshrrev_b32_e32 v4, 4, v0
	s_mul_hi_u32 s3, s6, 0xb0
	v_lshlrev_b32_e32 v3, 1, v4
	s_waitcnt lgkmcnt(0)
	s_add_u32 s2, s0, s2
	s_addc_u32 s3, s1, s3
	v_mov_b32_e32 v2, s3
	v_add_co_u32_e64 v1, s[0:1], s2, v3
	v_cmp_lt_u32_e32 vcc, 31, v0
	v_addc_co_u32_e64 v2, s[0:1], 0, v2, s[0:1]
                                        ; implicit-def: $vgpr6
                                        ; implicit-def: $vgpr5
	s_and_saveexec_b64 s[0:1], vcc
	s_xor_b64 s[0:1], exec, s[0:1]
	s_cbranch_execz .LBB8_2
; %bb.1:
	global_load_ubyte v5, v[1:2], off offset:8
	global_load_ubyte v6, v[1:2], off
	global_load_ubyte v7, v[1:2], off offset:4
	s_waitcnt vmcnt(2)
	v_and_b32_e32 v8, 15, v5
	s_waitcnt vmcnt(1)
	v_lshrrev_b16_e32 v6, 2, v6
	v_lshrrev_b16_e32 v9, 4, v5
	s_waitcnt vmcnt(0)
	v_lshrrev_b16_e32 v5, 2, v7
	v_and_b32_e32 v6, 48, v6
	v_and_b32_e32 v7, 48, v5
	v_or_b32_e32 v5, v6, v8
	v_or_b32_e32 v6, v7, v9
.LBB8_2:
	s_andn2_saveexec_b64 s[0:1], s[0:1]
	s_cbranch_execz .LBB8_4
; %bb.3:
	global_load_ubyte v5, v[1:2], off offset:4
	global_load_ubyte v6, v[1:2], off offset:8
	s_waitcnt vmcnt(1)
	v_and_b32_e32 v5, 63, v5
	s_waitcnt vmcnt(0)
	v_and_b32_e32 v6, 63, v6
.LBB8_4:
	s_or_b64 exec, exec, s[0:1]
	s_load_dwordx2 s[0:1], s[4:5], 0x8
	s_load_dword s7, s[2:3], 0x0
                                        ; implicit-def: $vgpr8
                                        ; implicit-def: $vgpr7
	s_and_saveexec_b64 s[4:5], vcc
	s_xor_b64 s[4:5], exec, s[4:5]
	s_cbranch_execz .LBB8_6
; %bb.5:
	global_load_ubyte v7, v[1:2], off offset:9
	global_load_ubyte v8, v[1:2], off offset:1
	;; [unrolled: 1-line block ×3, first 2 shown]
	s_waitcnt vmcnt(2)
	v_and_b32_e32 v1, 15, v7
	s_waitcnt vmcnt(1)
	v_lshrrev_b16_e32 v2, 2, v8
	v_lshrrev_b16_e32 v8, 4, v7
	s_waitcnt vmcnt(0)
	v_lshrrev_b16_e32 v7, 2, v9
	v_and_b32_e32 v2, 48, v2
	v_and_b32_e32 v9, 48, v7
	v_or_b32_e32 v7, v2, v1
	v_or_b32_e32 v8, v9, v8
                                        ; implicit-def: $vgpr1_vgpr2
.LBB8_6:
	s_andn2_saveexec_b64 s[4:5], s[4:5]
	s_cbranch_execz .LBB8_8
; %bb.7:
	global_load_ubyte v7, v[1:2], off offset:5
	global_load_ubyte v8, v[1:2], off offset:9
	s_waitcnt vmcnt(1)
	v_and_b32_e32 v7, 63, v7
	s_waitcnt vmcnt(0)
	v_and_b32_e32 v8, 63, v8
.LBB8_8:
	s_or_b64 exec, exec, s[4:5]
	v_lshlrev_b32_e32 v0, 1, v0
	v_and_b32_e32 v2, 30, v0
	v_lshlrev_b32_e32 v0, 5, v4
	v_mov_b32_e32 v1, s3
	v_add_co_u32_e32 v0, vcc, s2, v0
	v_addc_co_u32_e32 v1, vcc, 0, v1, vcc
	v_add_co_u32_e32 v0, vcc, v0, v2
	v_addc_co_u32_e32 v1, vcc, 0, v1, vcc
	global_load_ushort v9, v[0:1], off offset:48
	global_load_ushort v10, v2, s[2:3] offset:16
	s_mov_b32 s3, 0
	s_lshl_b32 s2, s6, 8
	s_waitcnt lgkmcnt(0)
	s_lshr_b32 s4, s7, 16
	s_lshl_b64 s[2:3], s[2:3], 2
	s_add_u32 s0, s0, s2
	v_lshlrev_b32_e32 v4, 8, v4
	s_addc_u32 s1, s1, s3
	v_cvt_f16_u16_sdwa v1, v5 dst_sel:DWORD dst_unused:UNUSED_PAD src0_sel:BYTE_0
	v_cvt_f16_u16_sdwa v5, v7 dst_sel:DWORD dst_unused:UNUSED_PAD src0_sel:BYTE_0
	v_lshlrev_b32_e64 v7, v3, 1
	v_lshlrev_b32_e32 v11, 2, v2
	v_mov_b32_e32 v2, s1
	v_add_co_u32_e32 v4, vcc, s0, v4
	v_addc_co_u32_e32 v12, vcc, 0, v2, vcc
	v_lshlrev_b32_e64 v3, v3, 2
	v_cvt_f16_u16_sdwa v0, v6 dst_sel:DWORD dst_unused:UNUSED_PAD src0_sel:BYTE_0
	v_cvt_f16_u16_sdwa v6, v8 dst_sel:DWORD dst_unused:UNUSED_PAD src0_sel:BYTE_0
	v_mov_b32_e32 v8, 15
	v_mul_f16_e32 v0, s4, v0
	v_mul_f16_e32 v1, s7, v1
	;; [unrolled: 1-line block ×4, first 2 shown]
	s_waitcnt vmcnt(1)
	v_lshrrev_b16_e32 v14, 4, v9
	s_waitcnt vmcnt(0)
	v_and_b32_sdwa v13, v7, v10 dst_sel:DWORD dst_unused:UNUSED_PAD src0_sel:DWORD src1_sel:BYTE_0
	v_and_b32_sdwa v7, v7, v10 dst_sel:DWORD dst_unused:UNUSED_PAD src0_sel:DWORD src1_sel:BYTE_1
	v_cmp_eq_u32_e32 vcc, 0, v13
	v_and_b32_sdwa v15, v3, v10 dst_sel:DWORD dst_unused:UNUSED_PAD src0_sel:DWORD src1_sel:BYTE_0
	v_and_b32_sdwa v3, v3, v10 dst_sel:DWORD dst_unused:UNUSED_PAD src0_sel:DWORD src1_sel:BYTE_1
	v_cndmask_b32_e64 v10, 16, 0, vcc
	v_cmp_eq_u32_e32 vcc, 0, v7
	v_cndmask_b32_e64 v7, 16, 0, vcc
	v_cmp_eq_u32_e32 vcc, 0, v15
	v_and_b32_e32 v2, 15, v9
	v_and_b32_sdwa v8, v9, v8 dst_sel:DWORD dst_unused:UNUSED_PAD src0_sel:BYTE_1 src1_sel:DWORD
	v_and_b32_e32 v13, 15, v14
	v_cndmask_b32_e64 v14, 16, 0, vcc
	v_cmp_eq_u32_e32 vcc, 0, v3
	v_lshrrev_b16_e32 v9, 12, v9
	v_cndmask_b32_e64 v3, 16, 0, vcc
	v_or_b32_e32 v2, v10, v2
	v_or_b32_e32 v7, v7, v8
	;; [unrolled: 1-line block ×4, first 2 shown]
	v_cvt_f32_ubyte0_e32 v2, v2
	v_cvt_f32_ubyte0_e32 v7, v7
	;; [unrolled: 1-line block ×4, first 2 shown]
	v_cvt_f16_f32_e32 v2, v2
	v_cvt_f16_f32_e32 v7, v7
	;; [unrolled: 1-line block ×4, first 2 shown]
	v_fma_f16 v2, v1, v2, -v0
	v_fma_f16 v1, v1, v7, -v0
	;; [unrolled: 1-line block ×4, first 2 shown]
	v_cvt_f32_f16_e32 v0, v2
	v_cvt_f32_f16_e32 v1, v1
	;; [unrolled: 1-line block ×4, first 2 shown]
	v_add_co_u32_e32 v4, vcc, v4, v11
	v_addc_co_u32_e32 v5, vcc, 0, v12, vcc
	global_store_dwordx2 v[4:5], v[0:1], off
	global_store_dwordx2 v[4:5], v[2:3], off offset:128
	s_endpgm
	.section	.rodata,"a",@progbits
	.p2align	6, 0x0
	.amdhsa_kernel _ZL21dequantize_block_q5_KIfEvPKvPT_
		.amdhsa_group_segment_fixed_size 0
		.amdhsa_private_segment_fixed_size 0
		.amdhsa_kernarg_size 16
		.amdhsa_user_sgpr_count 6
		.amdhsa_user_sgpr_private_segment_buffer 1
		.amdhsa_user_sgpr_dispatch_ptr 0
		.amdhsa_user_sgpr_queue_ptr 0
		.amdhsa_user_sgpr_kernarg_segment_ptr 1
		.amdhsa_user_sgpr_dispatch_id 0
		.amdhsa_user_sgpr_flat_scratch_init 0
		.amdhsa_user_sgpr_private_segment_size 0
		.amdhsa_uses_dynamic_stack 0
		.amdhsa_system_sgpr_private_segment_wavefront_offset 0
		.amdhsa_system_sgpr_workgroup_id_x 1
		.amdhsa_system_sgpr_workgroup_id_y 0
		.amdhsa_system_sgpr_workgroup_id_z 0
		.amdhsa_system_sgpr_workgroup_info 0
		.amdhsa_system_vgpr_workitem_id 0
		.amdhsa_next_free_vgpr 16
		.amdhsa_next_free_sgpr 8
		.amdhsa_reserve_vcc 1
		.amdhsa_reserve_flat_scratch 0
		.amdhsa_float_round_mode_32 0
		.amdhsa_float_round_mode_16_64 0
		.amdhsa_float_denorm_mode_32 3
		.amdhsa_float_denorm_mode_16_64 3
		.amdhsa_dx10_clamp 1
		.amdhsa_ieee_mode 1
		.amdhsa_fp16_overflow 0
		.amdhsa_exception_fp_ieee_invalid_op 0
		.amdhsa_exception_fp_denorm_src 0
		.amdhsa_exception_fp_ieee_div_zero 0
		.amdhsa_exception_fp_ieee_overflow 0
		.amdhsa_exception_fp_ieee_underflow 0
		.amdhsa_exception_fp_ieee_inexact 0
		.amdhsa_exception_int_div_zero 0
	.end_amdhsa_kernel
	.section	.text._ZL21dequantize_block_q5_KIfEvPKvPT_,"axG",@progbits,_ZL21dequantize_block_q5_KIfEvPKvPT_,comdat
.Lfunc_end8:
	.size	_ZL21dequantize_block_q5_KIfEvPKvPT_, .Lfunc_end8-_ZL21dequantize_block_q5_KIfEvPKvPT_
                                        ; -- End function
	.set _ZL21dequantize_block_q5_KIfEvPKvPT_.num_vgpr, 16
	.set _ZL21dequantize_block_q5_KIfEvPKvPT_.num_agpr, 0
	.set _ZL21dequantize_block_q5_KIfEvPKvPT_.numbered_sgpr, 8
	.set _ZL21dequantize_block_q5_KIfEvPKvPT_.num_named_barrier, 0
	.set _ZL21dequantize_block_q5_KIfEvPKvPT_.private_seg_size, 0
	.set _ZL21dequantize_block_q5_KIfEvPKvPT_.uses_vcc, 1
	.set _ZL21dequantize_block_q5_KIfEvPKvPT_.uses_flat_scratch, 0
	.set _ZL21dequantize_block_q5_KIfEvPKvPT_.has_dyn_sized_stack, 0
	.set _ZL21dequantize_block_q5_KIfEvPKvPT_.has_recursion, 0
	.set _ZL21dequantize_block_q5_KIfEvPKvPT_.has_indirect_call, 0
	.section	.AMDGPU.csdata,"",@progbits
; Kernel info:
; codeLenInByte = 732
; TotalNumSgprs: 12
; NumVgprs: 16
; ScratchSize: 0
; MemoryBound: 0
; FloatMode: 240
; IeeeMode: 1
; LDSByteSize: 0 bytes/workgroup (compile time only)
; SGPRBlocks: 1
; VGPRBlocks: 3
; NumSGPRsForWavesPerEU: 12
; NumVGPRsForWavesPerEU: 16
; Occupancy: 10
; WaveLimiterHint : 1
; COMPUTE_PGM_RSRC2:SCRATCH_EN: 0
; COMPUTE_PGM_RSRC2:USER_SGPR: 6
; COMPUTE_PGM_RSRC2:TRAP_HANDLER: 0
; COMPUTE_PGM_RSRC2:TGID_X_EN: 1
; COMPUTE_PGM_RSRC2:TGID_Y_EN: 0
; COMPUTE_PGM_RSRC2:TGID_Z_EN: 0
; COMPUTE_PGM_RSRC2:TIDIG_COMP_CNT: 0
	.section	.text._ZL21dequantize_block_q6_KIfEvPKvPT_,"axG",@progbits,_ZL21dequantize_block_q6_KIfEvPKvPT_,comdat
	.globl	_ZL21dequantize_block_q6_KIfEvPKvPT_ ; -- Begin function _ZL21dequantize_block_q6_KIfEvPKvPT_
	.p2align	8
	.type	_ZL21dequantize_block_q6_KIfEvPKvPT_,@function
_ZL21dequantize_block_q6_KIfEvPKvPT_:   ; @_ZL21dequantize_block_q6_KIfEvPKvPT_
; %bb.0:
	s_load_dwordx4 s[0:3], s[4:5], 0x0
	s_lshl_b32 s4, s6, 8
	s_mov_b32 s5, 0
	s_lshl_b64 s[4:5], s[4:5], 2
	v_lshrrev_b32_e32 v3, 5, v0
	s_waitcnt lgkmcnt(0)
	s_add_u32 s2, s2, s4
	s_addc_u32 s3, s3, s5
	s_mul_hi_u32 s4, s6, 0xd2
	s_mulk_i32 s6, 0xd2
	s_add_u32 s0, s0, s6
	s_addc_u32 s1, s1, s4
	v_lshlrev_b32_e32 v1, 6, v3
	v_mov_b32_e32 v2, s1
	v_add_co_u32_e32 v1, vcc, s0, v1
	v_and_b32_e32 v4, 31, v0
	v_addc_co_u32_e32 v2, vcc, 0, v2, vcc
	global_load_ubyte v5, v0, s[0:1] offset:128
	v_add_co_u32_e32 v1, vcc, v1, v4
	v_addc_co_u32_e32 v2, vcc, 0, v2, vcc
	global_load_ubyte v6, v[1:2], off
	global_load_ubyte v7, v[1:2], off offset:32
	v_bfe_u32 v0, v0, 4, 1
	v_lshl_or_b32 v0, v3, 3, v0
	global_load_sbyte v2, v0, s[0:1] offset:192
	global_load_sbyte v8, v0, s[0:1] offset:194
	;; [unrolled: 1-line block ×4, first 2 shown]
	v_mov_b32_e32 v0, 0
	global_load_ushort v11, v0, s[0:1] offset:208
	v_lshlrev_b32_e32 v0, 9, v3
	v_mov_b32_e32 v3, s3
	v_add_co_u32_e32 v0, vcc, s2, v0
	v_lshlrev_b32_e32 v1, 2, v4
	v_addc_co_u32_e32 v3, vcc, 0, v3, vcc
	v_add_co_u32_e32 v0, vcc, v0, v1
	v_addc_co_u32_e32 v1, vcc, 0, v3, vcc
	v_mov_b32_e32 v12, 32
	s_waitcnt vmcnt(7)
	v_lshlrev_b16_e32 v3, 4, v5
	v_lshlrev_b16_e32 v4, 2, v5
	v_and_b32_e32 v3, 48, v3
	v_and_b32_e32 v4, 48, v4
	s_waitcnt vmcnt(6)
	v_and_b32_e32 v14, 15, v6
	s_waitcnt vmcnt(5)
	v_and_b32_e32 v15, 15, v7
	v_or_b32_e32 v3, v14, v3
	v_and_b32_e32 v13, 48, v5
	v_lshrrev_b16_e32 v5, 2, v5
	v_lshrrev_b16_e32 v6, 4, v6
	v_or_b32_e32 v4, v15, v4
	v_sub_u32_sdwa v3, v3, v12 dst_sel:DWORD dst_unused:UNUSED_PAD src0_sel:WORD_0 src1_sel:DWORD
	v_and_b32_e32 v5, 48, v5
	v_lshrrev_b16_e32 v7, 4, v7
	v_or_b32_e32 v6, v6, v13
	v_sub_u32_sdwa v4, v4, v12 dst_sel:DWORD dst_unused:UNUSED_PAD src0_sel:WORD_0 src1_sel:DWORD
	s_waitcnt vmcnt(4)
	v_mul_i32_i24_e32 v2, v3, v2
	v_or_b32_e32 v5, v7, v5
	v_sub_u32_sdwa v6, v6, v12 dst_sel:DWORD dst_unused:UNUSED_PAD src0_sel:WORD_0 src1_sel:DWORD
	s_waitcnt vmcnt(3)
	v_mul_i32_i24_e32 v3, v4, v8
	v_cvt_f32_i32_e32 v2, v2
	v_sub_u32_sdwa v5, v5, v12 dst_sel:DWORD dst_unused:UNUSED_PAD src0_sel:WORD_0 src1_sel:DWORD
	s_waitcnt vmcnt(2)
	v_mul_i32_i24_e32 v4, v6, v9
	v_cvt_f32_i32_e32 v3, v3
	s_waitcnt vmcnt(1)
	v_mul_i32_i24_e32 v5, v5, v10
	v_cvt_f32_i32_e32 v4, v4
	v_cvt_f32_i32_e32 v5, v5
	v_cvt_f16_f32_e32 v2, v2
	v_cvt_f16_f32_e32 v3, v3
	;; [unrolled: 1-line block ×4, first 2 shown]
	s_waitcnt vmcnt(0)
	v_mul_f16_e32 v2, v11, v2
	v_mul_f16_e32 v3, v11, v3
	v_cvt_f32_f16_e32 v2, v2
	v_mul_f16_e32 v4, v11, v4
	v_cvt_f32_f16_e32 v3, v3
	;; [unrolled: 2-line block ×3, first 2 shown]
	v_cvt_f32_f16_e32 v5, v5
	global_store_dword v[0:1], v2, off
	global_store_dword v[0:1], v3, off offset:128
	global_store_dword v[0:1], v4, off offset:256
	;; [unrolled: 1-line block ×3, first 2 shown]
	s_endpgm
	.section	.rodata,"a",@progbits
	.p2align	6, 0x0
	.amdhsa_kernel _ZL21dequantize_block_q6_KIfEvPKvPT_
		.amdhsa_group_segment_fixed_size 0
		.amdhsa_private_segment_fixed_size 0
		.amdhsa_kernarg_size 16
		.amdhsa_user_sgpr_count 6
		.amdhsa_user_sgpr_private_segment_buffer 1
		.amdhsa_user_sgpr_dispatch_ptr 0
		.amdhsa_user_sgpr_queue_ptr 0
		.amdhsa_user_sgpr_kernarg_segment_ptr 1
		.amdhsa_user_sgpr_dispatch_id 0
		.amdhsa_user_sgpr_flat_scratch_init 0
		.amdhsa_user_sgpr_private_segment_size 0
		.amdhsa_uses_dynamic_stack 0
		.amdhsa_system_sgpr_private_segment_wavefront_offset 0
		.amdhsa_system_sgpr_workgroup_id_x 1
		.amdhsa_system_sgpr_workgroup_id_y 0
		.amdhsa_system_sgpr_workgroup_id_z 0
		.amdhsa_system_sgpr_workgroup_info 0
		.amdhsa_system_vgpr_workitem_id 0
		.amdhsa_next_free_vgpr 16
		.amdhsa_next_free_sgpr 7
		.amdhsa_reserve_vcc 1
		.amdhsa_reserve_flat_scratch 0
		.amdhsa_float_round_mode_32 0
		.amdhsa_float_round_mode_16_64 0
		.amdhsa_float_denorm_mode_32 3
		.amdhsa_float_denorm_mode_16_64 3
		.amdhsa_dx10_clamp 1
		.amdhsa_ieee_mode 1
		.amdhsa_fp16_overflow 0
		.amdhsa_exception_fp_ieee_invalid_op 0
		.amdhsa_exception_fp_denorm_src 0
		.amdhsa_exception_fp_ieee_div_zero 0
		.amdhsa_exception_fp_ieee_overflow 0
		.amdhsa_exception_fp_ieee_underflow 0
		.amdhsa_exception_fp_ieee_inexact 0
		.amdhsa_exception_int_div_zero 0
	.end_amdhsa_kernel
	.section	.text._ZL21dequantize_block_q6_KIfEvPKvPT_,"axG",@progbits,_ZL21dequantize_block_q6_KIfEvPKvPT_,comdat
.Lfunc_end9:
	.size	_ZL21dequantize_block_q6_KIfEvPKvPT_, .Lfunc_end9-_ZL21dequantize_block_q6_KIfEvPKvPT_
                                        ; -- End function
	.set _ZL21dequantize_block_q6_KIfEvPKvPT_.num_vgpr, 16
	.set _ZL21dequantize_block_q6_KIfEvPKvPT_.num_agpr, 0
	.set _ZL21dequantize_block_q6_KIfEvPKvPT_.numbered_sgpr, 7
	.set _ZL21dequantize_block_q6_KIfEvPKvPT_.num_named_barrier, 0
	.set _ZL21dequantize_block_q6_KIfEvPKvPT_.private_seg_size, 0
	.set _ZL21dequantize_block_q6_KIfEvPKvPT_.uses_vcc, 1
	.set _ZL21dequantize_block_q6_KIfEvPKvPT_.uses_flat_scratch, 0
	.set _ZL21dequantize_block_q6_KIfEvPKvPT_.has_dyn_sized_stack, 0
	.set _ZL21dequantize_block_q6_KIfEvPKvPT_.has_recursion, 0
	.set _ZL21dequantize_block_q6_KIfEvPKvPT_.has_indirect_call, 0
	.section	.AMDGPU.csdata,"",@progbits
; Kernel info:
; codeLenInByte = 440
; TotalNumSgprs: 11
; NumVgprs: 16
; ScratchSize: 0
; MemoryBound: 0
; FloatMode: 240
; IeeeMode: 1
; LDSByteSize: 0 bytes/workgroup (compile time only)
; SGPRBlocks: 1
; VGPRBlocks: 3
; NumSGPRsForWavesPerEU: 11
; NumVGPRsForWavesPerEU: 16
; Occupancy: 10
; WaveLimiterHint : 0
; COMPUTE_PGM_RSRC2:SCRATCH_EN: 0
; COMPUTE_PGM_RSRC2:USER_SGPR: 6
; COMPUTE_PGM_RSRC2:TRAP_HANDLER: 0
; COMPUTE_PGM_RSRC2:TGID_X_EN: 1
; COMPUTE_PGM_RSRC2:TGID_Y_EN: 0
; COMPUTE_PGM_RSRC2:TGID_Z_EN: 0
; COMPUTE_PGM_RSRC2:TIDIG_COMP_CNT: 0
	.section	.text._ZL24dequantize_block_iq2_xxsIfEvPKvPT_,"axG",@progbits,_ZL24dequantize_block_iq2_xxsIfEvPKvPT_,comdat
	.globl	_ZL24dequantize_block_iq2_xxsIfEvPKvPT_ ; -- Begin function _ZL24dequantize_block_iq2_xxsIfEvPKvPT_
	.p2align	8
	.type	_ZL24dequantize_block_iq2_xxsIfEvPKvPT_,@function
_ZL24dequantize_block_iq2_xxsIfEvPKvPT_: ; @_ZL24dequantize_block_iq2_xxsIfEvPKvPT_
; %bb.0:
	s_load_dwordx4 s[0:3], s[4:5], 0x0
	s_lshl_b32 s4, s6, 8
	s_mov_b32 s5, 0
	s_lshl_b64 s[4:5], s[4:5], 2
	v_and_b32_e32 v4, 7, v0
	s_waitcnt lgkmcnt(0)
	s_add_u32 s4, s2, s4
	s_addc_u32 s5, s3, s5
	s_mul_hi_u32 s2, s6, 0x42
	s_mulk_i32 s6, 0x42
	s_add_u32 s0, s0, s6
	s_addc_u32 s1, s1, s2
	v_lshlrev_b32_e32 v6, 3, v4
	v_mov_b32_e32 v1, s1
	v_add_co_u32_e32 v2, vcc, s0, v6
	v_lshrrev_b32_e32 v3, 3, v0
	v_addc_co_u32_e32 v7, vcc, 0, v1, vcc
	v_add_co_u32_e32 v1, vcc, v2, v3
	v_addc_co_u32_e32 v2, vcc, 0, v7, vcc
	v_mov_b32_e32 v5, 0
	global_load_ubyte v7, v[1:2], off offset:2
	global_load_ushort v10, v5, s[0:1]
	global_load_dword v11, v6, s[0:1] offset:6
	s_getpc_b64 s[0:1]
	s_add_u32 s0, s0, _ZL11iq2xxs_grid@rel32@lo+4
	s_addc_u32 s1, s1, _ZL11iq2xxs_grid@rel32@hi+12
	v_mul_u32_u24_e32 v1, 7, v3
	s_getpc_b64 s[2:3]
	s_add_u32 s2, s2, _ZL12ksigns_iq2xs@rel32@lo+4
	s_addc_u32 s3, s3, _ZL12ksigns_iq2xs@rel32@hi+12
	v_and_b32_e32 v0, 0x3f8, v0
	v_lshlrev_b32_e32 v0, 2, v0
	s_waitcnt vmcnt(2)
	v_lshlrev_b32_e32 v3, 3, v7
	s_waitcnt vmcnt(0)
	v_bfe_u32 v6, v11, v1, 7
	global_load_dwordx2 v[1:2], v3, s[0:1]
	global_load_sbyte v7, v6, s[2:3]
	v_lshlrev_b32_e32 v3, 7, v4
	v_mov_b32_e32 v4, s5
	v_add_co_u32_e32 v3, vcc, s4, v3
	v_addc_co_u32_e32 v4, vcc, 0, v4, vcc
	v_add_co_u32_e32 v8, vcc, v3, v0
	v_cvt_f32_f16_e32 v0, v10
	v_lshrrev_b32_e32 v3, 28, v11
	v_cvt_f32_ubyte0_e32 v3, v3
	v_add_f32_e32 v3, 0.5, v3
	v_mul_f32_e32 v0, v3, v0
	v_addc_co_u32_e32 v9, vcc, 0, v4, vcc
	v_mul_f32_e32 v0, 0x3e800000, v0
	s_waitcnt vmcnt(1)
	v_cvt_f32_ubyte0_e32 v3, v1
	s_waitcnt vmcnt(0)
	v_and_b32_e32 v4, 1, v7
	v_cvt_f32_ubyte1_e32 v5, v1
	v_and_b32_e32 v10, 2, v7
	v_cvt_f32_ubyte2_e32 v11, v1
	v_cvt_f32_ubyte3_e32 v1, v1
	v_cvt_f32_ubyte0_e32 v14, v2
	v_cvt_f32_ubyte1_e32 v16, v2
	v_cvt_f32_ubyte2_e32 v18, v2
	v_cvt_f32_ubyte3_e32 v2, v2
	v_mul_f32_e32 v3, v0, v3
	v_cmp_eq_u16_e32 vcc, 0, v4
	v_and_b32_e32 v12, 4, v7
	v_mul_f32_e32 v5, v0, v5
	v_mul_f32_e32 v11, v0, v11
	;; [unrolled: 1-line block ×7, first 2 shown]
	v_cndmask_b32_e64 v0, -v3, v3, vcc
	v_cmp_eq_u16_e32 vcc, 0, v10
	v_and_b32_e32 v13, 8, v7
	v_cndmask_b32_e64 v1, -v5, v5, vcc
	v_cmp_eq_u16_e32 vcc, 0, v12
	v_and_b32_e32 v15, 16, v7
	;; [unrolled: 3-line block ×3, first 2 shown]
	v_cndmask_b32_e64 v3, -v19, v19, vcc
	v_cmp_eq_u16_e32 vcc, 0, v15
	v_cndmask_b32_e64 v4, -v14, v14, vcc
	v_cmp_eq_u16_e32 vcc, 0, v17
	v_cndmask_b32_e64 v5, -v16, v16, vcc
	v_cmp_gt_u32_e32 vcc, 64, v6
	v_cndmask_b32_e64 v6, -v18, v18, vcc
	v_cmp_gt_i16_e32 vcc, 0, v7
	v_cndmask_b32_e64 v7, v20, -v20, vcc
	global_store_dwordx4 v[8:9], v[0:3], off
	global_store_dwordx4 v[8:9], v[4:7], off offset:16
	s_endpgm
	.section	.rodata,"a",@progbits
	.p2align	6, 0x0
	.amdhsa_kernel _ZL24dequantize_block_iq2_xxsIfEvPKvPT_
		.amdhsa_group_segment_fixed_size 0
		.amdhsa_private_segment_fixed_size 0
		.amdhsa_kernarg_size 16
		.amdhsa_user_sgpr_count 6
		.amdhsa_user_sgpr_private_segment_buffer 1
		.amdhsa_user_sgpr_dispatch_ptr 0
		.amdhsa_user_sgpr_queue_ptr 0
		.amdhsa_user_sgpr_kernarg_segment_ptr 1
		.amdhsa_user_sgpr_dispatch_id 0
		.amdhsa_user_sgpr_flat_scratch_init 0
		.amdhsa_user_sgpr_private_segment_size 0
		.amdhsa_uses_dynamic_stack 0
		.amdhsa_system_sgpr_private_segment_wavefront_offset 0
		.amdhsa_system_sgpr_workgroup_id_x 1
		.amdhsa_system_sgpr_workgroup_id_y 0
		.amdhsa_system_sgpr_workgroup_id_z 0
		.amdhsa_system_sgpr_workgroup_info 0
		.amdhsa_system_vgpr_workitem_id 0
		.amdhsa_next_free_vgpr 21
		.amdhsa_next_free_sgpr 7
		.amdhsa_reserve_vcc 1
		.amdhsa_reserve_flat_scratch 0
		.amdhsa_float_round_mode_32 0
		.amdhsa_float_round_mode_16_64 0
		.amdhsa_float_denorm_mode_32 3
		.amdhsa_float_denorm_mode_16_64 3
		.amdhsa_dx10_clamp 1
		.amdhsa_ieee_mode 1
		.amdhsa_fp16_overflow 0
		.amdhsa_exception_fp_ieee_invalid_op 0
		.amdhsa_exception_fp_denorm_src 0
		.amdhsa_exception_fp_ieee_div_zero 0
		.amdhsa_exception_fp_ieee_overflow 0
		.amdhsa_exception_fp_ieee_underflow 0
		.amdhsa_exception_fp_ieee_inexact 0
		.amdhsa_exception_int_div_zero 0
	.end_amdhsa_kernel
	.section	.text._ZL24dequantize_block_iq2_xxsIfEvPKvPT_,"axG",@progbits,_ZL24dequantize_block_iq2_xxsIfEvPKvPT_,comdat
.Lfunc_end10:
	.size	_ZL24dequantize_block_iq2_xxsIfEvPKvPT_, .Lfunc_end10-_ZL24dequantize_block_iq2_xxsIfEvPKvPT_
                                        ; -- End function
	.set _ZL24dequantize_block_iq2_xxsIfEvPKvPT_.num_vgpr, 21
	.set _ZL24dequantize_block_iq2_xxsIfEvPKvPT_.num_agpr, 0
	.set _ZL24dequantize_block_iq2_xxsIfEvPKvPT_.numbered_sgpr, 7
	.set _ZL24dequantize_block_iq2_xxsIfEvPKvPT_.num_named_barrier, 0
	.set _ZL24dequantize_block_iq2_xxsIfEvPKvPT_.private_seg_size, 0
	.set _ZL24dequantize_block_iq2_xxsIfEvPKvPT_.uses_vcc, 1
	.set _ZL24dequantize_block_iq2_xxsIfEvPKvPT_.uses_flat_scratch, 0
	.set _ZL24dequantize_block_iq2_xxsIfEvPKvPT_.has_dyn_sized_stack, 0
	.set _ZL24dequantize_block_iq2_xxsIfEvPKvPT_.has_recursion, 0
	.set _ZL24dequantize_block_iq2_xxsIfEvPKvPT_.has_indirect_call, 0
	.section	.AMDGPU.csdata,"",@progbits
; Kernel info:
; codeLenInByte = 468
; TotalNumSgprs: 11
; NumVgprs: 21
; ScratchSize: 0
; MemoryBound: 0
; FloatMode: 240
; IeeeMode: 1
; LDSByteSize: 0 bytes/workgroup (compile time only)
; SGPRBlocks: 1
; VGPRBlocks: 5
; NumSGPRsForWavesPerEU: 11
; NumVGPRsForWavesPerEU: 21
; Occupancy: 10
; WaveLimiterHint : 0
; COMPUTE_PGM_RSRC2:SCRATCH_EN: 0
; COMPUTE_PGM_RSRC2:USER_SGPR: 6
; COMPUTE_PGM_RSRC2:TRAP_HANDLER: 0
; COMPUTE_PGM_RSRC2:TGID_X_EN: 1
; COMPUTE_PGM_RSRC2:TGID_Y_EN: 0
; COMPUTE_PGM_RSRC2:TGID_Z_EN: 0
; COMPUTE_PGM_RSRC2:TIDIG_COMP_CNT: 0
	.section	.text._ZL23dequantize_block_iq2_xsIfEvPKvPT_,"axG",@progbits,_ZL23dequantize_block_iq2_xsIfEvPKvPT_,comdat
	.globl	_ZL23dequantize_block_iq2_xsIfEvPKvPT_ ; -- Begin function _ZL23dequantize_block_iq2_xsIfEvPKvPT_
	.p2align	8
	.type	_ZL23dequantize_block_iq2_xsIfEvPKvPT_,@function
_ZL23dequantize_block_iq2_xsIfEvPKvPT_: ; @_ZL23dequantize_block_iq2_xsIfEvPKvPT_
; %bb.0:
	s_load_dwordx4 s[0:3], s[4:5], 0x0
	s_lshl_b32 s4, s6, 8
	s_mov_b32 s5, 0
	s_lshl_b64 s[4:5], s[4:5], 2
	v_and_b32_e32 v5, 7, v0
	s_waitcnt lgkmcnt(0)
	s_add_u32 s7, s2, s4
	s_addc_u32 s8, s3, s5
	s_mul_hi_u32 s2, s6, 0x4a
	s_mulk_i32 s6, 0x4a
	s_add_u32 s0, s0, s6
	s_addc_u32 s1, s1, s2
	v_lshlrev_b32_e32 v1, 3, v5
	v_mov_b32_e32 v2, s1
	v_add_co_u32_e32 v1, vcc, s0, v1
	v_lshrrev_b32_e32 v6, 2, v0
	v_addc_co_u32_e32 v2, vcc, 0, v2, vcc
	v_and_b32_e32 v3, 0xfe, v6
	v_add_co_u32_e32 v1, vcc, v1, v3
	v_addc_co_u32_e32 v2, vcc, 0, v2, vcc
	global_load_ushort v7, v[1:2], off offset:2
	v_mov_b32_e32 v1, 0
	global_load_ushort v10, v1, s[0:1]
	global_load_ubyte v11, v5, s[0:1] offset:66
	s_getpc_b64 s[2:3]
	s_add_u32 s2, s2, _ZL10iq2xs_grid@rel32@lo+4
	s_addc_u32 s3, s3, _ZL10iq2xs_grid@rel32@hi+12
	v_mov_b32_e32 v2, 3
	s_getpc_b64 s[4:5]
	s_add_u32 s4, s4, _ZL12ksigns_iq2xs@rel32@lo+4
	s_addc_u32 s5, s5, _ZL12ksigns_iq2xs@rel32@hi+12
	v_mov_b32_e32 v3, s5
	v_and_b32_e32 v0, 0x3f8, v0
	v_lshlrev_b32_e32 v0, 2, v0
	s_waitcnt vmcnt(2)
	v_and_b32_e32 v1, 0x1ff, v7
	v_lshrrev_b16_e32 v4, 9, v7
	v_lshlrev_b32_sdwa v8, v2, v1 dst_sel:DWORD dst_unused:UNUSED_PAD src0_sel:DWORD src1_sel:WORD_0
	v_add_co_u32_e32 v1, vcc, s4, v4
	v_addc_co_u32_e32 v2, vcc, 0, v3, vcc
	global_load_dwordx2 v[3:4], v8, s[2:3]
	global_load_sbyte v12, v[1:2], off
	v_lshlrev_b32_e32 v1, 7, v5
	v_mov_b32_e32 v5, s8
	v_add_co_u32_e32 v1, vcc, s7, v1
	v_addc_co_u32_e32 v5, vcc, 0, v5, vcc
	v_and_b32_e32 v2, 0xfc, v6
	v_add_co_u32_e32 v8, vcc, v1, v0
	s_waitcnt vmcnt(3)
	v_cvt_f32_f16_e32 v0, v10
	s_waitcnt vmcnt(2)
	v_bfe_u32 v1, v11, v2, 4
	v_cvt_f32_ubyte0_e32 v1, v1
	v_add_f32_e32 v1, 0.5, v1
	v_mul_f32_e32 v0, v1, v0
	v_addc_co_u32_e32 v9, vcc, 0, v5, vcc
	v_mul_f32_e32 v0, 0x3e800000, v0
	s_waitcnt vmcnt(1)
	v_cvt_f32_ubyte0_e32 v1, v3
	s_waitcnt vmcnt(0)
	v_and_b32_e32 v2, 1, v12
	v_cvt_f32_ubyte1_e32 v5, v3
	v_and_b32_e32 v6, 2, v12
	v_cvt_f32_ubyte2_e32 v10, v3
	v_cvt_f32_ubyte3_e32 v3, v3
	v_cvt_f32_ubyte0_e32 v14, v4
	v_cvt_f32_ubyte1_e32 v16, v4
	v_cvt_f32_ubyte2_e32 v18, v4
	v_cvt_f32_ubyte3_e32 v4, v4
	v_mul_f32_e32 v1, v0, v1
	v_cmp_eq_u16_e32 vcc, 0, v2
	v_and_b32_e32 v11, 4, v12
	v_mul_f32_e32 v5, v0, v5
	v_mul_f32_e32 v10, v0, v10
	;; [unrolled: 1-line block ×7, first 2 shown]
	v_cndmask_b32_e64 v0, -v1, v1, vcc
	v_cmp_eq_u16_e32 vcc, 0, v6
	v_and_b32_e32 v13, 8, v12
	v_cndmask_b32_e64 v1, -v5, v5, vcc
	v_cmp_eq_u16_e32 vcc, 0, v11
	v_and_b32_e32 v15, 16, v12
	;; [unrolled: 3-line block ×3, first 2 shown]
	v_cndmask_b32_e64 v3, -v3, v3, vcc
	v_cmp_eq_u16_e32 vcc, 0, v15
	v_cndmask_b32_e64 v4, -v14, v14, vcc
	v_cmp_eq_u16_e32 vcc, 0, v17
	v_cndmask_b32_e64 v5, -v16, v16, vcc
	v_cmp_gt_i16_e32 vcc, 0, v7
	v_cndmask_b32_e64 v6, v18, -v18, vcc
	v_cmp_gt_i16_e32 vcc, 0, v12
	v_cndmask_b32_e64 v7, v19, -v19, vcc
	global_store_dwordx4 v[8:9], v[0:3], off
	global_store_dwordx4 v[8:9], v[4:7], off offset:16
	s_endpgm
	.section	.rodata,"a",@progbits
	.p2align	6, 0x0
	.amdhsa_kernel _ZL23dequantize_block_iq2_xsIfEvPKvPT_
		.amdhsa_group_segment_fixed_size 0
		.amdhsa_private_segment_fixed_size 0
		.amdhsa_kernarg_size 16
		.amdhsa_user_sgpr_count 6
		.amdhsa_user_sgpr_private_segment_buffer 1
		.amdhsa_user_sgpr_dispatch_ptr 0
		.amdhsa_user_sgpr_queue_ptr 0
		.amdhsa_user_sgpr_kernarg_segment_ptr 1
		.amdhsa_user_sgpr_dispatch_id 0
		.amdhsa_user_sgpr_flat_scratch_init 0
		.amdhsa_user_sgpr_private_segment_size 0
		.amdhsa_uses_dynamic_stack 0
		.amdhsa_system_sgpr_private_segment_wavefront_offset 0
		.amdhsa_system_sgpr_workgroup_id_x 1
		.amdhsa_system_sgpr_workgroup_id_y 0
		.amdhsa_system_sgpr_workgroup_id_z 0
		.amdhsa_system_sgpr_workgroup_info 0
		.amdhsa_system_vgpr_workitem_id 0
		.amdhsa_next_free_vgpr 20
		.amdhsa_next_free_sgpr 9
		.amdhsa_reserve_vcc 1
		.amdhsa_reserve_flat_scratch 0
		.amdhsa_float_round_mode_32 0
		.amdhsa_float_round_mode_16_64 0
		.amdhsa_float_denorm_mode_32 3
		.amdhsa_float_denorm_mode_16_64 3
		.amdhsa_dx10_clamp 1
		.amdhsa_ieee_mode 1
		.amdhsa_fp16_overflow 0
		.amdhsa_exception_fp_ieee_invalid_op 0
		.amdhsa_exception_fp_denorm_src 0
		.amdhsa_exception_fp_ieee_div_zero 0
		.amdhsa_exception_fp_ieee_overflow 0
		.amdhsa_exception_fp_ieee_underflow 0
		.amdhsa_exception_fp_ieee_inexact 0
		.amdhsa_exception_int_div_zero 0
	.end_amdhsa_kernel
	.section	.text._ZL23dequantize_block_iq2_xsIfEvPKvPT_,"axG",@progbits,_ZL23dequantize_block_iq2_xsIfEvPKvPT_,comdat
.Lfunc_end11:
	.size	_ZL23dequantize_block_iq2_xsIfEvPKvPT_, .Lfunc_end11-_ZL23dequantize_block_iq2_xsIfEvPKvPT_
                                        ; -- End function
	.set _ZL23dequantize_block_iq2_xsIfEvPKvPT_.num_vgpr, 20
	.set _ZL23dequantize_block_iq2_xsIfEvPKvPT_.num_agpr, 0
	.set _ZL23dequantize_block_iq2_xsIfEvPKvPT_.numbered_sgpr, 9
	.set _ZL23dequantize_block_iq2_xsIfEvPKvPT_.num_named_barrier, 0
	.set _ZL23dequantize_block_iq2_xsIfEvPKvPT_.private_seg_size, 0
	.set _ZL23dequantize_block_iq2_xsIfEvPKvPT_.uses_vcc, 1
	.set _ZL23dequantize_block_iq2_xsIfEvPKvPT_.uses_flat_scratch, 0
	.set _ZL23dequantize_block_iq2_xsIfEvPKvPT_.has_dyn_sized_stack, 0
	.set _ZL23dequantize_block_iq2_xsIfEvPKvPT_.has_recursion, 0
	.set _ZL23dequantize_block_iq2_xsIfEvPKvPT_.has_indirect_call, 0
	.section	.AMDGPU.csdata,"",@progbits
; Kernel info:
; codeLenInByte = 512
; TotalNumSgprs: 13
; NumVgprs: 20
; ScratchSize: 0
; MemoryBound: 0
; FloatMode: 240
; IeeeMode: 1
; LDSByteSize: 0 bytes/workgroup (compile time only)
; SGPRBlocks: 1
; VGPRBlocks: 4
; NumSGPRsForWavesPerEU: 13
; NumVGPRsForWavesPerEU: 20
; Occupancy: 10
; WaveLimiterHint : 0
; COMPUTE_PGM_RSRC2:SCRATCH_EN: 0
; COMPUTE_PGM_RSRC2:USER_SGPR: 6
; COMPUTE_PGM_RSRC2:TRAP_HANDLER: 0
; COMPUTE_PGM_RSRC2:TGID_X_EN: 1
; COMPUTE_PGM_RSRC2:TGID_Y_EN: 0
; COMPUTE_PGM_RSRC2:TGID_Z_EN: 0
; COMPUTE_PGM_RSRC2:TIDIG_COMP_CNT: 0
	.section	.text._ZL24dequantize_block_iq3_xxsIfEvPKvPT_,"axG",@progbits,_ZL24dequantize_block_iq3_xxsIfEvPKvPT_,comdat
	.globl	_ZL24dequantize_block_iq3_xxsIfEvPKvPT_ ; -- Begin function _ZL24dequantize_block_iq3_xxsIfEvPKvPT_
	.p2align	8
	.type	_ZL24dequantize_block_iq3_xxsIfEvPKvPT_,@function
_ZL24dequantize_block_iq3_xxsIfEvPKvPT_: ; @_ZL24dequantize_block_iq3_xxsIfEvPKvPT_
; %bb.0:
	s_load_dwordx4 s[0:3], s[4:5], 0x0
	s_lshl_b32 s4, s6, 8
	s_mov_b32 s5, 0
	s_lshl_b64 s[4:5], s[4:5], 2
	v_and_b32_e32 v4, 7, v0
	s_waitcnt lgkmcnt(0)
	s_add_u32 s4, s2, s4
	s_addc_u32 s5, s3, s5
	s_mul_hi_u32 s2, s6, 0x62
	s_mulk_i32 s6, 0x62
	s_add_u32 s0, s0, s6
	s_addc_u32 s1, s1, s2
	v_lshlrev_b32_e32 v1, 3, v4
	v_lshrrev_b32_e32 v3, 3, v0
	v_mov_b32_e32 v2, s1
	v_add_co_u32_e32 v1, vcc, s0, v1
	v_addc_co_u32_e32 v2, vcc, 0, v2, vcc
	v_lshlrev_b32_e32 v7, 1, v3
	v_add_co_u32_e32 v1, vcc, v1, v7
	v_addc_co_u32_e32 v2, vcc, 0, v2, vcc
	v_mov_b32_e32 v5, 0
	v_lshlrev_b32_e32 v6, 2, v4
	global_load_ushort v7, v[1:2], off offset:2
	global_load_ushort v10, v5, s[0:1]
	global_load_dword v11, v6, s[0:1] offset:66
	v_mov_b32_e32 v1, 2
	s_getpc_b64 s[0:1]
	s_add_u32 s0, s0, _ZL11iq3xxs_grid@rel32@lo+4
	s_addc_u32 s1, s1, _ZL11iq3xxs_grid@rel32@hi+12
	v_mul_u32_u24_e32 v2, 7, v3
	s_getpc_b64 s[2:3]
	s_add_u32 s2, s2, _ZL12ksigns_iq2xs@rel32@lo+4
	s_addc_u32 s3, s3, _ZL12ksigns_iq2xs@rel32@hi+12
	v_and_b32_e32 v0, 0x3f8, v0
	v_lshlrev_b32_e32 v0, 2, v0
	s_waitcnt vmcnt(2)
	v_lshlrev_b32_sdwa v3, v1, v7 dst_sel:DWORD dst_unused:UNUSED_PAD src0_sel:DWORD src1_sel:BYTE_0
	v_lshlrev_b32_sdwa v1, v1, v7 dst_sel:DWORD dst_unused:UNUSED_PAD src0_sel:DWORD src1_sel:BYTE_1
	s_waitcnt vmcnt(0)
	v_bfe_u32 v6, v11, v2, 7
	global_load_dword v2, v3, s[0:1]
	global_load_sbyte v7, v6, s[2:3]
	global_load_dword v5, v1, s[0:1]
	v_lshlrev_b32_e32 v1, 7, v4
	v_mov_b32_e32 v3, s5
	v_add_co_u32_e32 v1, vcc, s4, v1
	v_addc_co_u32_e32 v3, vcc, 0, v3, vcc
	v_add_co_u32_e32 v8, vcc, v1, v0
	v_cvt_f32_f16_e32 v0, v10
	v_lshrrev_b32_e32 v1, 28, v11
	v_cvt_f32_ubyte0_e32 v1, v1
	v_add_f32_e32 v1, 0.5, v1
	v_mul_f32_e32 v0, v1, v0
	v_addc_co_u32_e32 v9, vcc, 0, v3, vcc
	v_mul_f32_e32 v0, 0.5, v0
	s_waitcnt vmcnt(2)
	v_cvt_f32_ubyte0_e32 v1, v2
	s_waitcnt vmcnt(1)
	v_and_b32_e32 v3, 1, v7
	s_waitcnt vmcnt(0)
	v_cvt_f32_ubyte0_e32 v4, v5
	v_cvt_f32_ubyte1_e32 v11, v2
	v_and_b32_e32 v12, 2, v7
	v_cvt_f32_ubyte1_e32 v13, v5
	v_cvt_f32_ubyte2_e32 v15, v2
	v_cvt_f32_ubyte2_e32 v17, v5
	v_cvt_f32_ubyte3_e32 v2, v2
	v_cvt_f32_ubyte3_e32 v5, v5
	v_mul_f32_e32 v1, v0, v1
	v_cmp_eq_u16_e32 vcc, 0, v3
	v_and_b32_e32 v10, 16, v7
	v_mul_f32_e32 v4, v0, v4
	v_mul_f32_e32 v11, v0, v11
	v_mul_f32_e32 v13, v0, v13
	v_mul_f32_e32 v15, v0, v15
	v_mul_f32_e32 v17, v0, v17
	v_mul_f32_e32 v19, v0, v2
	v_mul_f32_e32 v20, v0, v5
	v_cndmask_b32_e64 v0, -v1, v1, vcc
	v_cmp_eq_u16_e32 vcc, 0, v12
	v_and_b32_e32 v14, 32, v7
	v_cndmask_b32_e64 v1, -v11, v11, vcc
	v_cmp_eq_u16_e32 vcc, 0, v10
	v_and_b32_e32 v16, 4, v7
	v_cndmask_b32_e64 v4, -v4, v4, vcc
	v_cmp_eq_u16_e32 vcc, 0, v14
	v_cndmask_b32_e64 v5, -v13, v13, vcc
	v_cmp_eq_u16_e32 vcc, 0, v16
	v_and_b32_e32 v18, 8, v7
	v_cndmask_b32_e64 v2, -v15, v15, vcc
	v_cmp_gt_u32_e32 vcc, 64, v6
	v_cndmask_b32_e64 v6, -v17, v17, vcc
	v_cmp_eq_u16_e32 vcc, 0, v18
	v_cndmask_b32_e64 v3, -v19, v19, vcc
	v_cmp_gt_i16_e32 vcc, 0, v7
	v_cndmask_b32_e64 v7, v20, -v20, vcc
	global_store_dwordx4 v[8:9], v[0:3], off
	global_store_dwordx4 v[8:9], v[4:7], off offset:16
	s_endpgm
	.section	.rodata,"a",@progbits
	.p2align	6, 0x0
	.amdhsa_kernel _ZL24dequantize_block_iq3_xxsIfEvPKvPT_
		.amdhsa_group_segment_fixed_size 0
		.amdhsa_private_segment_fixed_size 0
		.amdhsa_kernarg_size 16
		.amdhsa_user_sgpr_count 6
		.amdhsa_user_sgpr_private_segment_buffer 1
		.amdhsa_user_sgpr_dispatch_ptr 0
		.amdhsa_user_sgpr_queue_ptr 0
		.amdhsa_user_sgpr_kernarg_segment_ptr 1
		.amdhsa_user_sgpr_dispatch_id 0
		.amdhsa_user_sgpr_flat_scratch_init 0
		.amdhsa_user_sgpr_private_segment_size 0
		.amdhsa_uses_dynamic_stack 0
		.amdhsa_system_sgpr_private_segment_wavefront_offset 0
		.amdhsa_system_sgpr_workgroup_id_x 1
		.amdhsa_system_sgpr_workgroup_id_y 0
		.amdhsa_system_sgpr_workgroup_id_z 0
		.amdhsa_system_sgpr_workgroup_info 0
		.amdhsa_system_vgpr_workitem_id 0
		.amdhsa_next_free_vgpr 21
		.amdhsa_next_free_sgpr 7
		.amdhsa_reserve_vcc 1
		.amdhsa_reserve_flat_scratch 0
		.amdhsa_float_round_mode_32 0
		.amdhsa_float_round_mode_16_64 0
		.amdhsa_float_denorm_mode_32 3
		.amdhsa_float_denorm_mode_16_64 3
		.amdhsa_dx10_clamp 1
		.amdhsa_ieee_mode 1
		.amdhsa_fp16_overflow 0
		.amdhsa_exception_fp_ieee_invalid_op 0
		.amdhsa_exception_fp_denorm_src 0
		.amdhsa_exception_fp_ieee_div_zero 0
		.amdhsa_exception_fp_ieee_overflow 0
		.amdhsa_exception_fp_ieee_underflow 0
		.amdhsa_exception_fp_ieee_inexact 0
		.amdhsa_exception_int_div_zero 0
	.end_amdhsa_kernel
	.section	.text._ZL24dequantize_block_iq3_xxsIfEvPKvPT_,"axG",@progbits,_ZL24dequantize_block_iq3_xxsIfEvPKvPT_,comdat
.Lfunc_end12:
	.size	_ZL24dequantize_block_iq3_xxsIfEvPKvPT_, .Lfunc_end12-_ZL24dequantize_block_iq3_xxsIfEvPKvPT_
                                        ; -- End function
	.set _ZL24dequantize_block_iq3_xxsIfEvPKvPT_.num_vgpr, 21
	.set _ZL24dequantize_block_iq3_xxsIfEvPKvPT_.num_agpr, 0
	.set _ZL24dequantize_block_iq3_xxsIfEvPKvPT_.numbered_sgpr, 7
	.set _ZL24dequantize_block_iq3_xxsIfEvPKvPT_.num_named_barrier, 0
	.set _ZL24dequantize_block_iq3_xxsIfEvPKvPT_.private_seg_size, 0
	.set _ZL24dequantize_block_iq3_xxsIfEvPKvPT_.uses_vcc, 1
	.set _ZL24dequantize_block_iq3_xxsIfEvPKvPT_.uses_flat_scratch, 0
	.set _ZL24dequantize_block_iq3_xxsIfEvPKvPT_.has_dyn_sized_stack, 0
	.set _ZL24dequantize_block_iq3_xxsIfEvPKvPT_.has_recursion, 0
	.set _ZL24dequantize_block_iq3_xxsIfEvPKvPT_.has_indirect_call, 0
	.section	.AMDGPU.csdata,"",@progbits
; Kernel info:
; codeLenInByte = 500
; TotalNumSgprs: 11
; NumVgprs: 21
; ScratchSize: 0
; MemoryBound: 0
; FloatMode: 240
; IeeeMode: 1
; LDSByteSize: 0 bytes/workgroup (compile time only)
; SGPRBlocks: 1
; VGPRBlocks: 5
; NumSGPRsForWavesPerEU: 11
; NumVGPRsForWavesPerEU: 21
; Occupancy: 10
; WaveLimiterHint : 0
; COMPUTE_PGM_RSRC2:SCRATCH_EN: 0
; COMPUTE_PGM_RSRC2:USER_SGPR: 6
; COMPUTE_PGM_RSRC2:TRAP_HANDLER: 0
; COMPUTE_PGM_RSRC2:TGID_X_EN: 1
; COMPUTE_PGM_RSRC2:TGID_Y_EN: 0
; COMPUTE_PGM_RSRC2:TGID_Z_EN: 0
; COMPUTE_PGM_RSRC2:TIDIG_COMP_CNT: 0
	.section	.text._ZL22dequantize_block_iq1_sIfEvPKvPT_,"axG",@progbits,_ZL22dequantize_block_iq1_sIfEvPKvPT_,comdat
	.globl	_ZL22dequantize_block_iq1_sIfEvPKvPT_ ; -- Begin function _ZL22dequantize_block_iq1_sIfEvPKvPT_
	.p2align	8
	.type	_ZL22dequantize_block_iq1_sIfEvPKvPT_,@function
_ZL22dequantize_block_iq1_sIfEvPKvPT_:  ; @_ZL22dequantize_block_iq1_sIfEvPKvPT_
; %bb.0:
	s_load_dwordx4 s[0:3], s[4:5], 0x0
	s_mov_b32 s7, 0
	s_lshl_b64 s[4:5], s[6:7], 10
	v_and_b32_e32 v4, 7, v0
	v_lshlrev_b32_e32 v1, 1, v4
	s_waitcnt lgkmcnt(0)
	s_add_u32 s2, s2, s4
	s_addc_u32 s3, s3, s5
	s_mul_i32 s5, s6, 50
	s_mul_hi_u32 s4, s6, 50
	s_add_u32 s0, s0, s5
	s_addc_u32 s1, s1, s4
	v_mov_b32_e32 v2, s1
	v_add_co_u32_e32 v5, vcc, s0, v1
	v_addc_co_u32_e32 v2, vcc, 0, v2, vcc
	global_load_ushort v6, v1, s[0:1] offset:34
	v_add_co_u32_e32 v1, vcc, v5, v1
	v_lshrrev_b32_e32 v3, 3, v0
	v_addc_co_u32_e32 v2, vcc, 0, v2, vcc
	v_add_co_u32_e32 v1, vcc, v1, v3
	v_addc_co_u32_e32 v2, vcc, 0, v2, vcc
	global_load_ubyte v1, v[1:2], off offset:2
	v_mov_b32_e32 v2, 0
	v_mul_u32_u24_e32 v3, 3, v3
	global_load_ushort v2, v2, s[0:1]
	s_movk_i32 s4, 0x700
	s_getpc_b64 s[0:1]
	s_add_u32 s0, s0, _ZL13iq1s_grid_gpu@rel32@lo+4
	s_addc_u32 s1, s1, _ZL13iq1s_grid_gpu@rel32@hi+12
	v_lshlrev_b32_e32 v4, 7, v4
	v_and_b32_e32 v0, 0x3f8, v0
	v_mov_b32_e32 v7, s3
	v_add_co_u32_e32 v4, vcc, s2, v4
	v_lshlrev_b32_e32 v0, 2, v0
	v_addc_co_u32_e32 v7, vcc, 0, v7, vcc
	v_add_co_u32_e32 v8, vcc, v4, v0
	v_addc_co_u32_e32 v9, vcc, 0, v7, vcc
	v_mov_b32_e32 v5, 0xbf600000
	s_waitcnt vmcnt(2)
	v_lshrrev_b32_sdwa v3, v3, v6 dst_sel:DWORD dst_unused:UNUSED_PAD src0_sel:DWORD src1_sel:WORD_0
	v_lshlrev_b32_e32 v3, 8, v3
	v_cmp_lt_i16_e32 vcc, -1, v6
	s_waitcnt vmcnt(1)
	v_and_or_b32 v1, v3, s4, v1
	v_lshlrev_b32_e32 v1, 3, v1
	global_load_dword v1, v1, s[0:1]
	v_mov_b32_e32 v3, 0xbf900000
	v_cndmask_b32_e32 v0, v3, v5, vcc
	s_waitcnt vmcnt(1)
	v_cvt_f32_f16_e32 v2, v2
	v_lshrrev_b16_e32 v3, 11, v6
	v_and_b32_e32 v3, 14, v3
	v_or_b32_e32 v3, 1, v3
	v_cvt_f32_ubyte0_e32 v3, v3
	v_mul_f32_e32 v7, v2, v3
	s_waitcnt vmcnt(0)
	v_and_b32_e32 v2, 0xf000000, v1
	v_and_b32_e32 v3, 15, v1
	v_bfe_u32 v4, v1, 8, 4
	v_bfe_u32 v5, v1, 16, 4
	v_bfe_u32 v6, v1, 4, 4
	v_bfe_u32 v10, v1, 12, 4
	v_bfe_u32 v11, v1, 20, 4
	v_lshrrev_b32_e32 v1, 28, v1
	v_cvt_f32_ubyte0_e32 v3, v3
	v_cvt_f32_ubyte0_e32 v4, v4
	;; [unrolled: 1-line block ×3, first 2 shown]
	v_cvt_f32_ubyte3_e32 v2, v2
	v_cvt_f32_ubyte0_e32 v6, v6
	v_cvt_f32_ubyte0_e32 v10, v10
	;; [unrolled: 1-line block ×4, first 2 shown]
	v_add_f32_e32 v3, v0, v3
	v_add_f32_e32 v4, v0, v4
	;; [unrolled: 1-line block ×8, first 2 shown]
	v_mul_f32_e32 v0, v7, v3
	v_mul_f32_e32 v1, v7, v4
	;; [unrolled: 1-line block ×8, first 2 shown]
	global_store_dwordx4 v[8:9], v[0:3], off
	global_store_dwordx4 v[8:9], v[4:7], off offset:16
	s_endpgm
	.section	.rodata,"a",@progbits
	.p2align	6, 0x0
	.amdhsa_kernel _ZL22dequantize_block_iq1_sIfEvPKvPT_
		.amdhsa_group_segment_fixed_size 0
		.amdhsa_private_segment_fixed_size 0
		.amdhsa_kernarg_size 16
		.amdhsa_user_sgpr_count 6
		.amdhsa_user_sgpr_private_segment_buffer 1
		.amdhsa_user_sgpr_dispatch_ptr 0
		.amdhsa_user_sgpr_queue_ptr 0
		.amdhsa_user_sgpr_kernarg_segment_ptr 1
		.amdhsa_user_sgpr_dispatch_id 0
		.amdhsa_user_sgpr_flat_scratch_init 0
		.amdhsa_user_sgpr_private_segment_size 0
		.amdhsa_uses_dynamic_stack 0
		.amdhsa_system_sgpr_private_segment_wavefront_offset 0
		.amdhsa_system_sgpr_workgroup_id_x 1
		.amdhsa_system_sgpr_workgroup_id_y 0
		.amdhsa_system_sgpr_workgroup_id_z 0
		.amdhsa_system_sgpr_workgroup_info 0
		.amdhsa_system_vgpr_workitem_id 0
		.amdhsa_next_free_vgpr 14
		.amdhsa_next_free_sgpr 8
		.amdhsa_reserve_vcc 1
		.amdhsa_reserve_flat_scratch 0
		.amdhsa_float_round_mode_32 0
		.amdhsa_float_round_mode_16_64 0
		.amdhsa_float_denorm_mode_32 3
		.amdhsa_float_denorm_mode_16_64 3
		.amdhsa_dx10_clamp 1
		.amdhsa_ieee_mode 1
		.amdhsa_fp16_overflow 0
		.amdhsa_exception_fp_ieee_invalid_op 0
		.amdhsa_exception_fp_denorm_src 0
		.amdhsa_exception_fp_ieee_div_zero 0
		.amdhsa_exception_fp_ieee_overflow 0
		.amdhsa_exception_fp_ieee_underflow 0
		.amdhsa_exception_fp_ieee_inexact 0
		.amdhsa_exception_int_div_zero 0
	.end_amdhsa_kernel
	.section	.text._ZL22dequantize_block_iq1_sIfEvPKvPT_,"axG",@progbits,_ZL22dequantize_block_iq1_sIfEvPKvPT_,comdat
.Lfunc_end13:
	.size	_ZL22dequantize_block_iq1_sIfEvPKvPT_, .Lfunc_end13-_ZL22dequantize_block_iq1_sIfEvPKvPT_
                                        ; -- End function
	.set _ZL22dequantize_block_iq1_sIfEvPKvPT_.num_vgpr, 14
	.set _ZL22dequantize_block_iq1_sIfEvPKvPT_.num_agpr, 0
	.set _ZL22dequantize_block_iq1_sIfEvPKvPT_.numbered_sgpr, 8
	.set _ZL22dequantize_block_iq1_sIfEvPKvPT_.num_named_barrier, 0
	.set _ZL22dequantize_block_iq1_sIfEvPKvPT_.private_seg_size, 0
	.set _ZL22dequantize_block_iq1_sIfEvPKvPT_.uses_vcc, 1
	.set _ZL22dequantize_block_iq1_sIfEvPKvPT_.uses_flat_scratch, 0
	.set _ZL22dequantize_block_iq1_sIfEvPKvPT_.has_dyn_sized_stack, 0
	.set _ZL22dequantize_block_iq1_sIfEvPKvPT_.has_recursion, 0
	.set _ZL22dequantize_block_iq1_sIfEvPKvPT_.has_indirect_call, 0
	.section	.AMDGPU.csdata,"",@progbits
; Kernel info:
; codeLenInByte = 444
; TotalNumSgprs: 12
; NumVgprs: 14
; ScratchSize: 0
; MemoryBound: 0
; FloatMode: 240
; IeeeMode: 1
; LDSByteSize: 0 bytes/workgroup (compile time only)
; SGPRBlocks: 1
; VGPRBlocks: 3
; NumSGPRsForWavesPerEU: 12
; NumVGPRsForWavesPerEU: 14
; Occupancy: 10
; WaveLimiterHint : 0
; COMPUTE_PGM_RSRC2:SCRATCH_EN: 0
; COMPUTE_PGM_RSRC2:USER_SGPR: 6
; COMPUTE_PGM_RSRC2:TRAP_HANDLER: 0
; COMPUTE_PGM_RSRC2:TGID_X_EN: 1
; COMPUTE_PGM_RSRC2:TGID_Y_EN: 0
; COMPUTE_PGM_RSRC2:TGID_Z_EN: 0
; COMPUTE_PGM_RSRC2:TIDIG_COMP_CNT: 0
	.section	.text._ZL23dequantize_block_iq4_nlIfEvPKvPT_,"axG",@progbits,_ZL23dequantize_block_iq4_nlIfEvPKvPT_,comdat
	.globl	_ZL23dequantize_block_iq4_nlIfEvPKvPT_ ; -- Begin function _ZL23dequantize_block_iq4_nlIfEvPKvPT_
	.p2align	8
	.type	_ZL23dequantize_block_iq4_nlIfEvPKvPT_,@function
_ZL23dequantize_block_iq4_nlIfEvPKvPT_: ; @_ZL23dequantize_block_iq4_nlIfEvPKvPT_
; %bb.0:
	s_load_dwordx4 s[0:3], s[4:5], 0x0
	s_lshl_b32 s4, s6, 3
	s_mul_i32 s5, s6, 0x90
	s_mul_hi_u32 s4, s4, 18
	v_and_b32_e32 v5, 7, v0
	s_waitcnt lgkmcnt(0)
	s_add_u32 s0, s0, s5
	s_addc_u32 s1, s1, s4
	v_mad_u64_u32 v[1:2], s[0:1], v5, 18, s[0:1]
	v_lshrrev_b32_e32 v0, 1, v0
	v_and_b32_e32 v6, 0x1fc, v0
	v_add_co_u32_e32 v3, vcc, v1, v6
	v_addc_co_u32_e32 v4, vcc, 0, v2, vcc
	global_load_dword v0, v[3:4], off offset:2
	global_load_ushort v7, v[1:2], off
	s_mov_b32 s1, 0
	s_lshl_b32 s0, s6, 8
	s_lshl_b64 s[0:1], s[0:1], 2
	s_add_u32 s2, s2, s0
	v_mov_b32_e32 v1, 4
	s_addc_u32 s3, s3, s1
	s_getpc_b64 s[0:1]
	s_add_u32 s0, s0, _ZL13kvalues_iq4nl@rel32@lo+4
	s_addc_u32 s1, s1, _ZL13kvalues_iq4nl@rel32@hi+12
	v_mov_b32_e32 v4, s1
	s_waitcnt vmcnt(1)
	v_lshrrev_b32_e32 v2, 8, v0
	v_and_b32_e32 v3, 15, v0
	v_lshrrev_b16_e32 v8, 4, v0
	v_bfe_u32 v9, v0, 8, 4
	v_bfe_u32 v10, v0, 16, 4
	;; [unrolled: 1-line block ×4, first 2 shown]
	v_lshrrev_b16_sdwa v0, v1, v0 dst_sel:DWORD dst_unused:UNUSED_PAD src0_sel:DWORD src1_sel:BYTE_3
	global_load_sbyte v13, v3, s[0:1]
	v_and_b32_e32 v3, 15, v8
	v_add_co_u32_e32 v0, vcc, s0, v0
	v_lshrrev_b16_e32 v2, 4, v2
	v_addc_co_u32_e32 v1, vcc, 0, v4, vcc
	v_and_b32_e32 v3, 0xffff, v3
	v_and_b32_e32 v8, 15, v2
	v_add_co_u32_e32 v2, vcc, s0, v3
	v_addc_co_u32_e32 v3, vcc, 0, v4, vcc
	v_and_b32_e32 v8, 0xffff, v8
	global_load_sbyte v14, v[2:3], off
	global_load_sbyte v15, v9, s[0:1]
	v_add_co_u32_e32 v2, vcc, s0, v8
	v_addc_co_u32_e32 v3, vcc, 0, v4, vcc
	global_load_sbyte v4, v[2:3], off
	global_load_sbyte v16, v10, s[0:1]
	global_load_sbyte v17, v11, s[0:1]
	global_load_sbyte v18, v12, s[0:1]
	global_load_sbyte v19, v[0:1], off
	v_lshlrev_b32_e32 v0, 7, v5
	s_waitcnt vmcnt(8)
	v_cvt_f32_f16_e32 v7, v7
	v_mov_b32_e32 v2, s3
	v_add_co_u32_e32 v0, vcc, s2, v0
	v_lshlrev_b32_e32 v1, 2, v6
	v_addc_co_u32_e32 v2, vcc, 0, v2, vcc
	v_add_co_u32_e32 v8, vcc, v0, v1
	v_addc_co_u32_e32 v9, vcc, 0, v2, vcc
	s_waitcnt vmcnt(7)
	v_cvt_f32_i32_e32 v3, v13
	v_mul_f32_e32 v0, v7, v3
	s_waitcnt vmcnt(6)
	v_cvt_f32_i32_e32 v1, v14
	s_waitcnt vmcnt(5)
	v_cvt_f32_i32_e32 v2, v15
	s_waitcnt vmcnt(4)
	v_cvt_f32_i32_e32 v3, v4
	s_waitcnt vmcnt(3)
	v_cvt_f32_i32_e32 v6, v16
	s_waitcnt vmcnt(2)
	v_cvt_f32_i32_e32 v10, v17
	s_waitcnt vmcnt(1)
	v_cvt_f32_i32_e32 v11, v18
	s_waitcnt vmcnt(0)
	v_cvt_f32_i32_e32 v12, v19
	v_mul_f32_e32 v4, v7, v1
	v_mul_f32_e32 v1, v7, v2
	;; [unrolled: 1-line block ×7, first 2 shown]
	global_store_dwordx4 v[8:9], v[0:3], off
	global_store_dwordx4 v[8:9], v[4:7], off offset:64
	s_endpgm
	.section	.rodata,"a",@progbits
	.p2align	6, 0x0
	.amdhsa_kernel _ZL23dequantize_block_iq4_nlIfEvPKvPT_
		.amdhsa_group_segment_fixed_size 0
		.amdhsa_private_segment_fixed_size 0
		.amdhsa_kernarg_size 16
		.amdhsa_user_sgpr_count 6
		.amdhsa_user_sgpr_private_segment_buffer 1
		.amdhsa_user_sgpr_dispatch_ptr 0
		.amdhsa_user_sgpr_queue_ptr 0
		.amdhsa_user_sgpr_kernarg_segment_ptr 1
		.amdhsa_user_sgpr_dispatch_id 0
		.amdhsa_user_sgpr_flat_scratch_init 0
		.amdhsa_user_sgpr_private_segment_size 0
		.amdhsa_uses_dynamic_stack 0
		.amdhsa_system_sgpr_private_segment_wavefront_offset 0
		.amdhsa_system_sgpr_workgroup_id_x 1
		.amdhsa_system_sgpr_workgroup_id_y 0
		.amdhsa_system_sgpr_workgroup_id_z 0
		.amdhsa_system_sgpr_workgroup_info 0
		.amdhsa_system_vgpr_workitem_id 0
		.amdhsa_next_free_vgpr 20
		.amdhsa_next_free_sgpr 7
		.amdhsa_reserve_vcc 1
		.amdhsa_reserve_flat_scratch 0
		.amdhsa_float_round_mode_32 0
		.amdhsa_float_round_mode_16_64 0
		.amdhsa_float_denorm_mode_32 3
		.amdhsa_float_denorm_mode_16_64 3
		.amdhsa_dx10_clamp 1
		.amdhsa_ieee_mode 1
		.amdhsa_fp16_overflow 0
		.amdhsa_exception_fp_ieee_invalid_op 0
		.amdhsa_exception_fp_denorm_src 0
		.amdhsa_exception_fp_ieee_div_zero 0
		.amdhsa_exception_fp_ieee_overflow 0
		.amdhsa_exception_fp_ieee_underflow 0
		.amdhsa_exception_fp_ieee_inexact 0
		.amdhsa_exception_int_div_zero 0
	.end_amdhsa_kernel
	.section	.text._ZL23dequantize_block_iq4_nlIfEvPKvPT_,"axG",@progbits,_ZL23dequantize_block_iq4_nlIfEvPKvPT_,comdat
.Lfunc_end14:
	.size	_ZL23dequantize_block_iq4_nlIfEvPKvPT_, .Lfunc_end14-_ZL23dequantize_block_iq4_nlIfEvPKvPT_
                                        ; -- End function
	.set _ZL23dequantize_block_iq4_nlIfEvPKvPT_.num_vgpr, 20
	.set _ZL23dequantize_block_iq4_nlIfEvPKvPT_.num_agpr, 0
	.set _ZL23dequantize_block_iq4_nlIfEvPKvPT_.numbered_sgpr, 7
	.set _ZL23dequantize_block_iq4_nlIfEvPKvPT_.num_named_barrier, 0
	.set _ZL23dequantize_block_iq4_nlIfEvPKvPT_.private_seg_size, 0
	.set _ZL23dequantize_block_iq4_nlIfEvPKvPT_.uses_vcc, 1
	.set _ZL23dequantize_block_iq4_nlIfEvPKvPT_.uses_flat_scratch, 0
	.set _ZL23dequantize_block_iq4_nlIfEvPKvPT_.has_dyn_sized_stack, 0
	.set _ZL23dequantize_block_iq4_nlIfEvPKvPT_.has_recursion, 0
	.set _ZL23dequantize_block_iq4_nlIfEvPKvPT_.has_indirect_call, 0
	.section	.AMDGPU.csdata,"",@progbits
; Kernel info:
; codeLenInByte = 456
; TotalNumSgprs: 11
; NumVgprs: 20
; ScratchSize: 0
; MemoryBound: 0
; FloatMode: 240
; IeeeMode: 1
; LDSByteSize: 0 bytes/workgroup (compile time only)
; SGPRBlocks: 1
; VGPRBlocks: 4
; NumSGPRsForWavesPerEU: 11
; NumVGPRsForWavesPerEU: 20
; Occupancy: 10
; WaveLimiterHint : 0
; COMPUTE_PGM_RSRC2:SCRATCH_EN: 0
; COMPUTE_PGM_RSRC2:USER_SGPR: 6
; COMPUTE_PGM_RSRC2:TRAP_HANDLER: 0
; COMPUTE_PGM_RSRC2:TGID_X_EN: 1
; COMPUTE_PGM_RSRC2:TGID_Y_EN: 0
; COMPUTE_PGM_RSRC2:TGID_Z_EN: 0
; COMPUTE_PGM_RSRC2:TIDIG_COMP_CNT: 0
	.section	.text._ZL22dequantize_block_iq3_sIfEvPKvPT_,"axG",@progbits,_ZL22dequantize_block_iq3_sIfEvPKvPT_,comdat
	.globl	_ZL22dequantize_block_iq3_sIfEvPKvPT_ ; -- Begin function _ZL22dequantize_block_iq3_sIfEvPKvPT_
	.p2align	8
	.type	_ZL22dequantize_block_iq3_sIfEvPKvPT_,@function
_ZL22dequantize_block_iq3_sIfEvPKvPT_:  ; @_ZL22dequantize_block_iq3_sIfEvPKvPT_
; %bb.0:
	s_load_dwordx4 s[0:3], s[4:5], 0x0
	s_lshl_b32 s4, s6, 8
	s_mov_b32 s5, 0
	s_lshl_b64 s[4:5], s[4:5], 2
	v_and_b32_e32 v4, 7, v0
	s_waitcnt lgkmcnt(0)
	s_add_u32 s2, s2, s4
	s_addc_u32 s3, s3, s5
	s_mul_hi_u32 s4, s6, 0x6e
	s_mulk_i32 s6, 0x6e
	s_add_u32 s0, s0, s6
	s_addc_u32 s1, s1, s4
	v_lshlrev_b32_e32 v1, 3, v4
	v_lshrrev_b32_e32 v3, 3, v0
	v_mov_b32_e32 v2, s1
	v_add_co_u32_e32 v1, vcc, s0, v1
	v_addc_co_u32_e32 v2, vcc, 0, v2, vcc
	v_lshlrev_b32_e32 v5, 1, v3
	v_add_co_u32_e32 v1, vcc, v1, v5
	v_addc_co_u32_e32 v2, vcc, 0, v2, vcc
	v_bfe_u32 v6, v0, 1, 2
	v_lshl_add_u32 v3, v4, 2, v3
	global_load_ushort v7, v[1:2], off offset:2
	global_load_ubyte v10, v6, s[0:1] offset:106
	global_load_sbyte v11, v3, s[0:1] offset:74
	global_load_ubyte v8, v4, s[0:1] offset:66
	v_mov_b32_e32 v1, 0
	global_load_ushort v1, v1, s[0:1]
	v_sub_u32_e32 v2, 8, v5
	s_movk_i32 s4, 0x100
	v_sub_u32_e32 v3, 7, v5
	s_getpc_b64 s[0:1]
	s_add_u32 s0, s0, _ZL10iq3xs_grid@rel32@lo+4
	s_addc_u32 s1, s1, _ZL10iq3xs_grid@rel32@hi+12
	s_waitcnt vmcnt(4)
	v_and_b32_e32 v5, 0xff, v7
	v_lshrrev_b16_e32 v6, 8, v7
	s_waitcnt vmcnt(2)
	v_and_b32_e32 v7, 32, v11
	s_waitcnt vmcnt(1)
	v_lshlrev_b32_e32 v2, v2, v8
	v_lshlrev_b32_e32 v3, v3, v8
	v_and_or_b32 v2, v2, s4, v5
	v_and_or_b32 v3, v3, s4, v6
	v_lshlrev_b32_e32 v2, 2, v2
	v_lshlrev_b32_e32 v3, 2, v3
	global_load_dword v5, v2, s[0:1]
	global_load_dword v6, v3, s[0:1]
	v_and_b32_e32 v2, 0x3f8, v0
	v_lshlrev_b32_e32 v0, 2, v0
	v_and_b32_e32 v0, 4, v0
	s_waitcnt vmcnt(2)
	v_cvt_f32_f16_e32 v1, v1
	v_lshlrev_b32_e32 v3, 7, v4
	v_bfe_u32 v0, v10, v0, 4
	v_mov_b32_e32 v4, s3
	v_add_co_u32_e32 v3, vcc, s2, v3
	v_cvt_f32_ubyte0_e32 v0, v0
	v_lshlrev_b32_e32 v2, 2, v2
	v_addc_co_u32_e32 v4, vcc, 0, v4, vcc
	v_add_f32_e32 v0, 0.5, v0
	v_add_co_u32_e32 v8, vcc, v3, v2
	v_mul_f32_e32 v0, v0, v1
	v_addc_co_u32_e32 v9, vcc, 0, v4, vcc
	v_and_b32_e32 v2, 1, v11
	v_mul_f32_e32 v0, 0.5, v0
	v_and_b32_e32 v4, 2, v11
	v_cmp_eq_u16_e32 vcc, 0, v2
	v_and_b32_e32 v3, 16, v11
	v_and_b32_e32 v10, 4, v11
	;; [unrolled: 1-line block ×4, first 2 shown]
	s_waitcnt vmcnt(1)
	v_cvt_f32_ubyte0_e32 v1, v5
	s_waitcnt vmcnt(0)
	v_cvt_f32_ubyte0_e32 v14, v6
	v_cvt_f32_ubyte1_e32 v15, v5
	v_cvt_f32_ubyte1_e32 v16, v6
	v_cvt_f32_ubyte2_e32 v17, v5
	v_cvt_f32_ubyte2_e32 v18, v6
	v_cvt_f32_ubyte3_e32 v5, v5
	v_cvt_f32_ubyte3_e32 v6, v6
	v_mul_f32_e32 v1, v0, v1
	v_mul_f32_e32 v14, v0, v14
	;; [unrolled: 1-line block ×8, first 2 shown]
	v_cndmask_b32_e64 v0, -v1, v1, vcc
	v_cmp_eq_u16_e32 vcc, 0, v4
	v_cndmask_b32_e64 v1, -v15, v15, vcc
	v_cmp_eq_u16_e32 vcc, 0, v3
	v_cndmask_b32_e64 v4, -v14, v14, vcc
	v_cmp_eq_u16_e32 vcc, 0, v7
	v_cndmask_b32_e64 v5, -v16, v16, vcc
	v_cmp_eq_u16_e32 vcc, 0, v10
	v_cndmask_b32_e64 v2, -v17, v17, vcc
	v_cmp_eq_u16_e32 vcc, 0, v12
	v_cndmask_b32_e64 v6, -v18, v18, vcc
	v_cmp_eq_u16_e32 vcc, 0, v13
	v_cndmask_b32_e64 v3, -v19, v19, vcc
	v_cmp_gt_i16_e32 vcc, 0, v11
	v_cndmask_b32_e64 v7, v20, -v20, vcc
	global_store_dwordx4 v[8:9], v[0:3], off
	global_store_dwordx4 v[8:9], v[4:7], off offset:16
	s_endpgm
	.section	.rodata,"a",@progbits
	.p2align	6, 0x0
	.amdhsa_kernel _ZL22dequantize_block_iq3_sIfEvPKvPT_
		.amdhsa_group_segment_fixed_size 0
		.amdhsa_private_segment_fixed_size 0
		.amdhsa_kernarg_size 16
		.amdhsa_user_sgpr_count 6
		.amdhsa_user_sgpr_private_segment_buffer 1
		.amdhsa_user_sgpr_dispatch_ptr 0
		.amdhsa_user_sgpr_queue_ptr 0
		.amdhsa_user_sgpr_kernarg_segment_ptr 1
		.amdhsa_user_sgpr_dispatch_id 0
		.amdhsa_user_sgpr_flat_scratch_init 0
		.amdhsa_user_sgpr_private_segment_size 0
		.amdhsa_uses_dynamic_stack 0
		.amdhsa_system_sgpr_private_segment_wavefront_offset 0
		.amdhsa_system_sgpr_workgroup_id_x 1
		.amdhsa_system_sgpr_workgroup_id_y 0
		.amdhsa_system_sgpr_workgroup_id_z 0
		.amdhsa_system_sgpr_workgroup_info 0
		.amdhsa_system_vgpr_workitem_id 0
		.amdhsa_next_free_vgpr 21
		.amdhsa_next_free_sgpr 7
		.amdhsa_reserve_vcc 1
		.amdhsa_reserve_flat_scratch 0
		.amdhsa_float_round_mode_32 0
		.amdhsa_float_round_mode_16_64 0
		.amdhsa_float_denorm_mode_32 3
		.amdhsa_float_denorm_mode_16_64 3
		.amdhsa_dx10_clamp 1
		.amdhsa_ieee_mode 1
		.amdhsa_fp16_overflow 0
		.amdhsa_exception_fp_ieee_invalid_op 0
		.amdhsa_exception_fp_denorm_src 0
		.amdhsa_exception_fp_ieee_div_zero 0
		.amdhsa_exception_fp_ieee_overflow 0
		.amdhsa_exception_fp_ieee_underflow 0
		.amdhsa_exception_fp_ieee_inexact 0
		.amdhsa_exception_int_div_zero 0
	.end_amdhsa_kernel
	.section	.text._ZL22dequantize_block_iq3_sIfEvPKvPT_,"axG",@progbits,_ZL22dequantize_block_iq3_sIfEvPKvPT_,comdat
.Lfunc_end15:
	.size	_ZL22dequantize_block_iq3_sIfEvPKvPT_, .Lfunc_end15-_ZL22dequantize_block_iq3_sIfEvPKvPT_
                                        ; -- End function
	.set _ZL22dequantize_block_iq3_sIfEvPKvPT_.num_vgpr, 21
	.set _ZL22dequantize_block_iq3_sIfEvPKvPT_.num_agpr, 0
	.set _ZL22dequantize_block_iq3_sIfEvPKvPT_.numbered_sgpr, 7
	.set _ZL22dequantize_block_iq3_sIfEvPKvPT_.num_named_barrier, 0
	.set _ZL22dequantize_block_iq3_sIfEvPKvPT_.private_seg_size, 0
	.set _ZL22dequantize_block_iq3_sIfEvPKvPT_.uses_vcc, 1
	.set _ZL22dequantize_block_iq3_sIfEvPKvPT_.uses_flat_scratch, 0
	.set _ZL22dequantize_block_iq3_sIfEvPKvPT_.has_dyn_sized_stack, 0
	.set _ZL22dequantize_block_iq3_sIfEvPKvPT_.has_recursion, 0
	.set _ZL22dequantize_block_iq3_sIfEvPKvPT_.has_indirect_call, 0
	.section	.AMDGPU.csdata,"",@progbits
; Kernel info:
; codeLenInByte = 544
; TotalNumSgprs: 11
; NumVgprs: 21
; ScratchSize: 0
; MemoryBound: 0
; FloatMode: 240
; IeeeMode: 1
; LDSByteSize: 0 bytes/workgroup (compile time only)
; SGPRBlocks: 1
; VGPRBlocks: 5
; NumSGPRsForWavesPerEU: 11
; NumVGPRsForWavesPerEU: 21
; Occupancy: 10
; WaveLimiterHint : 0
; COMPUTE_PGM_RSRC2:SCRATCH_EN: 0
; COMPUTE_PGM_RSRC2:USER_SGPR: 6
; COMPUTE_PGM_RSRC2:TRAP_HANDLER: 0
; COMPUTE_PGM_RSRC2:TGID_X_EN: 1
; COMPUTE_PGM_RSRC2:TGID_Y_EN: 0
; COMPUTE_PGM_RSRC2:TGID_Z_EN: 0
; COMPUTE_PGM_RSRC2:TIDIG_COMP_CNT: 0
	.section	.text._ZL22dequantize_block_iq2_sIfEvPKvPT_,"axG",@progbits,_ZL22dequantize_block_iq2_sIfEvPKvPT_,comdat
	.globl	_ZL22dequantize_block_iq2_sIfEvPKvPT_ ; -- Begin function _ZL22dequantize_block_iq2_sIfEvPKvPT_
	.p2align	8
	.type	_ZL22dequantize_block_iq2_sIfEvPKvPT_,@function
_ZL22dequantize_block_iq2_sIfEvPKvPT_:  ; @_ZL22dequantize_block_iq2_sIfEvPKvPT_
; %bb.0:
	s_load_dwordx4 s[0:3], s[4:5], 0x0
	s_lshl_b32 s4, s6, 8
	s_mov_b32 s5, 0
	s_lshl_b64 s[4:5], s[4:5], 2
	v_lshrrev_b32_e32 v1, 3, v0
	s_waitcnt lgkmcnt(0)
	s_add_u32 s2, s2, s4
	s_addc_u32 s3, s3, s5
	s_mul_hi_u32 s4, s6, 0x52
	s_mulk_i32 s6, 0x52
	s_add_u32 s0, s0, s6
	v_and_b32_e32 v3, 7, v0
	s_addc_u32 s1, s1, s4
	v_lshl_add_u32 v2, v3, 2, v1
	global_load_ubyte v4, v3, s[0:1] offset:66
	global_load_ubyte v5, v2, s[0:1] offset:2
	v_mov_b32_e32 v6, 0
	v_lshlrev_b32_e32 v1, 1, v1
	global_load_ushort v7, v6, s[0:1]
	global_load_sbyte v10, v2, s[0:1] offset:34
	global_load_ubyte v11, v3, s[0:1] offset:74
	v_sub_u32_e32 v1, 8, v1
	s_movk_i32 s4, 0x300
	s_getpc_b64 s[0:1]
	s_add_u32 s0, s0, _ZL9iq2s_grid@rel32@lo+4
	s_addc_u32 s1, s1, _ZL9iq2s_grid@rel32@hi+12
	v_lshlrev_b32_e32 v3, 7, v3
	v_add_co_u32_e32 v3, vcc, s2, v3
	s_waitcnt vmcnt(4)
	v_lshlrev_b32_e32 v1, v1, v4
	s_waitcnt vmcnt(3)
	v_and_or_b32 v1, v1, s4, v5
	v_lshlrev_b32_e32 v1, 3, v1
	global_load_dwordx2 v[1:2], v1, s[0:1]
	v_and_b32_e32 v4, 0x3f8, v0
	v_mov_b32_e32 v5, s3
	v_lshrrev_b32_e32 v0, 2, v0
	v_lshlrev_b32_e32 v4, 2, v4
	v_addc_co_u32_e32 v5, vcc, 0, v5, vcc
	v_and_b32_e32 v0, 0xfc, v0
	v_add_co_u32_e32 v8, vcc, v3, v4
	s_waitcnt vmcnt(3)
	v_cvt_f32_f16_e32 v3, v7
	s_waitcnt vmcnt(1)
	v_bfe_u32 v0, v11, v0, 4
	v_cvt_f32_ubyte0_e32 v0, v0
	v_add_f32_e32 v0, 0.5, v0
	v_mul_f32_e32 v0, v0, v3
	v_addc_co_u32_e32 v9, vcc, 0, v5, vcc
	v_and_b32_e32 v4, 1, v10
	v_mul_f32_e32 v0, 0x3e800000, v0
	v_and_b32_e32 v5, 2, v10
	v_cmp_eq_u16_e32 vcc, 0, v4
	v_and_b32_e32 v6, 4, v10
	v_and_b32_e32 v7, 8, v10
	;; [unrolled: 1-line block ×5, first 2 shown]
	s_waitcnt vmcnt(0)
	v_cvt_f32_ubyte0_e32 v3, v1
	v_cvt_f32_ubyte1_e32 v14, v1
	v_cvt_f32_ubyte2_e32 v15, v1
	v_cvt_f32_ubyte3_e32 v1, v1
	v_cvt_f32_ubyte0_e32 v16, v2
	v_cvt_f32_ubyte1_e32 v17, v2
	v_cvt_f32_ubyte2_e32 v18, v2
	v_cvt_f32_ubyte3_e32 v2, v2
	v_mul_f32_e32 v3, v0, v3
	v_mul_f32_e32 v14, v0, v14
	;; [unrolled: 1-line block ×8, first 2 shown]
	v_cndmask_b32_e64 v0, -v3, v3, vcc
	v_cmp_eq_u16_e32 vcc, 0, v5
	v_cndmask_b32_e64 v1, -v14, v14, vcc
	v_cmp_eq_u16_e32 vcc, 0, v6
	v_cndmask_b32_e64 v2, -v15, v15, vcc
	v_cmp_eq_u16_e32 vcc, 0, v7
	v_cndmask_b32_e64 v3, -v19, v19, vcc
	v_cmp_eq_u16_e32 vcc, 0, v11
	v_cndmask_b32_e64 v4, -v16, v16, vcc
	v_cmp_eq_u16_e32 vcc, 0, v12
	v_cndmask_b32_e64 v5, -v17, v17, vcc
	v_cmp_eq_u16_e32 vcc, 0, v13
	v_cndmask_b32_e64 v6, -v18, v18, vcc
	v_cmp_gt_i16_e32 vcc, 0, v10
	v_cndmask_b32_e64 v7, v20, -v20, vcc
	global_store_dwordx4 v[8:9], v[0:3], off
	global_store_dwordx4 v[8:9], v[4:7], off offset:16
	s_endpgm
	.section	.rodata,"a",@progbits
	.p2align	6, 0x0
	.amdhsa_kernel _ZL22dequantize_block_iq2_sIfEvPKvPT_
		.amdhsa_group_segment_fixed_size 0
		.amdhsa_private_segment_fixed_size 0
		.amdhsa_kernarg_size 16
		.amdhsa_user_sgpr_count 6
		.amdhsa_user_sgpr_private_segment_buffer 1
		.amdhsa_user_sgpr_dispatch_ptr 0
		.amdhsa_user_sgpr_queue_ptr 0
		.amdhsa_user_sgpr_kernarg_segment_ptr 1
		.amdhsa_user_sgpr_dispatch_id 0
		.amdhsa_user_sgpr_flat_scratch_init 0
		.amdhsa_user_sgpr_private_segment_size 0
		.amdhsa_uses_dynamic_stack 0
		.amdhsa_system_sgpr_private_segment_wavefront_offset 0
		.amdhsa_system_sgpr_workgroup_id_x 1
		.amdhsa_system_sgpr_workgroup_id_y 0
		.amdhsa_system_sgpr_workgroup_id_z 0
		.amdhsa_system_sgpr_workgroup_info 0
		.amdhsa_system_vgpr_workitem_id 0
		.amdhsa_next_free_vgpr 21
		.amdhsa_next_free_sgpr 7
		.amdhsa_reserve_vcc 1
		.amdhsa_reserve_flat_scratch 0
		.amdhsa_float_round_mode_32 0
		.amdhsa_float_round_mode_16_64 0
		.amdhsa_float_denorm_mode_32 3
		.amdhsa_float_denorm_mode_16_64 3
		.amdhsa_dx10_clamp 1
		.amdhsa_ieee_mode 1
		.amdhsa_fp16_overflow 0
		.amdhsa_exception_fp_ieee_invalid_op 0
		.amdhsa_exception_fp_denorm_src 0
		.amdhsa_exception_fp_ieee_div_zero 0
		.amdhsa_exception_fp_ieee_overflow 0
		.amdhsa_exception_fp_ieee_underflow 0
		.amdhsa_exception_fp_ieee_inexact 0
		.amdhsa_exception_int_div_zero 0
	.end_amdhsa_kernel
	.section	.text._ZL22dequantize_block_iq2_sIfEvPKvPT_,"axG",@progbits,_ZL22dequantize_block_iq2_sIfEvPKvPT_,comdat
.Lfunc_end16:
	.size	_ZL22dequantize_block_iq2_sIfEvPKvPT_, .Lfunc_end16-_ZL22dequantize_block_iq2_sIfEvPKvPT_
                                        ; -- End function
	.set _ZL22dequantize_block_iq2_sIfEvPKvPT_.num_vgpr, 21
	.set _ZL22dequantize_block_iq2_sIfEvPKvPT_.num_agpr, 0
	.set _ZL22dequantize_block_iq2_sIfEvPKvPT_.numbered_sgpr, 7
	.set _ZL22dequantize_block_iq2_sIfEvPKvPT_.num_named_barrier, 0
	.set _ZL22dequantize_block_iq2_sIfEvPKvPT_.private_seg_size, 0
	.set _ZL22dequantize_block_iq2_sIfEvPKvPT_.uses_vcc, 1
	.set _ZL22dequantize_block_iq2_sIfEvPKvPT_.uses_flat_scratch, 0
	.set _ZL22dequantize_block_iq2_sIfEvPKvPT_.has_dyn_sized_stack, 0
	.set _ZL22dequantize_block_iq2_sIfEvPKvPT_.has_recursion, 0
	.set _ZL22dequantize_block_iq2_sIfEvPKvPT_.has_indirect_call, 0
	.section	.AMDGPU.csdata,"",@progbits
; Kernel info:
; codeLenInByte = 476
; TotalNumSgprs: 11
; NumVgprs: 21
; ScratchSize: 0
; MemoryBound: 0
; FloatMode: 240
; IeeeMode: 1
; LDSByteSize: 0 bytes/workgroup (compile time only)
; SGPRBlocks: 1
; VGPRBlocks: 5
; NumSGPRsForWavesPerEU: 11
; NumVGPRsForWavesPerEU: 21
; Occupancy: 10
; WaveLimiterHint : 0
; COMPUTE_PGM_RSRC2:SCRATCH_EN: 0
; COMPUTE_PGM_RSRC2:USER_SGPR: 6
; COMPUTE_PGM_RSRC2:TRAP_HANDLER: 0
; COMPUTE_PGM_RSRC2:TGID_X_EN: 1
; COMPUTE_PGM_RSRC2:TGID_Y_EN: 0
; COMPUTE_PGM_RSRC2:TGID_Z_EN: 0
; COMPUTE_PGM_RSRC2:TIDIG_COMP_CNT: 0
	.section	.text._ZL23dequantize_block_iq4_xsIfEvPKvPT_,"axG",@progbits,_ZL23dequantize_block_iq4_xsIfEvPKvPT_,comdat
	.globl	_ZL23dequantize_block_iq4_xsIfEvPKvPT_ ; -- Begin function _ZL23dequantize_block_iq4_xsIfEvPKvPT_
	.p2align	8
	.type	_ZL23dequantize_block_iq4_xsIfEvPKvPT_,@function
_ZL23dequantize_block_iq4_xsIfEvPKvPT_: ; @_ZL23dequantize_block_iq4_xsIfEvPKvPT_
; %bb.0:
	s_load_dwordx4 s[0:3], s[4:5], 0x0
	s_lshl_b32 s4, s6, 8
	s_mov_b32 s5, 0
	s_lshl_b64 s[4:5], s[4:5], 2
	v_and_b32_e32 v1, 7, v0
	s_waitcnt lgkmcnt(0)
	s_add_u32 s2, s2, s4
	s_addc_u32 s3, s3, s5
	s_mul_hi_u32 s4, s6, 0x88
	s_mulk_i32 s6, 0x88
	s_add_u32 s0, s0, s6
	s_addc_u32 s1, s1, s4
	v_lshlrev_b32_e32 v3, 4, v1
	v_lshrrev_b32_e32 v2, 1, v0
	v_mov_b32_e32 v4, s1
	v_add_co_u32_e32 v3, vcc, s0, v3
	v_and_b32_e32 v2, 0x1fc, v2
	v_addc_co_u32_e32 v4, vcc, 0, v4, vcc
	v_add_co_u32_e32 v3, vcc, v3, v2
	v_addc_co_u32_e32 v4, vcc, 0, v4, vcc
	global_load_dword v3, v[3:4], off offset:8
	v_mov_b32_e32 v4, 0
	v_bfe_u32 v5, v0, 1, 2
	global_load_dword v7, v4, s[0:1]
	global_load_ubyte v8, v5, s[0:1] offset:4
	v_mov_b32_e32 v4, 4
	s_getpc_b64 s[0:1]
	s_add_u32 s0, s0, _ZL13kvalues_iq4nl@rel32@lo+4
	s_addc_u32 s1, s1, _ZL13kvalues_iq4nl@rel32@hi+12
	v_mov_b32_e32 v9, s1
	v_lshlrev_b32_e32 v0, 2, v0
	v_and_b32_e32 v0, 4, v0
	v_lshlrev_b32_e32 v2, 2, v2
	s_waitcnt vmcnt(2)
	v_lshrrev_b32_e32 v5, 8, v3
	v_and_b32_e32 v10, 15, v3
	v_lshrrev_b16_e32 v6, 4, v3
	v_bfe_u32 v11, v3, 8, 4
	v_bfe_u32 v12, v3, 16, 4
	;; [unrolled: 1-line block ×4, first 2 shown]
	v_lshrrev_b16_sdwa v3, v4, v3 dst_sel:DWORD dst_unused:UNUSED_PAD src0_sel:DWORD src1_sel:BYTE_3
	v_and_b32_e32 v6, 15, v6
	v_add_co_u32_e32 v3, vcc, s0, v3
	v_lshrrev_b16_e32 v5, 4, v5
	v_addc_co_u32_e32 v4, vcc, 0, v9, vcc
	v_and_b32_e32 v6, 0xffff, v6
	v_and_b32_e32 v15, 15, v5
	v_add_co_u32_e32 v5, vcc, s0, v6
	v_addc_co_u32_e32 v6, vcc, 0, v9, vcc
	v_and_b32_e32 v15, 0xffff, v15
	global_load_sbyte v16, v10, s[0:1]
	global_load_sbyte v17, v[5:6], off
	global_load_sbyte v18, v11, s[0:1]
	v_add_co_u32_e32 v5, vcc, s0, v15
	v_addc_co_u32_e32 v6, vcc, 0, v9, vcc
	global_load_sbyte v10, v[5:6], off
	global_load_sbyte v11, v12, s[0:1]
	global_load_sbyte v15, v13, s[0:1]
	;; [unrolled: 1-line block ×3, first 2 shown]
	global_load_sbyte v20, v[3:4], off
	v_lshlrev_b32_e32 v3, 7, v1
	v_lshlrev_b32_e32 v1, 1, v1
	s_waitcnt vmcnt(9)
	v_lshrrev_b32_sdwa v1, v1, v7 dst_sel:DWORD dst_unused:UNUSED_PAD src0_sel:DWORD src1_sel:WORD_1
	s_waitcnt vmcnt(8)
	v_bfe_u32 v0, v8, v0, 4
	v_lshlrev_b32_e32 v1, 4, v1
	v_and_or_b32 v0, v1, 48, v0
	v_subrev_u32_e32 v0, 32, v0
	v_cvt_f32_f16_e32 v5, v7
	v_cvt_f32_i32_e32 v0, v0
	v_mov_b32_e32 v4, s3
	v_add_co_u32_e32 v3, vcc, s2, v3
	v_addc_co_u32_e32 v4, vcc, 0, v4, vcc
	v_add_co_u32_e32 v8, vcc, v3, v2
	v_mul_f32_e32 v7, v5, v0
	v_addc_co_u32_e32 v9, vcc, 0, v4, vcc
	s_waitcnt vmcnt(7)
	v_cvt_f32_i32_e32 v1, v16
	s_waitcnt vmcnt(6)
	v_cvt_f32_i32_e32 v2, v17
	s_waitcnt vmcnt(5)
	v_cvt_f32_i32_e32 v3, v18
	s_waitcnt vmcnt(4)
	v_cvt_f32_i32_e32 v5, v10
	s_waitcnt vmcnt(3)
	v_cvt_f32_i32_e32 v6, v11
	s_waitcnt vmcnt(2)
	v_cvt_f32_i32_e32 v10, v15
	s_waitcnt vmcnt(1)
	v_cvt_f32_i32_e32 v11, v19
	s_waitcnt vmcnt(0)
	v_cvt_f32_i32_e32 v12, v20
	v_mul_f32_e32 v0, v7, v1
	v_mul_f32_e32 v4, v7, v2
	;; [unrolled: 1-line block ×8, first 2 shown]
	global_store_dwordx4 v[8:9], v[0:3], off
	global_store_dwordx4 v[8:9], v[4:7], off offset:64
	s_endpgm
	.section	.rodata,"a",@progbits
	.p2align	6, 0x0
	.amdhsa_kernel _ZL23dequantize_block_iq4_xsIfEvPKvPT_
		.amdhsa_group_segment_fixed_size 0
		.amdhsa_private_segment_fixed_size 0
		.amdhsa_kernarg_size 16
		.amdhsa_user_sgpr_count 6
		.amdhsa_user_sgpr_private_segment_buffer 1
		.amdhsa_user_sgpr_dispatch_ptr 0
		.amdhsa_user_sgpr_queue_ptr 0
		.amdhsa_user_sgpr_kernarg_segment_ptr 1
		.amdhsa_user_sgpr_dispatch_id 0
		.amdhsa_user_sgpr_flat_scratch_init 0
		.amdhsa_user_sgpr_private_segment_size 0
		.amdhsa_uses_dynamic_stack 0
		.amdhsa_system_sgpr_private_segment_wavefront_offset 0
		.amdhsa_system_sgpr_workgroup_id_x 1
		.amdhsa_system_sgpr_workgroup_id_y 0
		.amdhsa_system_sgpr_workgroup_id_z 0
		.amdhsa_system_sgpr_workgroup_info 0
		.amdhsa_system_vgpr_workitem_id 0
		.amdhsa_next_free_vgpr 21
		.amdhsa_next_free_sgpr 7
		.amdhsa_reserve_vcc 1
		.amdhsa_reserve_flat_scratch 0
		.amdhsa_float_round_mode_32 0
		.amdhsa_float_round_mode_16_64 0
		.amdhsa_float_denorm_mode_32 3
		.amdhsa_float_denorm_mode_16_64 3
		.amdhsa_dx10_clamp 1
		.amdhsa_ieee_mode 1
		.amdhsa_fp16_overflow 0
		.amdhsa_exception_fp_ieee_invalid_op 0
		.amdhsa_exception_fp_denorm_src 0
		.amdhsa_exception_fp_ieee_div_zero 0
		.amdhsa_exception_fp_ieee_overflow 0
		.amdhsa_exception_fp_ieee_underflow 0
		.amdhsa_exception_fp_ieee_inexact 0
		.amdhsa_exception_int_div_zero 0
	.end_amdhsa_kernel
	.section	.text._ZL23dequantize_block_iq4_xsIfEvPKvPT_,"axG",@progbits,_ZL23dequantize_block_iq4_xsIfEvPKvPT_,comdat
.Lfunc_end17:
	.size	_ZL23dequantize_block_iq4_xsIfEvPKvPT_, .Lfunc_end17-_ZL23dequantize_block_iq4_xsIfEvPKvPT_
                                        ; -- End function
	.set _ZL23dequantize_block_iq4_xsIfEvPKvPT_.num_vgpr, 21
	.set _ZL23dequantize_block_iq4_xsIfEvPKvPT_.num_agpr, 0
	.set _ZL23dequantize_block_iq4_xsIfEvPKvPT_.numbered_sgpr, 7
	.set _ZL23dequantize_block_iq4_xsIfEvPKvPT_.num_named_barrier, 0
	.set _ZL23dequantize_block_iq4_xsIfEvPKvPT_.private_seg_size, 0
	.set _ZL23dequantize_block_iq4_xsIfEvPKvPT_.uses_vcc, 1
	.set _ZL23dequantize_block_iq4_xsIfEvPKvPT_.uses_flat_scratch, 0
	.set _ZL23dequantize_block_iq4_xsIfEvPKvPT_.has_dyn_sized_stack, 0
	.set _ZL23dequantize_block_iq4_xsIfEvPKvPT_.has_recursion, 0
	.set _ZL23dequantize_block_iq4_xsIfEvPKvPT_.has_indirect_call, 0
	.section	.AMDGPU.csdata,"",@progbits
; Kernel info:
; codeLenInByte = 536
; TotalNumSgprs: 11
; NumVgprs: 21
; ScratchSize: 0
; MemoryBound: 0
; FloatMode: 240
; IeeeMode: 1
; LDSByteSize: 0 bytes/workgroup (compile time only)
; SGPRBlocks: 1
; VGPRBlocks: 5
; NumSGPRsForWavesPerEU: 11
; NumVGPRsForWavesPerEU: 21
; Occupancy: 10
; WaveLimiterHint : 0
; COMPUTE_PGM_RSRC2:SCRATCH_EN: 0
; COMPUTE_PGM_RSRC2:USER_SGPR: 6
; COMPUTE_PGM_RSRC2:TRAP_HANDLER: 0
; COMPUTE_PGM_RSRC2:TGID_X_EN: 1
; COMPUTE_PGM_RSRC2:TGID_Y_EN: 0
; COMPUTE_PGM_RSRC2:TGID_Z_EN: 0
; COMPUTE_PGM_RSRC2:TIDIG_COMP_CNT: 0
	.section	.text._ZL22dequantize_block_iq1_mIfEvPKvPT_,"axG",@progbits,_ZL22dequantize_block_iq1_mIfEvPKvPT_,comdat
	.globl	_ZL22dequantize_block_iq1_mIfEvPKvPT_ ; -- Begin function _ZL22dequantize_block_iq1_mIfEvPKvPT_
	.p2align	8
	.type	_ZL22dequantize_block_iq1_mIfEvPKvPT_,@function
_ZL22dequantize_block_iq1_mIfEvPKvPT_:  ; @_ZL22dequantize_block_iq1_mIfEvPKvPT_
; %bb.0:
	s_load_dwordx4 s[0:3], s[4:5], 0x0
	s_mov_b32 s7, 0
	s_lshl_b64 s[4:5], s[6:7], 10
	v_and_b32_e32 v5, 7, v0
	v_lshlrev_b32_e32 v2, 2, v5
	s_waitcnt lgkmcnt(0)
	s_add_u32 s2, s2, s4
	s_addc_u32 s3, s3, s5
	s_mul_i32 s5, s6, 56
	s_mul_hi_u32 s4, s6, 56
	s_add_u32 s0, s0, s5
	s_addc_u32 s1, s1, s4
	v_mov_b32_e32 v7, s1
	v_add_co_u32_e32 v2, vcc, s0, v2
	v_lshrrev_b32_e32 v1, 3, v0
	v_addc_co_u32_e32 v7, vcc, 0, v7, vcc
	v_add_co_u32_e32 v1, vcc, v2, v1
	v_lshlrev_b32_e32 v3, 1, v5
	v_lshrrev_b32_e32 v4, 4, v0
	v_addc_co_u32_e32 v2, vcc, 0, v7, vcc
	v_add_u32_e32 v6, v3, v4
	global_load_ubyte v7, v[1:2], off
	global_load_ubyte v8, v6, s[0:1] offset:32
	v_mov_b32_e32 v1, 0
	v_add_u16_e32 v3, v3, v4
	global_load_dwordx2 v[1:2], v1, s[0:1] offset:48
	v_lshrrev_b16_e32 v3, 1, v3
	v_and_b32_e32 v3, 62, v3
	v_mov_b32_e32 v4, s1
	v_add_co_u32_e32 v3, vcc, s0, v3
	v_addc_co_u32_e32 v4, vcc, 0, v4, vcc
	global_load_ushort v3, v[3:4], off offset:48
	v_lshrrev_b32_e32 v4, 1, v0
	v_and_b32_e32 v4, 4, v4
	s_movk_i32 s4, 0x700
	s_getpc_b64 s[0:1]
	s_add_u32 s0, s0, _ZL13iq1s_grid_gpu@rel32@lo+4
	s_addc_u32 s1, s1, _ZL13iq1s_grid_gpu@rel32@hi+12
	v_lshlrev_b32_e32 v5, 7, v5
	v_add_co_u32_e32 v5, vcc, s2, v5
	v_and_b32_e32 v0, 0x3f8, v0
	v_and_b32_e32 v6, 3, v6
	v_lshlrev_b32_e32 v0, 2, v0
	v_mul_u32_u24_e32 v6, 3, v6
	v_mov_b32_e32 v10, 0xbf900000
	v_mov_b32_e32 v11, 0xbf600000
	s_waitcnt vmcnt(2)
	v_lshrrev_b32_e32 v4, v4, v8
	v_lshlrev_b32_e32 v8, 8, v4
	v_and_or_b32 v7, v8, s4, v7
	v_lshlrev_b32_e32 v7, 3, v7
	global_load_dword v7, v7, s[0:1]
	s_waitcnt vmcnt(2)
	v_readfirstlane_b32 s0, v1
	v_mov_b32_e32 v8, s3
	v_readfirstlane_b32 s1, v2
	s_bfe_u32 s3, s0, 0x4000c
	s_lshr_b32 s0, s0, 24
	s_lshr_b32 s2, s1, 16
	;; [unrolled: 1-line block ×3, first 2 shown]
	s_and_b32 s0, s0, 0xf0
	s_and_b32 s1, s1, 0xf00
	s_or_b32 s0, s0, s3
	s_and_b32 s2, s2, 0xf000
	s_or_b32 s0, s0, s1
	v_addc_co_u32_e32 v9, vcc, 0, v8, vcc
	s_or_b32 s0, s0, s2
	v_add_co_u32_e32 v8, vcc, v5, v0
	s_waitcnt vmcnt(1)
	v_lshrrev_b32_e32 v0, v6, v3
	v_cvt_f32_f16_e32 v2, s0
	v_lshlrev_b32_e32 v0, 1, v0
	v_addc_co_u32_e32 v9, vcc, 0, v9, vcc
	v_and_or_b32 v0, v0, 14, 1
	v_and_b32_e32 v1, 8, v4
	v_cvt_f32_ubyte0_e32 v0, v0
	v_cmp_eq_u32_e32 vcc, 0, v1
	v_cndmask_b32_e32 v1, v10, v11, vcc
	v_mul_f32_e32 v10, v2, v0
	s_waitcnt vmcnt(0)
	v_and_b32_e32 v0, 0xf000000, v7
	v_and_b32_e32 v2, 15, v7
	v_bfe_u32 v3, v7, 8, 4
	v_bfe_u32 v4, v7, 16, 4
	;; [unrolled: 1-line block ×5, first 2 shown]
	v_lshrrev_b32_e32 v7, 28, v7
	v_cvt_f32_ubyte0_e32 v2, v2
	v_cvt_f32_ubyte0_e32 v3, v3
	;; [unrolled: 1-line block ×3, first 2 shown]
	v_cvt_f32_ubyte3_e32 v0, v0
	v_cvt_f32_ubyte0_e32 v5, v5
	v_cvt_f32_ubyte0_e32 v6, v6
	;; [unrolled: 1-line block ×4, first 2 shown]
	v_add_f32_e32 v2, v1, v2
	v_add_f32_e32 v3, v1, v3
	v_add_f32_e32 v4, v1, v4
	v_add_f32_e32 v12, v1, v0
	v_add_f32_e32 v5, v1, v5
	v_add_f32_e32 v6, v1, v6
	v_add_f32_e32 v11, v1, v11
	v_add_f32_e32 v7, v1, v7
	v_mul_f32_e32 v0, v10, v2
	v_mul_f32_e32 v1, v10, v3
	;; [unrolled: 1-line block ×8, first 2 shown]
	global_store_dwordx4 v[8:9], v[0:3], off
	global_store_dwordx4 v[8:9], v[4:7], off offset:16
	s_endpgm
	.section	.rodata,"a",@progbits
	.p2align	6, 0x0
	.amdhsa_kernel _ZL22dequantize_block_iq1_mIfEvPKvPT_
		.amdhsa_group_segment_fixed_size 0
		.amdhsa_private_segment_fixed_size 0
		.amdhsa_kernarg_size 16
		.amdhsa_user_sgpr_count 6
		.amdhsa_user_sgpr_private_segment_buffer 1
		.amdhsa_user_sgpr_dispatch_ptr 0
		.amdhsa_user_sgpr_queue_ptr 0
		.amdhsa_user_sgpr_kernarg_segment_ptr 1
		.amdhsa_user_sgpr_dispatch_id 0
		.amdhsa_user_sgpr_flat_scratch_init 0
		.amdhsa_user_sgpr_private_segment_size 0
		.amdhsa_uses_dynamic_stack 0
		.amdhsa_system_sgpr_private_segment_wavefront_offset 0
		.amdhsa_system_sgpr_workgroup_id_x 1
		.amdhsa_system_sgpr_workgroup_id_y 0
		.amdhsa_system_sgpr_workgroup_id_z 0
		.amdhsa_system_sgpr_workgroup_info 0
		.amdhsa_system_vgpr_workitem_id 0
		.amdhsa_next_free_vgpr 13
		.amdhsa_next_free_sgpr 8
		.amdhsa_reserve_vcc 1
		.amdhsa_reserve_flat_scratch 0
		.amdhsa_float_round_mode_32 0
		.amdhsa_float_round_mode_16_64 0
		.amdhsa_float_denorm_mode_32 3
		.amdhsa_float_denorm_mode_16_64 3
		.amdhsa_dx10_clamp 1
		.amdhsa_ieee_mode 1
		.amdhsa_fp16_overflow 0
		.amdhsa_exception_fp_ieee_invalid_op 0
		.amdhsa_exception_fp_denorm_src 0
		.amdhsa_exception_fp_ieee_div_zero 0
		.amdhsa_exception_fp_ieee_overflow 0
		.amdhsa_exception_fp_ieee_underflow 0
		.amdhsa_exception_fp_ieee_inexact 0
		.amdhsa_exception_int_div_zero 0
	.end_amdhsa_kernel
	.section	.text._ZL22dequantize_block_iq1_mIfEvPKvPT_,"axG",@progbits,_ZL22dequantize_block_iq1_mIfEvPKvPT_,comdat
.Lfunc_end18:
	.size	_ZL22dequantize_block_iq1_mIfEvPKvPT_, .Lfunc_end18-_ZL22dequantize_block_iq1_mIfEvPKvPT_
                                        ; -- End function
	.set _ZL22dequantize_block_iq1_mIfEvPKvPT_.num_vgpr, 13
	.set _ZL22dequantize_block_iq1_mIfEvPKvPT_.num_agpr, 0
	.set _ZL22dequantize_block_iq1_mIfEvPKvPT_.numbered_sgpr, 8
	.set _ZL22dequantize_block_iq1_mIfEvPKvPT_.num_named_barrier, 0
	.set _ZL22dequantize_block_iq1_mIfEvPKvPT_.private_seg_size, 0
	.set _ZL22dequantize_block_iq1_mIfEvPKvPT_.uses_vcc, 1
	.set _ZL22dequantize_block_iq1_mIfEvPKvPT_.uses_flat_scratch, 0
	.set _ZL22dequantize_block_iq1_mIfEvPKvPT_.has_dyn_sized_stack, 0
	.set _ZL22dequantize_block_iq1_mIfEvPKvPT_.has_recursion, 0
	.set _ZL22dequantize_block_iq1_mIfEvPKvPT_.has_indirect_call, 0
	.section	.AMDGPU.csdata,"",@progbits
; Kernel info:
; codeLenInByte = 560
; TotalNumSgprs: 12
; NumVgprs: 13
; ScratchSize: 0
; MemoryBound: 0
; FloatMode: 240
; IeeeMode: 1
; LDSByteSize: 0 bytes/workgroup (compile time only)
; SGPRBlocks: 1
; VGPRBlocks: 3
; NumSGPRsForWavesPerEU: 12
; NumVGPRsForWavesPerEU: 13
; Occupancy: 10
; WaveLimiterHint : 0
; COMPUTE_PGM_RSRC2:SCRATCH_EN: 0
; COMPUTE_PGM_RSRC2:USER_SGPR: 6
; COMPUTE_PGM_RSRC2:TRAP_HANDLER: 0
; COMPUTE_PGM_RSRC2:TGID_X_EN: 1
; COMPUTE_PGM_RSRC2:TGID_Y_EN: 0
; COMPUTE_PGM_RSRC2:TGID_Z_EN: 0
; COMPUTE_PGM_RSRC2:TIDIG_COMP_CNT: 0
	.section	.text._ZL16dequantize_blockILi32ELi2EXadL_ZL15dequantize_q4_0PKviiR7__half2EEN3c104HalfEEvS1_PT2_i,"axG",@progbits,_ZL16dequantize_blockILi32ELi2EXadL_ZL15dequantize_q4_0PKviiR7__half2EEN3c104HalfEEvS1_PT2_i,comdat
	.globl	_ZL16dequantize_blockILi32ELi2EXadL_ZL15dequantize_q4_0PKviiR7__half2EEN3c104HalfEEvS1_PT2_i ; -- Begin function _ZL16dequantize_blockILi32ELi2EXadL_ZL15dequantize_q4_0PKviiR7__half2EEN3c104HalfEEvS1_PT2_i
	.p2align	8
	.type	_ZL16dequantize_blockILi32ELi2EXadL_ZL15dequantize_q4_0PKviiR7__half2EEN3c104HalfEEvS1_PT2_i,@function
_ZL16dequantize_blockILi32ELi2EXadL_ZL15dequantize_q4_0PKviiR7__half2EEN3c104HalfEEvS1_PT2_i: ; @_ZL16dequantize_blockILi32ELi2EXadL_ZL15dequantize_q4_0PKviiR7__half2EEN3c104HalfEEvS1_PT2_i
; %bb.0:
	s_load_dword s0, s[4:5], 0x24
	s_load_dword s1, s[4:5], 0x10
	s_waitcnt lgkmcnt(0)
	s_and_b32 s0, s0, 0xffff
	s_mul_i32 s6, s6, s0
	v_add_lshl_u32 v0, s6, v0, 1
	v_cmp_gt_i32_e32 vcc, s1, v0
	s_and_saveexec_b64 s[0:1], vcc
	s_cbranch_execz .LBB19_2
; %bb.1:
	s_load_dwordx4 s[0:3], s[4:5], 0x0
	v_ashrrev_i32_e32 v1, 31, v0
	v_lshrrev_b32_e32 v1, 27, v1
	v_add_u32_e32 v1, v0, v1
	v_ashrrev_i32_e32 v2, 5, v1
	v_and_b32_e32 v4, 0xffffffe0, v1
	v_sub_u32_e32 v3, v0, v4
	s_waitcnt lgkmcnt(0)
	v_mad_i64_i32 v[0:1], s[0:1], v2, 18, s[0:1]
	v_ashrrev_i32_e32 v5, 1, v3
	v_ashrrev_i32_e32 v3, 31, v5
	v_add_co_u32_e32 v2, vcc, v0, v5
	v_addc_co_u32_e32 v3, vcc, v1, v3, vcc
	global_load_ubyte v6, v[2:3], off offset:2
	global_load_ushort v7, v[0:1], off
	v_add_u32_e32 v0, v4, v5
	v_ashrrev_i32_e32 v1, 31, v0
	v_lshlrev_b64 v[0:1], 1, v[0:1]
	s_mov_b32 s0, 0xc800
	v_mov_b32_e32 v2, s3
	v_add_co_u32_e32 v0, vcc, s2, v0
	v_addc_co_u32_e32 v1, vcc, v2, v1, vcc
	s_waitcnt vmcnt(1)
	v_and_b32_e32 v3, 15, v6
	v_lshrrev_b32_e32 v4, 4, v6
	v_cvt_f32_ubyte0_e32 v3, v3
	v_cvt_f32_ubyte0_e32 v4, v4
	v_cvt_f16_f32_e32 v3, v3
	v_cvt_f16_f32_e32 v4, v4
	s_waitcnt vmcnt(0)
	v_lshl_or_b32 v2, v7, 16, v7
	v_pack_b32_f16 v3, v3, v4
	v_pk_add_f16 v3, v3, s0 op_sel_hi:[1,0]
	v_pk_mul_f16 v2, v3, v2
	global_store_short v[0:1], v2, off
	global_store_short_d16_hi v[0:1], v2, off offset:32
.LBB19_2:
	s_endpgm
	.section	.rodata,"a",@progbits
	.p2align	6, 0x0
	.amdhsa_kernel _ZL16dequantize_blockILi32ELi2EXadL_ZL15dequantize_q4_0PKviiR7__half2EEN3c104HalfEEvS1_PT2_i
		.amdhsa_group_segment_fixed_size 0
		.amdhsa_private_segment_fixed_size 0
		.amdhsa_kernarg_size 280
		.amdhsa_user_sgpr_count 6
		.amdhsa_user_sgpr_private_segment_buffer 1
		.amdhsa_user_sgpr_dispatch_ptr 0
		.amdhsa_user_sgpr_queue_ptr 0
		.amdhsa_user_sgpr_kernarg_segment_ptr 1
		.amdhsa_user_sgpr_dispatch_id 0
		.amdhsa_user_sgpr_flat_scratch_init 0
		.amdhsa_user_sgpr_private_segment_size 0
		.amdhsa_uses_dynamic_stack 0
		.amdhsa_system_sgpr_private_segment_wavefront_offset 0
		.amdhsa_system_sgpr_workgroup_id_x 1
		.amdhsa_system_sgpr_workgroup_id_y 0
		.amdhsa_system_sgpr_workgroup_id_z 0
		.amdhsa_system_sgpr_workgroup_info 0
		.amdhsa_system_vgpr_workitem_id 0
		.amdhsa_next_free_vgpr 8
		.amdhsa_next_free_sgpr 7
		.amdhsa_reserve_vcc 1
		.amdhsa_reserve_flat_scratch 0
		.amdhsa_float_round_mode_32 0
		.amdhsa_float_round_mode_16_64 0
		.amdhsa_float_denorm_mode_32 3
		.amdhsa_float_denorm_mode_16_64 3
		.amdhsa_dx10_clamp 1
		.amdhsa_ieee_mode 1
		.amdhsa_fp16_overflow 0
		.amdhsa_exception_fp_ieee_invalid_op 0
		.amdhsa_exception_fp_denorm_src 0
		.amdhsa_exception_fp_ieee_div_zero 0
		.amdhsa_exception_fp_ieee_overflow 0
		.amdhsa_exception_fp_ieee_underflow 0
		.amdhsa_exception_fp_ieee_inexact 0
		.amdhsa_exception_int_div_zero 0
	.end_amdhsa_kernel
	.section	.text._ZL16dequantize_blockILi32ELi2EXadL_ZL15dequantize_q4_0PKviiR7__half2EEN3c104HalfEEvS1_PT2_i,"axG",@progbits,_ZL16dequantize_blockILi32ELi2EXadL_ZL15dequantize_q4_0PKviiR7__half2EEN3c104HalfEEvS1_PT2_i,comdat
.Lfunc_end19:
	.size	_ZL16dequantize_blockILi32ELi2EXadL_ZL15dequantize_q4_0PKviiR7__half2EEN3c104HalfEEvS1_PT2_i, .Lfunc_end19-_ZL16dequantize_blockILi32ELi2EXadL_ZL15dequantize_q4_0PKviiR7__half2EEN3c104HalfEEvS1_PT2_i
                                        ; -- End function
	.set _ZL16dequantize_blockILi32ELi2EXadL_ZL15dequantize_q4_0PKviiR7__half2EEN3c104HalfEEvS1_PT2_i.num_vgpr, 8
	.set _ZL16dequantize_blockILi32ELi2EXadL_ZL15dequantize_q4_0PKviiR7__half2EEN3c104HalfEEvS1_PT2_i.num_agpr, 0
	.set _ZL16dequantize_blockILi32ELi2EXadL_ZL15dequantize_q4_0PKviiR7__half2EEN3c104HalfEEvS1_PT2_i.numbered_sgpr, 7
	.set _ZL16dequantize_blockILi32ELi2EXadL_ZL15dequantize_q4_0PKviiR7__half2EEN3c104HalfEEvS1_PT2_i.num_named_barrier, 0
	.set _ZL16dequantize_blockILi32ELi2EXadL_ZL15dequantize_q4_0PKviiR7__half2EEN3c104HalfEEvS1_PT2_i.private_seg_size, 0
	.set _ZL16dequantize_blockILi32ELi2EXadL_ZL15dequantize_q4_0PKviiR7__half2EEN3c104HalfEEvS1_PT2_i.uses_vcc, 1
	.set _ZL16dequantize_blockILi32ELi2EXadL_ZL15dequantize_q4_0PKviiR7__half2EEN3c104HalfEEvS1_PT2_i.uses_flat_scratch, 0
	.set _ZL16dequantize_blockILi32ELi2EXadL_ZL15dequantize_q4_0PKviiR7__half2EEN3c104HalfEEvS1_PT2_i.has_dyn_sized_stack, 0
	.set _ZL16dequantize_blockILi32ELi2EXadL_ZL15dequantize_q4_0PKviiR7__half2EEN3c104HalfEEvS1_PT2_i.has_recursion, 0
	.set _ZL16dequantize_blockILi32ELi2EXadL_ZL15dequantize_q4_0PKviiR7__half2EEN3c104HalfEEvS1_PT2_i.has_indirect_call, 0
	.section	.AMDGPU.csdata,"",@progbits
; Kernel info:
; codeLenInByte = 252
; TotalNumSgprs: 11
; NumVgprs: 8
; ScratchSize: 0
; MemoryBound: 0
; FloatMode: 240
; IeeeMode: 1
; LDSByteSize: 0 bytes/workgroup (compile time only)
; SGPRBlocks: 1
; VGPRBlocks: 1
; NumSGPRsForWavesPerEU: 11
; NumVGPRsForWavesPerEU: 8
; Occupancy: 10
; WaveLimiterHint : 0
; COMPUTE_PGM_RSRC2:SCRATCH_EN: 0
; COMPUTE_PGM_RSRC2:USER_SGPR: 6
; COMPUTE_PGM_RSRC2:TRAP_HANDLER: 0
; COMPUTE_PGM_RSRC2:TGID_X_EN: 1
; COMPUTE_PGM_RSRC2:TGID_Y_EN: 0
; COMPUTE_PGM_RSRC2:TGID_Z_EN: 0
; COMPUTE_PGM_RSRC2:TIDIG_COMP_CNT: 0
	.section	.text._ZL16dequantize_blockILi32ELi2EXadL_ZL15dequantize_q4_1PKviiR7__half2EEN3c104HalfEEvS1_PT2_i,"axG",@progbits,_ZL16dequantize_blockILi32ELi2EXadL_ZL15dequantize_q4_1PKviiR7__half2EEN3c104HalfEEvS1_PT2_i,comdat
	.globl	_ZL16dequantize_blockILi32ELi2EXadL_ZL15dequantize_q4_1PKviiR7__half2EEN3c104HalfEEvS1_PT2_i ; -- Begin function _ZL16dequantize_blockILi32ELi2EXadL_ZL15dequantize_q4_1PKviiR7__half2EEN3c104HalfEEvS1_PT2_i
	.p2align	8
	.type	_ZL16dequantize_blockILi32ELi2EXadL_ZL15dequantize_q4_1PKviiR7__half2EEN3c104HalfEEvS1_PT2_i,@function
_ZL16dequantize_blockILi32ELi2EXadL_ZL15dequantize_q4_1PKviiR7__half2EEN3c104HalfEEvS1_PT2_i: ; @_ZL16dequantize_blockILi32ELi2EXadL_ZL15dequantize_q4_1PKviiR7__half2EEN3c104HalfEEvS1_PT2_i
; %bb.0:
	s_load_dword s0, s[4:5], 0x24
	s_load_dword s1, s[4:5], 0x10
	s_waitcnt lgkmcnt(0)
	s_and_b32 s0, s0, 0xffff
	s_mul_i32 s6, s6, s0
	v_add_lshl_u32 v0, s6, v0, 1
	v_cmp_gt_i32_e32 vcc, s1, v0
	s_and_saveexec_b64 s[0:1], vcc
	s_cbranch_execz .LBB20_2
; %bb.1:
	s_load_dwordx4 s[0:3], s[4:5], 0x0
	v_ashrrev_i32_e32 v1, 31, v0
	v_lshrrev_b32_e32 v1, 27, v1
	v_add_u32_e32 v1, v0, v1
	v_ashrrev_i32_e32 v2, 5, v1
	v_and_b32_e32 v4, 0xffffffe0, v1
	v_sub_u32_e32 v3, v0, v4
	s_waitcnt lgkmcnt(0)
	v_mad_i64_i32 v[0:1], s[0:1], v2, 20, s[0:1]
	v_ashrrev_i32_e32 v5, 1, v3
	v_ashrrev_i32_e32 v3, 31, v5
	v_add_co_u32_e32 v2, vcc, v0, v5
	v_addc_co_u32_e32 v3, vcc, v1, v3, vcc
	global_load_ubyte v6, v[2:3], off offset:4
	global_load_dword v7, v[0:1], off
	v_add_u32_e32 v0, v4, v5
	v_ashrrev_i32_e32 v1, 31, v0
	v_lshlrev_b64 v[0:1], 1, v[0:1]
	v_mov_b32_e32 v2, s3
	v_add_co_u32_e32 v0, vcc, s2, v0
	v_addc_co_u32_e32 v1, vcc, v2, v1, vcc
	s_mov_b32 s0, 0x10001
	s_mov_b32 s1, 0xffff0000
	s_waitcnt vmcnt(1)
	v_and_b32_e32 v2, 15, v6
	v_lshrrev_b32_e32 v3, 4, v6
	v_cvt_f32_ubyte0_e32 v2, v2
	v_cvt_f32_ubyte0_e32 v3, v3
	v_cvt_f16_f32_e32 v2, v2
	v_cvt_f16_f32_e32 v3, v3
	s_waitcnt vmcnt(0)
	v_lshrrev_b32_e32 v4, 16, v7
	v_mul_u32_u24_sdwa v5, v7, s0 dst_sel:DWORD dst_unused:UNUSED_PAD src0_sel:WORD_0 src1_sel:DWORD
	v_and_or_b32 v4, v7, s1, v4
	v_pack_b32_f16 v2, v2, v3
	v_pk_fma_f16 v2, v2, v5, v4
	global_store_short v[0:1], v2, off
	global_store_short_d16_hi v[0:1], v2, off offset:32
.LBB20_2:
	s_endpgm
	.section	.rodata,"a",@progbits
	.p2align	6, 0x0
	.amdhsa_kernel _ZL16dequantize_blockILi32ELi2EXadL_ZL15dequantize_q4_1PKviiR7__half2EEN3c104HalfEEvS1_PT2_i
		.amdhsa_group_segment_fixed_size 0
		.amdhsa_private_segment_fixed_size 0
		.amdhsa_kernarg_size 280
		.amdhsa_user_sgpr_count 6
		.amdhsa_user_sgpr_private_segment_buffer 1
		.amdhsa_user_sgpr_dispatch_ptr 0
		.amdhsa_user_sgpr_queue_ptr 0
		.amdhsa_user_sgpr_kernarg_segment_ptr 1
		.amdhsa_user_sgpr_dispatch_id 0
		.amdhsa_user_sgpr_flat_scratch_init 0
		.amdhsa_user_sgpr_private_segment_size 0
		.amdhsa_uses_dynamic_stack 0
		.amdhsa_system_sgpr_private_segment_wavefront_offset 0
		.amdhsa_system_sgpr_workgroup_id_x 1
		.amdhsa_system_sgpr_workgroup_id_y 0
		.amdhsa_system_sgpr_workgroup_id_z 0
		.amdhsa_system_sgpr_workgroup_info 0
		.amdhsa_system_vgpr_workitem_id 0
		.amdhsa_next_free_vgpr 8
		.amdhsa_next_free_sgpr 7
		.amdhsa_reserve_vcc 1
		.amdhsa_reserve_flat_scratch 0
		.amdhsa_float_round_mode_32 0
		.amdhsa_float_round_mode_16_64 0
		.amdhsa_float_denorm_mode_32 3
		.amdhsa_float_denorm_mode_16_64 3
		.amdhsa_dx10_clamp 1
		.amdhsa_ieee_mode 1
		.amdhsa_fp16_overflow 0
		.amdhsa_exception_fp_ieee_invalid_op 0
		.amdhsa_exception_fp_denorm_src 0
		.amdhsa_exception_fp_ieee_div_zero 0
		.amdhsa_exception_fp_ieee_overflow 0
		.amdhsa_exception_fp_ieee_underflow 0
		.amdhsa_exception_fp_ieee_inexact 0
		.amdhsa_exception_int_div_zero 0
	.end_amdhsa_kernel
	.section	.text._ZL16dequantize_blockILi32ELi2EXadL_ZL15dequantize_q4_1PKviiR7__half2EEN3c104HalfEEvS1_PT2_i,"axG",@progbits,_ZL16dequantize_blockILi32ELi2EXadL_ZL15dequantize_q4_1PKviiR7__half2EEN3c104HalfEEvS1_PT2_i,comdat
.Lfunc_end20:
	.size	_ZL16dequantize_blockILi32ELi2EXadL_ZL15dequantize_q4_1PKviiR7__half2EEN3c104HalfEEvS1_PT2_i, .Lfunc_end20-_ZL16dequantize_blockILi32ELi2EXadL_ZL15dequantize_q4_1PKviiR7__half2EEN3c104HalfEEvS1_PT2_i
                                        ; -- End function
	.set _ZL16dequantize_blockILi32ELi2EXadL_ZL15dequantize_q4_1PKviiR7__half2EEN3c104HalfEEvS1_PT2_i.num_vgpr, 8
	.set _ZL16dequantize_blockILi32ELi2EXadL_ZL15dequantize_q4_1PKviiR7__half2EEN3c104HalfEEvS1_PT2_i.num_agpr, 0
	.set _ZL16dequantize_blockILi32ELi2EXadL_ZL15dequantize_q4_1PKviiR7__half2EEN3c104HalfEEvS1_PT2_i.numbered_sgpr, 7
	.set _ZL16dequantize_blockILi32ELi2EXadL_ZL15dequantize_q4_1PKviiR7__half2EEN3c104HalfEEvS1_PT2_i.num_named_barrier, 0
	.set _ZL16dequantize_blockILi32ELi2EXadL_ZL15dequantize_q4_1PKviiR7__half2EEN3c104HalfEEvS1_PT2_i.private_seg_size, 0
	.set _ZL16dequantize_blockILi32ELi2EXadL_ZL15dequantize_q4_1PKviiR7__half2EEN3c104HalfEEvS1_PT2_i.uses_vcc, 1
	.set _ZL16dequantize_blockILi32ELi2EXadL_ZL15dequantize_q4_1PKviiR7__half2EEN3c104HalfEEvS1_PT2_i.uses_flat_scratch, 0
	.set _ZL16dequantize_blockILi32ELi2EXadL_ZL15dequantize_q4_1PKviiR7__half2EEN3c104HalfEEvS1_PT2_i.has_dyn_sized_stack, 0
	.set _ZL16dequantize_blockILi32ELi2EXadL_ZL15dequantize_q4_1PKviiR7__half2EEN3c104HalfEEvS1_PT2_i.has_recursion, 0
	.set _ZL16dequantize_blockILi32ELi2EXadL_ZL15dequantize_q4_1PKviiR7__half2EEN3c104HalfEEvS1_PT2_i.has_indirect_call, 0
	.section	.AMDGPU.csdata,"",@progbits
; Kernel info:
; codeLenInByte = 264
; TotalNumSgprs: 11
; NumVgprs: 8
; ScratchSize: 0
; MemoryBound: 0
; FloatMode: 240
; IeeeMode: 1
; LDSByteSize: 0 bytes/workgroup (compile time only)
; SGPRBlocks: 1
; VGPRBlocks: 1
; NumSGPRsForWavesPerEU: 11
; NumVGPRsForWavesPerEU: 8
; Occupancy: 10
; WaveLimiterHint : 0
; COMPUTE_PGM_RSRC2:SCRATCH_EN: 0
; COMPUTE_PGM_RSRC2:USER_SGPR: 6
; COMPUTE_PGM_RSRC2:TRAP_HANDLER: 0
; COMPUTE_PGM_RSRC2:TGID_X_EN: 1
; COMPUTE_PGM_RSRC2:TGID_Y_EN: 0
; COMPUTE_PGM_RSRC2:TGID_Z_EN: 0
; COMPUTE_PGM_RSRC2:TIDIG_COMP_CNT: 0
	.section	.text._ZL16dequantize_blockILi32ELi2EXadL_ZL15dequantize_q5_0PKviiR7__half2EEN3c104HalfEEvS1_PT2_i,"axG",@progbits,_ZL16dequantize_blockILi32ELi2EXadL_ZL15dequantize_q5_0PKviiR7__half2EEN3c104HalfEEvS1_PT2_i,comdat
	.globl	_ZL16dequantize_blockILi32ELi2EXadL_ZL15dequantize_q5_0PKviiR7__half2EEN3c104HalfEEvS1_PT2_i ; -- Begin function _ZL16dequantize_blockILi32ELi2EXadL_ZL15dequantize_q5_0PKviiR7__half2EEN3c104HalfEEvS1_PT2_i
	.p2align	8
	.type	_ZL16dequantize_blockILi32ELi2EXadL_ZL15dequantize_q5_0PKviiR7__half2EEN3c104HalfEEvS1_PT2_i,@function
_ZL16dequantize_blockILi32ELi2EXadL_ZL15dequantize_q5_0PKviiR7__half2EEN3c104HalfEEvS1_PT2_i: ; @_ZL16dequantize_blockILi32ELi2EXadL_ZL15dequantize_q5_0PKviiR7__half2EEN3c104HalfEEvS1_PT2_i
; %bb.0:
	s_load_dword s0, s[4:5], 0x24
	s_load_dword s1, s[4:5], 0x10
	s_waitcnt lgkmcnt(0)
	s_and_b32 s0, s0, 0xffff
	s_mul_i32 s6, s6, s0
	v_add_lshl_u32 v0, s6, v0, 1
	v_cmp_gt_i32_e32 vcc, s1, v0
	s_and_saveexec_b64 s[0:1], vcc
	s_cbranch_execz .LBB21_2
; %bb.1:
	s_load_dwordx4 s[0:3], s[4:5], 0x0
	v_ashrrev_i32_e32 v1, 31, v0
	v_lshrrev_b32_e32 v1, 27, v1
	v_add_u32_e32 v3, v0, v1
	v_ashrrev_i32_e32 v1, 5, v3
	s_waitcnt lgkmcnt(0)
	v_mad_i64_i32 v[1:2], s[0:1], v1, 22, s[0:1]
	v_and_b32_e32 v3, 0xffffffe0, v3
	v_sub_u32_e32 v0, v0, v3
	v_ashrrev_i32_e32 v4, 1, v0
	global_load_dword v5, v[1:2], off
	global_load_ushort v6, v[1:2], off offset:4
	v_ashrrev_i32_e32 v7, 31, v4
	v_add_co_u32_e32 v0, vcc, v1, v4
	v_addc_co_u32_e32 v1, vcc, v2, v7, vcc
	global_load_ubyte v2, v[0:1], off offset:6
	s_mov_b32 s0, 0x1000706
	v_add_u32_e32 v0, v3, v4
	v_add_u32_e32 v8, 12, v4
	v_ashrrev_i32_e32 v1, 31, v0
	v_lshlrev_b64 v[0:1], 1, v[0:1]
	s_mov_b32 s1, 0xcc00
	v_mov_b32_e32 v7, s3
	v_add_co_u32_e32 v0, vcc, s2, v0
	v_addc_co_u32_e32 v1, vcc, v7, v1, vcc
	s_waitcnt vmcnt(1)
	v_perm_b32 v3, v5, v6, s0
	v_lshrrev_b32_e32 v4, v4, v3
	v_lshrrev_b32_e32 v3, v8, v3
	v_lshlrev_b32_e32 v4, 4, v4
	s_waitcnt vmcnt(0)
	v_and_b32_e32 v6, 15, v2
	v_lshrrev_b16_e32 v2, 4, v2
	v_and_or_b32 v2, v3, 16, v2
	v_and_or_b32 v3, v4, 16, v6
	v_cvt_f32_ubyte0_e32 v2, v2
	v_cvt_f32_ubyte0_e32 v3, v3
	v_cvt_f16_f32_e32 v2, v2
	v_cvt_f16_f32_e32 v3, v3
	v_and_b32_e32 v4, 0xffff, v5
	v_lshl_or_b32 v4, v5, 16, v4
	v_pack_b32_f16 v2, v3, v2
	v_pk_add_f16 v2, v2, s1 op_sel_hi:[1,0]
	v_pk_mul_f16 v2, v2, v4
	global_store_short v[0:1], v2, off
	global_store_short_d16_hi v[0:1], v2, off offset:32
.LBB21_2:
	s_endpgm
	.section	.rodata,"a",@progbits
	.p2align	6, 0x0
	.amdhsa_kernel _ZL16dequantize_blockILi32ELi2EXadL_ZL15dequantize_q5_0PKviiR7__half2EEN3c104HalfEEvS1_PT2_i
		.amdhsa_group_segment_fixed_size 0
		.amdhsa_private_segment_fixed_size 0
		.amdhsa_kernarg_size 280
		.amdhsa_user_sgpr_count 6
		.amdhsa_user_sgpr_private_segment_buffer 1
		.amdhsa_user_sgpr_dispatch_ptr 0
		.amdhsa_user_sgpr_queue_ptr 0
		.amdhsa_user_sgpr_kernarg_segment_ptr 1
		.amdhsa_user_sgpr_dispatch_id 0
		.amdhsa_user_sgpr_flat_scratch_init 0
		.amdhsa_user_sgpr_private_segment_size 0
		.amdhsa_uses_dynamic_stack 0
		.amdhsa_system_sgpr_private_segment_wavefront_offset 0
		.amdhsa_system_sgpr_workgroup_id_x 1
		.amdhsa_system_sgpr_workgroup_id_y 0
		.amdhsa_system_sgpr_workgroup_id_z 0
		.amdhsa_system_sgpr_workgroup_info 0
		.amdhsa_system_vgpr_workitem_id 0
		.amdhsa_next_free_vgpr 9
		.amdhsa_next_free_sgpr 7
		.amdhsa_reserve_vcc 1
		.amdhsa_reserve_flat_scratch 0
		.amdhsa_float_round_mode_32 0
		.amdhsa_float_round_mode_16_64 0
		.amdhsa_float_denorm_mode_32 3
		.amdhsa_float_denorm_mode_16_64 3
		.amdhsa_dx10_clamp 1
		.amdhsa_ieee_mode 1
		.amdhsa_fp16_overflow 0
		.amdhsa_exception_fp_ieee_invalid_op 0
		.amdhsa_exception_fp_denorm_src 0
		.amdhsa_exception_fp_ieee_div_zero 0
		.amdhsa_exception_fp_ieee_overflow 0
		.amdhsa_exception_fp_ieee_underflow 0
		.amdhsa_exception_fp_ieee_inexact 0
		.amdhsa_exception_int_div_zero 0
	.end_amdhsa_kernel
	.section	.text._ZL16dequantize_blockILi32ELi2EXadL_ZL15dequantize_q5_0PKviiR7__half2EEN3c104HalfEEvS1_PT2_i,"axG",@progbits,_ZL16dequantize_blockILi32ELi2EXadL_ZL15dequantize_q5_0PKviiR7__half2EEN3c104HalfEEvS1_PT2_i,comdat
.Lfunc_end21:
	.size	_ZL16dequantize_blockILi32ELi2EXadL_ZL15dequantize_q5_0PKviiR7__half2EEN3c104HalfEEvS1_PT2_i, .Lfunc_end21-_ZL16dequantize_blockILi32ELi2EXadL_ZL15dequantize_q5_0PKviiR7__half2EEN3c104HalfEEvS1_PT2_i
                                        ; -- End function
	.set _ZL16dequantize_blockILi32ELi2EXadL_ZL15dequantize_q5_0PKviiR7__half2EEN3c104HalfEEvS1_PT2_i.num_vgpr, 9
	.set _ZL16dequantize_blockILi32ELi2EXadL_ZL15dequantize_q5_0PKviiR7__half2EEN3c104HalfEEvS1_PT2_i.num_agpr, 0
	.set _ZL16dequantize_blockILi32ELi2EXadL_ZL15dequantize_q5_0PKviiR7__half2EEN3c104HalfEEvS1_PT2_i.numbered_sgpr, 7
	.set _ZL16dequantize_blockILi32ELi2EXadL_ZL15dequantize_q5_0PKviiR7__half2EEN3c104HalfEEvS1_PT2_i.num_named_barrier, 0
	.set _ZL16dequantize_blockILi32ELi2EXadL_ZL15dequantize_q5_0PKviiR7__half2EEN3c104HalfEEvS1_PT2_i.private_seg_size, 0
	.set _ZL16dequantize_blockILi32ELi2EXadL_ZL15dequantize_q5_0PKviiR7__half2EEN3c104HalfEEvS1_PT2_i.uses_vcc, 1
	.set _ZL16dequantize_blockILi32ELi2EXadL_ZL15dequantize_q5_0PKviiR7__half2EEN3c104HalfEEvS1_PT2_i.uses_flat_scratch, 0
	.set _ZL16dequantize_blockILi32ELi2EXadL_ZL15dequantize_q5_0PKviiR7__half2EEN3c104HalfEEvS1_PT2_i.has_dyn_sized_stack, 0
	.set _ZL16dequantize_blockILi32ELi2EXadL_ZL15dequantize_q5_0PKviiR7__half2EEN3c104HalfEEvS1_PT2_i.has_recursion, 0
	.set _ZL16dequantize_blockILi32ELi2EXadL_ZL15dequantize_q5_0PKviiR7__half2EEN3c104HalfEEvS1_PT2_i.has_indirect_call, 0
	.section	.AMDGPU.csdata,"",@progbits
; Kernel info:
; codeLenInByte = 316
; TotalNumSgprs: 11
; NumVgprs: 9
; ScratchSize: 0
; MemoryBound: 0
; FloatMode: 240
; IeeeMode: 1
; LDSByteSize: 0 bytes/workgroup (compile time only)
; SGPRBlocks: 1
; VGPRBlocks: 2
; NumSGPRsForWavesPerEU: 11
; NumVGPRsForWavesPerEU: 9
; Occupancy: 10
; WaveLimiterHint : 0
; COMPUTE_PGM_RSRC2:SCRATCH_EN: 0
; COMPUTE_PGM_RSRC2:USER_SGPR: 6
; COMPUTE_PGM_RSRC2:TRAP_HANDLER: 0
; COMPUTE_PGM_RSRC2:TGID_X_EN: 1
; COMPUTE_PGM_RSRC2:TGID_Y_EN: 0
; COMPUTE_PGM_RSRC2:TGID_Z_EN: 0
; COMPUTE_PGM_RSRC2:TIDIG_COMP_CNT: 0
	.section	.text._ZL16dequantize_blockILi32ELi2EXadL_ZL15dequantize_q5_1PKviiR7__half2EEN3c104HalfEEvS1_PT2_i,"axG",@progbits,_ZL16dequantize_blockILi32ELi2EXadL_ZL15dequantize_q5_1PKviiR7__half2EEN3c104HalfEEvS1_PT2_i,comdat
	.globl	_ZL16dequantize_blockILi32ELi2EXadL_ZL15dequantize_q5_1PKviiR7__half2EEN3c104HalfEEvS1_PT2_i ; -- Begin function _ZL16dequantize_blockILi32ELi2EXadL_ZL15dequantize_q5_1PKviiR7__half2EEN3c104HalfEEvS1_PT2_i
	.p2align	8
	.type	_ZL16dequantize_blockILi32ELi2EXadL_ZL15dequantize_q5_1PKviiR7__half2EEN3c104HalfEEvS1_PT2_i,@function
_ZL16dequantize_blockILi32ELi2EXadL_ZL15dequantize_q5_1PKviiR7__half2EEN3c104HalfEEvS1_PT2_i: ; @_ZL16dequantize_blockILi32ELi2EXadL_ZL15dequantize_q5_1PKviiR7__half2EEN3c104HalfEEvS1_PT2_i
; %bb.0:
	s_load_dword s0, s[4:5], 0x24
	s_load_dword s1, s[4:5], 0x10
	s_waitcnt lgkmcnt(0)
	s_and_b32 s0, s0, 0xffff
	s_mul_i32 s6, s6, s0
	v_add_lshl_u32 v0, s6, v0, 1
	v_cmp_gt_i32_e32 vcc, s1, v0
	s_and_saveexec_b64 s[0:1], vcc
	s_cbranch_execz .LBB22_2
; %bb.1:
	s_load_dwordx4 s[0:3], s[4:5], 0x0
	v_ashrrev_i32_e32 v1, 31, v0
	v_lshrrev_b32_e32 v1, 27, v1
	v_add_u32_e32 v3, v0, v1
	v_ashrrev_i32_e32 v1, 5, v3
	s_waitcnt lgkmcnt(0)
	v_mad_i64_i32 v[1:2], s[0:1], v1, 24, s[0:1]
	v_and_b32_e32 v5, 0xffffffe0, v3
	v_sub_u32_e32 v0, v0, v5
	v_ashrrev_i32_e32 v6, 1, v0
	v_ashrrev_i32_e32 v7, 31, v6
	v_add_co_u32_e32 v0, vcc, v1, v6
	global_load_dwordx2 v[3:4], v[1:2], off
	v_addc_co_u32_e32 v1, vcc, v2, v7, vcc
	global_load_ubyte v2, v[0:1], off offset:8
	v_add_u32_e32 v8, 12, v6
	v_add_u32_e32 v0, v5, v6
	v_ashrrev_i32_e32 v1, 31, v0
	v_lshlrev_b64 v[0:1], 1, v[0:1]
	s_mov_b32 s0, 0x10001
	s_mov_b32 s1, 0xffff0000
	v_mov_b32_e32 v7, s3
	v_add_co_u32_e32 v0, vcc, s2, v0
	v_addc_co_u32_e32 v1, vcc, v7, v1, vcc
	s_waitcnt vmcnt(1)
	v_lshrrev_b32_e32 v5, v6, v4
	v_lshrrev_b32_e32 v4, v8, v4
	v_lshlrev_b32_e32 v5, 4, v5
	s_waitcnt vmcnt(0)
	v_and_b32_e32 v6, 15, v2
	v_lshrrev_b16_e32 v2, 4, v2
	v_and_or_b32 v5, v5, 16, v6
	v_and_or_b32 v2, v4, 16, v2
	v_cvt_f32_ubyte0_e32 v4, v5
	v_cvt_f32_ubyte0_e32 v2, v2
	v_cvt_f16_f32_e32 v4, v4
	v_cvt_f16_f32_e32 v2, v2
	v_lshrrev_b32_e32 v5, 16, v3
	v_mul_u32_u24_sdwa v6, v3, s0 dst_sel:DWORD dst_unused:UNUSED_PAD src0_sel:WORD_0 src1_sel:DWORD
	v_and_or_b32 v3, v3, s1, v5
	v_pack_b32_f16 v2, v4, v2
	v_pk_fma_f16 v2, v2, v6, v3
	global_store_short v[0:1], v2, off
	global_store_short_d16_hi v[0:1], v2, off offset:32
.LBB22_2:
	s_endpgm
	.section	.rodata,"a",@progbits
	.p2align	6, 0x0
	.amdhsa_kernel _ZL16dequantize_blockILi32ELi2EXadL_ZL15dequantize_q5_1PKviiR7__half2EEN3c104HalfEEvS1_PT2_i
		.amdhsa_group_segment_fixed_size 0
		.amdhsa_private_segment_fixed_size 0
		.amdhsa_kernarg_size 280
		.amdhsa_user_sgpr_count 6
		.amdhsa_user_sgpr_private_segment_buffer 1
		.amdhsa_user_sgpr_dispatch_ptr 0
		.amdhsa_user_sgpr_queue_ptr 0
		.amdhsa_user_sgpr_kernarg_segment_ptr 1
		.amdhsa_user_sgpr_dispatch_id 0
		.amdhsa_user_sgpr_flat_scratch_init 0
		.amdhsa_user_sgpr_private_segment_size 0
		.amdhsa_uses_dynamic_stack 0
		.amdhsa_system_sgpr_private_segment_wavefront_offset 0
		.amdhsa_system_sgpr_workgroup_id_x 1
		.amdhsa_system_sgpr_workgroup_id_y 0
		.amdhsa_system_sgpr_workgroup_id_z 0
		.amdhsa_system_sgpr_workgroup_info 0
		.amdhsa_system_vgpr_workitem_id 0
		.amdhsa_next_free_vgpr 9
		.amdhsa_next_free_sgpr 7
		.amdhsa_reserve_vcc 1
		.amdhsa_reserve_flat_scratch 0
		.amdhsa_float_round_mode_32 0
		.amdhsa_float_round_mode_16_64 0
		.amdhsa_float_denorm_mode_32 3
		.amdhsa_float_denorm_mode_16_64 3
		.amdhsa_dx10_clamp 1
		.amdhsa_ieee_mode 1
		.amdhsa_fp16_overflow 0
		.amdhsa_exception_fp_ieee_invalid_op 0
		.amdhsa_exception_fp_denorm_src 0
		.amdhsa_exception_fp_ieee_div_zero 0
		.amdhsa_exception_fp_ieee_overflow 0
		.amdhsa_exception_fp_ieee_underflow 0
		.amdhsa_exception_fp_ieee_inexact 0
		.amdhsa_exception_int_div_zero 0
	.end_amdhsa_kernel
	.section	.text._ZL16dequantize_blockILi32ELi2EXadL_ZL15dequantize_q5_1PKviiR7__half2EEN3c104HalfEEvS1_PT2_i,"axG",@progbits,_ZL16dequantize_blockILi32ELi2EXadL_ZL15dequantize_q5_1PKviiR7__half2EEN3c104HalfEEvS1_PT2_i,comdat
.Lfunc_end22:
	.size	_ZL16dequantize_blockILi32ELi2EXadL_ZL15dequantize_q5_1PKviiR7__half2EEN3c104HalfEEvS1_PT2_i, .Lfunc_end22-_ZL16dequantize_blockILi32ELi2EXadL_ZL15dequantize_q5_1PKviiR7__half2EEN3c104HalfEEvS1_PT2_i
                                        ; -- End function
	.set _ZL16dequantize_blockILi32ELi2EXadL_ZL15dequantize_q5_1PKviiR7__half2EEN3c104HalfEEvS1_PT2_i.num_vgpr, 9
	.set _ZL16dequantize_blockILi32ELi2EXadL_ZL15dequantize_q5_1PKviiR7__half2EEN3c104HalfEEvS1_PT2_i.num_agpr, 0
	.set _ZL16dequantize_blockILi32ELi2EXadL_ZL15dequantize_q5_1PKviiR7__half2EEN3c104HalfEEvS1_PT2_i.numbered_sgpr, 7
	.set _ZL16dequantize_blockILi32ELi2EXadL_ZL15dequantize_q5_1PKviiR7__half2EEN3c104HalfEEvS1_PT2_i.num_named_barrier, 0
	.set _ZL16dequantize_blockILi32ELi2EXadL_ZL15dequantize_q5_1PKviiR7__half2EEN3c104HalfEEvS1_PT2_i.private_seg_size, 0
	.set _ZL16dequantize_blockILi32ELi2EXadL_ZL15dequantize_q5_1PKviiR7__half2EEN3c104HalfEEvS1_PT2_i.uses_vcc, 1
	.set _ZL16dequantize_blockILi32ELi2EXadL_ZL15dequantize_q5_1PKviiR7__half2EEN3c104HalfEEvS1_PT2_i.uses_flat_scratch, 0
	.set _ZL16dequantize_blockILi32ELi2EXadL_ZL15dequantize_q5_1PKviiR7__half2EEN3c104HalfEEvS1_PT2_i.has_dyn_sized_stack, 0
	.set _ZL16dequantize_blockILi32ELi2EXadL_ZL15dequantize_q5_1PKviiR7__half2EEN3c104HalfEEvS1_PT2_i.has_recursion, 0
	.set _ZL16dequantize_blockILi32ELi2EXadL_ZL15dequantize_q5_1PKviiR7__half2EEN3c104HalfEEvS1_PT2_i.has_indirect_call, 0
	.section	.AMDGPU.csdata,"",@progbits
; Kernel info:
; codeLenInByte = 296
; TotalNumSgprs: 11
; NumVgprs: 9
; ScratchSize: 0
; MemoryBound: 0
; FloatMode: 240
; IeeeMode: 1
; LDSByteSize: 0 bytes/workgroup (compile time only)
; SGPRBlocks: 1
; VGPRBlocks: 2
; NumSGPRsForWavesPerEU: 11
; NumVGPRsForWavesPerEU: 9
; Occupancy: 10
; WaveLimiterHint : 0
; COMPUTE_PGM_RSRC2:SCRATCH_EN: 0
; COMPUTE_PGM_RSRC2:USER_SGPR: 6
; COMPUTE_PGM_RSRC2:TRAP_HANDLER: 0
; COMPUTE_PGM_RSRC2:TGID_X_EN: 1
; COMPUTE_PGM_RSRC2:TGID_Y_EN: 0
; COMPUTE_PGM_RSRC2:TGID_Z_EN: 0
; COMPUTE_PGM_RSRC2:TIDIG_COMP_CNT: 0
	.section	.text._ZL16dequantize_blockILi32ELi1EXadL_ZL15dequantize_q8_0PKviiR7__half2EEN3c104HalfEEvS1_PT2_i,"axG",@progbits,_ZL16dequantize_blockILi32ELi1EXadL_ZL15dequantize_q8_0PKviiR7__half2EEN3c104HalfEEvS1_PT2_i,comdat
	.globl	_ZL16dequantize_blockILi32ELi1EXadL_ZL15dequantize_q8_0PKviiR7__half2EEN3c104HalfEEvS1_PT2_i ; -- Begin function _ZL16dequantize_blockILi32ELi1EXadL_ZL15dequantize_q8_0PKviiR7__half2EEN3c104HalfEEvS1_PT2_i
	.p2align	8
	.type	_ZL16dequantize_blockILi32ELi1EXadL_ZL15dequantize_q8_0PKviiR7__half2EEN3c104HalfEEvS1_PT2_i,@function
_ZL16dequantize_blockILi32ELi1EXadL_ZL15dequantize_q8_0PKviiR7__half2EEN3c104HalfEEvS1_PT2_i: ; @_ZL16dequantize_blockILi32ELi1EXadL_ZL15dequantize_q8_0PKviiR7__half2EEN3c104HalfEEvS1_PT2_i
; %bb.0:
	s_load_dword s0, s[4:5], 0x24
	s_load_dword s1, s[4:5], 0x10
	s_waitcnt lgkmcnt(0)
	s_and_b32 s0, s0, 0xffff
	s_mul_i32 s6, s6, s0
	v_add_lshl_u32 v0, s6, v0, 1
	v_cmp_gt_i32_e32 vcc, s1, v0
	s_and_saveexec_b64 s[0:1], vcc
	s_cbranch_execz .LBB23_2
; %bb.1:
	s_load_dwordx4 s[0:3], s[4:5], 0x0
	v_ashrrev_i32_e32 v1, 31, v0
	v_lshrrev_b32_e32 v2, 27, v1
	v_add_u32_e32 v2, v0, v2
	v_ashrrev_i32_e32 v3, 5, v2
	v_and_b32_e32 v4, 0xffffffe0, v2
	s_waitcnt lgkmcnt(0)
	v_mad_i64_i32 v[2:3], s[0:1], v3, 34, s[0:1]
	v_sub_u32_e32 v4, v0, v4
	v_ashrrev_i32_e32 v5, 31, v4
	v_add_co_u32_e32 v4, vcc, v2, v4
	v_addc_co_u32_e32 v5, vcc, v3, v5, vcc
	global_load_ushort v6, v[2:3], off
	global_load_ushort v7, v[4:5], off offset:2
	v_lshlrev_b64 v[0:1], 1, v[0:1]
	v_mov_b32_e32 v2, s3
	v_add_co_u32_e32 v0, vcc, s2, v0
	v_addc_co_u32_e32 v1, vcc, v2, v1, vcc
	s_waitcnt vmcnt(1)
	v_lshl_or_b32 v3, v6, 16, v6
	s_waitcnt vmcnt(0)
	v_cvt_f16_i16_sdwa v4, sext(v7) dst_sel:DWORD dst_unused:UNUSED_PAD src0_sel:BYTE_1
	v_cvt_f16_i16_sdwa v5, sext(v7) dst_sel:DWORD dst_unused:UNUSED_PAD src0_sel:BYTE_0
	v_pack_b32_f16 v4, v5, v4
	v_pk_mul_f16 v3, v4, v3
	global_store_dword v[0:1], v3, off
.LBB23_2:
	s_endpgm
	.section	.rodata,"a",@progbits
	.p2align	6, 0x0
	.amdhsa_kernel _ZL16dequantize_blockILi32ELi1EXadL_ZL15dequantize_q8_0PKviiR7__half2EEN3c104HalfEEvS1_PT2_i
		.amdhsa_group_segment_fixed_size 0
		.amdhsa_private_segment_fixed_size 0
		.amdhsa_kernarg_size 280
		.amdhsa_user_sgpr_count 6
		.amdhsa_user_sgpr_private_segment_buffer 1
		.amdhsa_user_sgpr_dispatch_ptr 0
		.amdhsa_user_sgpr_queue_ptr 0
		.amdhsa_user_sgpr_kernarg_segment_ptr 1
		.amdhsa_user_sgpr_dispatch_id 0
		.amdhsa_user_sgpr_flat_scratch_init 0
		.amdhsa_user_sgpr_private_segment_size 0
		.amdhsa_uses_dynamic_stack 0
		.amdhsa_system_sgpr_private_segment_wavefront_offset 0
		.amdhsa_system_sgpr_workgroup_id_x 1
		.amdhsa_system_sgpr_workgroup_id_y 0
		.amdhsa_system_sgpr_workgroup_id_z 0
		.amdhsa_system_sgpr_workgroup_info 0
		.amdhsa_system_vgpr_workitem_id 0
		.amdhsa_next_free_vgpr 8
		.amdhsa_next_free_sgpr 7
		.amdhsa_reserve_vcc 1
		.amdhsa_reserve_flat_scratch 0
		.amdhsa_float_round_mode_32 0
		.amdhsa_float_round_mode_16_64 0
		.amdhsa_float_denorm_mode_32 3
		.amdhsa_float_denorm_mode_16_64 3
		.amdhsa_dx10_clamp 1
		.amdhsa_ieee_mode 1
		.amdhsa_fp16_overflow 0
		.amdhsa_exception_fp_ieee_invalid_op 0
		.amdhsa_exception_fp_denorm_src 0
		.amdhsa_exception_fp_ieee_div_zero 0
		.amdhsa_exception_fp_ieee_overflow 0
		.amdhsa_exception_fp_ieee_underflow 0
		.amdhsa_exception_fp_ieee_inexact 0
		.amdhsa_exception_int_div_zero 0
	.end_amdhsa_kernel
	.section	.text._ZL16dequantize_blockILi32ELi1EXadL_ZL15dequantize_q8_0PKviiR7__half2EEN3c104HalfEEvS1_PT2_i,"axG",@progbits,_ZL16dequantize_blockILi32ELi1EXadL_ZL15dequantize_q8_0PKviiR7__half2EEN3c104HalfEEvS1_PT2_i,comdat
.Lfunc_end23:
	.size	_ZL16dequantize_blockILi32ELi1EXadL_ZL15dequantize_q8_0PKviiR7__half2EEN3c104HalfEEvS1_PT2_i, .Lfunc_end23-_ZL16dequantize_blockILi32ELi1EXadL_ZL15dequantize_q8_0PKviiR7__half2EEN3c104HalfEEvS1_PT2_i
                                        ; -- End function
	.set _ZL16dequantize_blockILi32ELi1EXadL_ZL15dequantize_q8_0PKviiR7__half2EEN3c104HalfEEvS1_PT2_i.num_vgpr, 8
	.set _ZL16dequantize_blockILi32ELi1EXadL_ZL15dequantize_q8_0PKviiR7__half2EEN3c104HalfEEvS1_PT2_i.num_agpr, 0
	.set _ZL16dequantize_blockILi32ELi1EXadL_ZL15dequantize_q8_0PKviiR7__half2EEN3c104HalfEEvS1_PT2_i.numbered_sgpr, 7
	.set _ZL16dequantize_blockILi32ELi1EXadL_ZL15dequantize_q8_0PKviiR7__half2EEN3c104HalfEEvS1_PT2_i.num_named_barrier, 0
	.set _ZL16dequantize_blockILi32ELi1EXadL_ZL15dequantize_q8_0PKviiR7__half2EEN3c104HalfEEvS1_PT2_i.private_seg_size, 0
	.set _ZL16dequantize_blockILi32ELi1EXadL_ZL15dequantize_q8_0PKviiR7__half2EEN3c104HalfEEvS1_PT2_i.uses_vcc, 1
	.set _ZL16dequantize_blockILi32ELi1EXadL_ZL15dequantize_q8_0PKviiR7__half2EEN3c104HalfEEvS1_PT2_i.uses_flat_scratch, 0
	.set _ZL16dequantize_blockILi32ELi1EXadL_ZL15dequantize_q8_0PKviiR7__half2EEN3c104HalfEEvS1_PT2_i.has_dyn_sized_stack, 0
	.set _ZL16dequantize_blockILi32ELi1EXadL_ZL15dequantize_q8_0PKviiR7__half2EEN3c104HalfEEvS1_PT2_i.has_recursion, 0
	.set _ZL16dequantize_blockILi32ELi1EXadL_ZL15dequantize_q8_0PKviiR7__half2EEN3c104HalfEEvS1_PT2_i.has_indirect_call, 0
	.section	.AMDGPU.csdata,"",@progbits
; Kernel info:
; codeLenInByte = 208
; TotalNumSgprs: 11
; NumVgprs: 8
; ScratchSize: 0
; MemoryBound: 0
; FloatMode: 240
; IeeeMode: 1
; LDSByteSize: 0 bytes/workgroup (compile time only)
; SGPRBlocks: 1
; VGPRBlocks: 1
; NumSGPRsForWavesPerEU: 11
; NumVGPRsForWavesPerEU: 8
; Occupancy: 10
; WaveLimiterHint : 0
; COMPUTE_PGM_RSRC2:SCRATCH_EN: 0
; COMPUTE_PGM_RSRC2:USER_SGPR: 6
; COMPUTE_PGM_RSRC2:TRAP_HANDLER: 0
; COMPUTE_PGM_RSRC2:TGID_X_EN: 1
; COMPUTE_PGM_RSRC2:TGID_Y_EN: 0
; COMPUTE_PGM_RSRC2:TGID_Z_EN: 0
; COMPUTE_PGM_RSRC2:TIDIG_COMP_CNT: 0
	.section	.text._ZL21dequantize_block_q2_KIN3c104HalfEEvPKvPT_,"axG",@progbits,_ZL21dequantize_block_q2_KIN3c104HalfEEvPKvPT_,comdat
	.globl	_ZL21dequantize_block_q2_KIN3c104HalfEEvPKvPT_ ; -- Begin function _ZL21dequantize_block_q2_KIN3c104HalfEEvPKvPT_
	.p2align	8
	.type	_ZL21dequantize_block_q2_KIN3c104HalfEEvPKvPT_,@function
_ZL21dequantize_block_q2_KIN3c104HalfEEvPKvPT_: ; @_ZL21dequantize_block_q2_KIN3c104HalfEEvPKvPT_
; %bb.0:
	s_load_dwordx4 s[0:3], s[4:5], 0x0
	s_mul_i32 s5, s6, 0x54
	v_lshrrev_b32_e32 v1, 5, v0
	v_bfe_u32 v2, v0, 4, 1
	s_mul_hi_u32 s4, s6, 0x54
	s_waitcnt lgkmcnt(0)
	s_add_u32 s0, s0, s5
	v_lshl_or_b32 v2, v1, 3, v2
	s_addc_u32 s1, s1, s4
	global_load_ubyte v3, v2, s[0:1]
	global_load_ubyte v4, v0, s[0:1] offset:16
	global_load_ubyte v5, v2, s[0:1] offset:2
	global_load_ubyte v6, v2, s[0:1] offset:4
	global_load_ubyte v7, v2, s[0:1] offset:6
	s_load_dword s4, s[0:1], 0x50
	s_mov_b32 s1, 0
	s_lshl_b32 s0, s6, 8
	s_lshl_b64 s[0:1], s[0:1], 1
	s_add_u32 s0, s2, s0
	v_lshlrev_b32_e32 v1, 8, v1
	s_addc_u32 s1, s3, s1
	v_and_b32_e32 v0, 31, v0
	v_mov_b32_e32 v2, s1
	v_add_co_u32_e32 v1, vcc, s0, v1
	v_lshlrev_b32_e32 v0, 1, v0
	v_addc_co_u32_e32 v2, vcc, 0, v2, vcc
	v_add_co_u32_e32 v0, vcc, v1, v0
	v_addc_co_u32_e32 v1, vcc, 0, v2, vcc
	s_waitcnt lgkmcnt(0)
	s_lshr_b32 s0, s4, 16
	s_waitcnt vmcnt(4)
	v_and_b32_e32 v2, 15, v3
	s_waitcnt vmcnt(3)
	v_and_b32_e32 v8, 3, v4
	;; [unrolled: 2-line block ×3, first 2 shown]
	v_bfe_u32 v10, v4, 2, 2
	s_waitcnt vmcnt(1)
	v_and_b32_e32 v11, 15, v6
	v_bfe_u32 v12, v4, 4, 2
	s_waitcnt vmcnt(0)
	v_and_b32_e32 v13, 15, v7
	v_lshrrev_b32_e32 v4, 6, v4
	v_mul_u32_u24_sdwa v2, v8, v2 dst_sel:DWORD dst_unused:UNUSED_PAD src0_sel:DWORD src1_sel:WORD_0
	v_mul_u32_u24_sdwa v8, v10, v9 dst_sel:DWORD dst_unused:UNUSED_PAD src0_sel:DWORD src1_sel:WORD_0
	;; [unrolled: 1-line block ×4, first 2 shown]
	v_cvt_f32_ubyte0_e32 v2, v2
	v_cvt_f32_ubyte0_e32 v8, v8
	;; [unrolled: 1-line block ×4, first 2 shown]
	v_cvt_f16_f32_e32 v2, v2
	v_lshrrev_b16_e32 v3, 4, v3
	v_cvt_f16_f32_e32 v8, v8
	v_cvt_f16_f32_e32 v9, v9
	;; [unrolled: 1-line block ×3, first 2 shown]
	v_lshrrev_b16_e32 v5, 4, v5
	v_lshrrev_b16_e32 v6, 4, v6
	;; [unrolled: 1-line block ×3, first 2 shown]
	v_cvt_f16_u16_e32 v3, v3
	v_cvt_f16_u16_e32 v5, v5
	v_cvt_f16_u16_e32 v6, v6
	v_cvt_f16_u16_e32 v7, v7
	v_mul_f16_e32 v3, s0, v3
	v_mul_f16_e32 v5, s0, v5
	v_mul_f16_e32 v6, s0, v6
	v_mul_f16_e32 v7, s0, v7
	v_fma_f16 v2, s4, v2, -v3
	v_fma_f16 v3, s4, v8, -v5
	v_fma_f16 v5, s4, v9, -v6
	v_fma_f16 v4, s4, v4, -v7
	global_store_short v[0:1], v2, off
	global_store_short v[0:1], v3, off offset:64
	global_store_short v[0:1], v5, off offset:128
	;; [unrolled: 1-line block ×3, first 2 shown]
	s_endpgm
	.section	.rodata,"a",@progbits
	.p2align	6, 0x0
	.amdhsa_kernel _ZL21dequantize_block_q2_KIN3c104HalfEEvPKvPT_
		.amdhsa_group_segment_fixed_size 0
		.amdhsa_private_segment_fixed_size 0
		.amdhsa_kernarg_size 16
		.amdhsa_user_sgpr_count 6
		.amdhsa_user_sgpr_private_segment_buffer 1
		.amdhsa_user_sgpr_dispatch_ptr 0
		.amdhsa_user_sgpr_queue_ptr 0
		.amdhsa_user_sgpr_kernarg_segment_ptr 1
		.amdhsa_user_sgpr_dispatch_id 0
		.amdhsa_user_sgpr_flat_scratch_init 0
		.amdhsa_user_sgpr_private_segment_size 0
		.amdhsa_uses_dynamic_stack 0
		.amdhsa_system_sgpr_private_segment_wavefront_offset 0
		.amdhsa_system_sgpr_workgroup_id_x 1
		.amdhsa_system_sgpr_workgroup_id_y 0
		.amdhsa_system_sgpr_workgroup_id_z 0
		.amdhsa_system_sgpr_workgroup_info 0
		.amdhsa_system_vgpr_workitem_id 0
		.amdhsa_next_free_vgpr 14
		.amdhsa_next_free_sgpr 7
		.amdhsa_reserve_vcc 1
		.amdhsa_reserve_flat_scratch 0
		.amdhsa_float_round_mode_32 0
		.amdhsa_float_round_mode_16_64 0
		.amdhsa_float_denorm_mode_32 3
		.amdhsa_float_denorm_mode_16_64 3
		.amdhsa_dx10_clamp 1
		.amdhsa_ieee_mode 1
		.amdhsa_fp16_overflow 0
		.amdhsa_exception_fp_ieee_invalid_op 0
		.amdhsa_exception_fp_denorm_src 0
		.amdhsa_exception_fp_ieee_div_zero 0
		.amdhsa_exception_fp_ieee_overflow 0
		.amdhsa_exception_fp_ieee_underflow 0
		.amdhsa_exception_fp_ieee_inexact 0
		.amdhsa_exception_int_div_zero 0
	.end_amdhsa_kernel
	.section	.text._ZL21dequantize_block_q2_KIN3c104HalfEEvPKvPT_,"axG",@progbits,_ZL21dequantize_block_q2_KIN3c104HalfEEvPKvPT_,comdat
.Lfunc_end24:
	.size	_ZL21dequantize_block_q2_KIN3c104HalfEEvPKvPT_, .Lfunc_end24-_ZL21dequantize_block_q2_KIN3c104HalfEEvPKvPT_
                                        ; -- End function
	.set _ZL21dequantize_block_q2_KIN3c104HalfEEvPKvPT_.num_vgpr, 14
	.set _ZL21dequantize_block_q2_KIN3c104HalfEEvPKvPT_.num_agpr, 0
	.set _ZL21dequantize_block_q2_KIN3c104HalfEEvPKvPT_.numbered_sgpr, 7
	.set _ZL21dequantize_block_q2_KIN3c104HalfEEvPKvPT_.num_named_barrier, 0
	.set _ZL21dequantize_block_q2_KIN3c104HalfEEvPKvPT_.private_seg_size, 0
	.set _ZL21dequantize_block_q2_KIN3c104HalfEEvPKvPT_.uses_vcc, 1
	.set _ZL21dequantize_block_q2_KIN3c104HalfEEvPKvPT_.uses_flat_scratch, 0
	.set _ZL21dequantize_block_q2_KIN3c104HalfEEvPKvPT_.has_dyn_sized_stack, 0
	.set _ZL21dequantize_block_q2_KIN3c104HalfEEvPKvPT_.has_recursion, 0
	.set _ZL21dequantize_block_q2_KIN3c104HalfEEvPKvPT_.has_indirect_call, 0
	.section	.AMDGPU.csdata,"",@progbits
; Kernel info:
; codeLenInByte = 404
; TotalNumSgprs: 11
; NumVgprs: 14
; ScratchSize: 0
; MemoryBound: 0
; FloatMode: 240
; IeeeMode: 1
; LDSByteSize: 0 bytes/workgroup (compile time only)
; SGPRBlocks: 1
; VGPRBlocks: 3
; NumSGPRsForWavesPerEU: 11
; NumVGPRsForWavesPerEU: 14
; Occupancy: 10
; WaveLimiterHint : 0
; COMPUTE_PGM_RSRC2:SCRATCH_EN: 0
; COMPUTE_PGM_RSRC2:USER_SGPR: 6
; COMPUTE_PGM_RSRC2:TRAP_HANDLER: 0
; COMPUTE_PGM_RSRC2:TGID_X_EN: 1
; COMPUTE_PGM_RSRC2:TGID_Y_EN: 0
; COMPUTE_PGM_RSRC2:TGID_Z_EN: 0
; COMPUTE_PGM_RSRC2:TIDIG_COMP_CNT: 0
	.section	.text._ZL21dequantize_block_q3_KIN3c104HalfEEvPKvPT_,"axG",@progbits,_ZL21dequantize_block_q3_KIN3c104HalfEEvPKvPT_,comdat
	.globl	_ZL21dequantize_block_q3_KIN3c104HalfEEvPKvPT_ ; -- Begin function _ZL21dequantize_block_q3_KIN3c104HalfEEvPKvPT_
	.p2align	8
	.type	_ZL21dequantize_block_q3_KIN3c104HalfEEvPKvPT_,@function
_ZL21dequantize_block_q3_KIN3c104HalfEEvPKvPT_: ; @_ZL21dequantize_block_q3_KIN3c104HalfEEvPKvPT_
; %bb.0:
	v_lshrrev_b32_e32 v4, 5, v0
	v_lshrrev_b32_e32 v6, 3, v0
	v_lshlrev_b32_e32 v1, 2, v4
	s_load_dwordx4 s[8:11], s[4:5], 0x0
	v_sub_u32_e32 v5, v6, v1
	v_lshlrev_b32_e32 v3, 1, v5
	v_bfe_u32 v7, v0, 2, 1
	v_lshl_add_u32 v11, v4, 3, v3
	v_or_b32_e32 v10, v11, v7
	v_cmp_lt_i32_e32 vcc, 3, v10
	s_mov_b32 s7, 0
	v_mov_b32_e32 v1, s6
	v_mov_b32_e32 v2, s7
                                        ; implicit-def: $vgpr9
                                        ; implicit-def: $vgpr8
	s_and_saveexec_b64 s[0:1], vcc
	s_xor_b64 s[2:3], exec, s[0:1]
	s_cbranch_execz .LBB25_10
; %bb.1:
	v_cmp_lt_u32_e32 vcc, 7, v11
	v_mov_b32_e32 v1, s6
	v_mov_b32_e32 v2, s7
                                        ; implicit-def: $vgpr9
                                        ; implicit-def: $vgpr8
	s_and_saveexec_b64 s[0:1], vcc
	s_xor_b64 s[4:5], exec, s[0:1]
	s_cbranch_execz .LBB25_7
; %bb.2:
	s_mul_i32 s0, s6, 0x6e
	s_mul_hi_u32 s1, s6, 0x6e
	s_waitcnt lgkmcnt(0)
	s_add_u32 s0, s8, s0
	s_addc_u32 s1, s9, s1
	global_load_ubyte v9, v10, s[0:1] offset:88
	v_mov_b32_e32 v2, s1
	v_add_co_u32_e64 v1, s[0:1], s0, v10
	v_cmp_lt_u32_e32 vcc, 11, v11
	v_addc_co_u32_e64 v2, s[0:1], 0, v2, s[0:1]
                                        ; implicit-def: $vgpr8
	s_and_saveexec_b64 s[0:1], vcc
	s_xor_b64 s[0:1], exec, s[0:1]
	s_cbranch_execz .LBB25_4
; %bb.3:
	global_load_ubyte v1, v[1:2], off offset:92
	s_waitcnt vmcnt(0)
	v_lshrrev_b16_e32 v8, 2, v1
                                        ; implicit-def: $vgpr1_vgpr2
.LBB25_4:
	s_andn2_saveexec_b64 s[0:1], s[0:1]
	s_cbranch_execz .LBB25_6
; %bb.5:
	global_load_ubyte v8, v[1:2], off offset:96
.LBB25_6:
	s_or_b64 exec, exec, s[0:1]
	v_mov_b32_e32 v1, s6
	s_waitcnt vmcnt(0)
	v_lshrrev_b16_e32 v9, 4, v9
	v_mov_b32_e32 v2, s7
                                        ; implicit-def: $vgpr10
.LBB25_7:
	s_andn2_saveexec_b64 s[0:1], s[4:5]
	s_cbranch_execz .LBB25_9
; %bb.8:
	s_mul_i32 s4, s6, 0x6e
	s_mul_hi_u32 s5, s6, 0x6e
	s_waitcnt lgkmcnt(0)
	s_add_u32 s4, s8, s4
	s_addc_u32 s5, s9, s5
	global_load_ubyte v2, v10, s[4:5] offset:96
	global_load_ubyte v8, v10, s[4:5] offset:100
	s_waitcnt vmcnt(1)
	v_and_b32_e32 v9, 15, v2
	s_waitcnt vmcnt(0)
	v_lshlrev_b16_e32 v8, 2, v8
.LBB25_9:
	s_or_b64 exec, exec, s[0:1]
                                        ; implicit-def: $vgpr10
.LBB25_10:
	s_andn2_saveexec_b64 s[0:1], s[2:3]
	s_cbranch_execz .LBB25_12
; %bb.11:
	s_mul_i32 s3, s6, 0x6e
	s_mul_hi_u32 s2, s6, 0x6e
	s_waitcnt lgkmcnt(0)
	s_add_u32 s3, s8, s3
	s_addc_u32 s2, s9, s2
	v_ashrrev_i32_e32 v2, 31, v10
	v_mov_b32_e32 v9, s2
	v_add_co_u32_e32 v8, vcc, s3, v10
	v_addc_co_u32_e32 v9, vcc, v9, v2, vcc
	global_load_ubyte v2, v[8:9], off offset:96
	global_load_ubyte v10, v[8:9], off offset:104
	s_waitcnt vmcnt(1)
	v_and_b32_e32 v9, 15, v2
	s_waitcnt vmcnt(0)
	v_lshlrev_b16_e32 v8, 4, v10
.LBB25_12:
	s_or_b64 exec, exec, s[0:1]
	s_waitcnt lgkmcnt(0)
	v_mov_b32_e32 v11, s9
	v_lshlrev_b32_e32 v2, 2, v0
	s_movk_i32 s0, 0x6e
	v_mov_b32_e32 v10, s8
	v_and_b32_e32 v12, 12, v2
	v_mad_u64_u32 v[1:2], s[0:1], v1, s0, v[10:11]
	v_and_b32_e32 v0, 0x3e0, v0
	v_lshl_or_b32 v7, v7, 4, v12
	v_add_co_u32_e32 v0, vcc, v1, v0
	v_addc_co_u32_e32 v11, vcc, 0, v2, vcc
	v_add_co_u32_e32 v10, vcc, v0, v7
	v_addc_co_u32_e32 v11, vcc, 0, v11, vcc
	global_load_dword v12, v[10:11], off offset:32
	v_add_co_u32_e32 v10, vcc, v1, v7
	v_addc_co_u32_e32 v11, vcc, 0, v2, vcc
	global_load_dword v13, v[10:11], off
	global_load_ushort v14, v[1:2], off offset:108
	s_lshl_b32 s0, s6, 8
	s_mov_b32 s1, 0
	s_lshl_b64 s[0:1], s[0:1], 1
	v_and_b32_e32 v1, 48, v8
	v_lshlrev_b32_e32 v0, 5, v5
	s_add_u32 s0, s10, s0
	v_lshlrev_b32_e64 v2, v6, 1
	v_mov_b32_e32 v6, 32
	v_lshlrev_b32_e32 v4, 8, v4
	v_or_b32_e32 v5, v1, v9
	v_ashrrev_i32_e32 v1, 31, v0
	s_addc_u32 s1, s11, s1
	v_sub_u32_sdwa v5, v5, v6 dst_sel:DWORD dst_unused:UNUSED_PAD src0_sel:BYTE_0 src1_sel:DWORD
	v_lshlrev_b64 v[0:1], 1, v[0:1]
	v_lshlrev_b32_e32 v6, 1, v7
	v_mov_b32_e32 v7, s1
	v_add_co_u32_e32 v4, vcc, s0, v4
	v_addc_co_u32_e32 v7, vcc, 0, v7, vcc
	v_add_co_u32_e32 v0, vcc, v4, v0
	v_cvt_f32_i32_e32 v5, v5
	v_addc_co_u32_e32 v1, vcc, v7, v1, vcc
	v_cvt_f16_f32_e32 v4, v5
	s_waitcnt vmcnt(2)
	v_lshrrev_b32_sdwa v5, v3, v12 dst_sel:DWORD dst_unused:UNUSED_PAD src0_sel:DWORD src1_sel:BYTE_1
	v_lshrrev_b32_sdwa v7, v3, v12 dst_sel:DWORD dst_unused:UNUSED_PAD src0_sel:DWORD src1_sel:BYTE_0
	v_lshrrev_b32_sdwa v10, v3, v12 dst_sel:DWORD dst_unused:UNUSED_PAD src0_sel:DWORD src1_sel:BYTE_3
	v_lshrrev_b32_sdwa v3, v3, v12 dst_sel:DWORD dst_unused:UNUSED_PAD src0_sel:DWORD src1_sel:BYTE_2
	s_waitcnt vmcnt(1)
	v_and_b32_sdwa v8, v2, v13 dst_sel:DWORD dst_unused:UNUSED_PAD src0_sel:DWORD src1_sel:BYTE_1
	v_and_b32_sdwa v9, v2, v13 dst_sel:DWORD dst_unused:UNUSED_PAD src0_sel:DWORD src1_sel:BYTE_0
	v_cmp_eq_u32_e32 vcc, 0, v8
	v_and_b32_sdwa v11, v2, v13 dst_sel:DWORD dst_unused:UNUSED_PAD src0_sel:DWORD src1_sel:BYTE_3
	v_cndmask_b32_e64 v8, 0, -4, vcc
	v_cmp_eq_u32_e32 vcc, 0, v9
	v_and_b32_sdwa v2, v2, v13 dst_sel:DWORD dst_unused:UNUSED_PAD src0_sel:DWORD src1_sel:BYTE_2
	v_cndmask_b32_e64 v9, 0, -4, vcc
	v_cmp_eq_u32_e32 vcc, 0, v11
	v_cndmask_b32_e64 v11, 0, -4, vcc
	v_cmp_eq_u32_e32 vcc, 0, v2
	v_and_b32_e32 v5, 3, v5
	v_and_b32_e32 v7, 3, v7
	;; [unrolled: 1-line block ×4, first 2 shown]
	v_cndmask_b32_e64 v2, 0, -4, vcc
	v_or_b32_e32 v5, v8, v5
	v_or_b32_e32 v7, v9, v7
	;; [unrolled: 1-line block ×4, first 2 shown]
	v_cvt_f32_i32_e32 v3, v5
	v_cvt_f32_i32_e32 v5, v7
	;; [unrolled: 1-line block ×4, first 2 shown]
	v_cvt_f16_f32_e32 v3, v3
	v_cvt_f16_f32_e32 v5, v5
	;; [unrolled: 1-line block ×4, first 2 shown]
	v_add_co_u32_e32 v0, vcc, v0, v6
	s_waitcnt vmcnt(0)
	v_mul_f16_e32 v4, v14, v4
	v_pack_b32_f16 v3, v5, v3
	v_pack_b32_f16 v5, v2, v7
	v_addc_co_u32_e32 v1, vcc, 0, v1, vcc
	v_pk_mul_f16 v2, v4, v3 op_sel_hi:[0,1]
	v_pk_mul_f16 v3, v4, v5 op_sel_hi:[0,1]
	global_store_dwordx2 v[0:1], v[2:3], off
	s_endpgm
	.section	.rodata,"a",@progbits
	.p2align	6, 0x0
	.amdhsa_kernel _ZL21dequantize_block_q3_KIN3c104HalfEEvPKvPT_
		.amdhsa_group_segment_fixed_size 0
		.amdhsa_private_segment_fixed_size 0
		.amdhsa_kernarg_size 16
		.amdhsa_user_sgpr_count 6
		.amdhsa_user_sgpr_private_segment_buffer 1
		.amdhsa_user_sgpr_dispatch_ptr 0
		.amdhsa_user_sgpr_queue_ptr 0
		.amdhsa_user_sgpr_kernarg_segment_ptr 1
		.amdhsa_user_sgpr_dispatch_id 0
		.amdhsa_user_sgpr_flat_scratch_init 0
		.amdhsa_user_sgpr_private_segment_size 0
		.amdhsa_uses_dynamic_stack 0
		.amdhsa_system_sgpr_private_segment_wavefront_offset 0
		.amdhsa_system_sgpr_workgroup_id_x 1
		.amdhsa_system_sgpr_workgroup_id_y 0
		.amdhsa_system_sgpr_workgroup_id_z 0
		.amdhsa_system_sgpr_workgroup_info 0
		.amdhsa_system_vgpr_workitem_id 0
		.amdhsa_next_free_vgpr 15
		.amdhsa_next_free_sgpr 12
		.amdhsa_reserve_vcc 1
		.amdhsa_reserve_flat_scratch 0
		.amdhsa_float_round_mode_32 0
		.amdhsa_float_round_mode_16_64 0
		.amdhsa_float_denorm_mode_32 3
		.amdhsa_float_denorm_mode_16_64 3
		.amdhsa_dx10_clamp 1
		.amdhsa_ieee_mode 1
		.amdhsa_fp16_overflow 0
		.amdhsa_exception_fp_ieee_invalid_op 0
		.amdhsa_exception_fp_denorm_src 0
		.amdhsa_exception_fp_ieee_div_zero 0
		.amdhsa_exception_fp_ieee_overflow 0
		.amdhsa_exception_fp_ieee_underflow 0
		.amdhsa_exception_fp_ieee_inexact 0
		.amdhsa_exception_int_div_zero 0
	.end_amdhsa_kernel
	.section	.text._ZL21dequantize_block_q3_KIN3c104HalfEEvPKvPT_,"axG",@progbits,_ZL21dequantize_block_q3_KIN3c104HalfEEvPKvPT_,comdat
.Lfunc_end25:
	.size	_ZL21dequantize_block_q3_KIN3c104HalfEEvPKvPT_, .Lfunc_end25-_ZL21dequantize_block_q3_KIN3c104HalfEEvPKvPT_
                                        ; -- End function
	.set _ZL21dequantize_block_q3_KIN3c104HalfEEvPKvPT_.num_vgpr, 15
	.set _ZL21dequantize_block_q3_KIN3c104HalfEEvPKvPT_.num_agpr, 0
	.set _ZL21dequantize_block_q3_KIN3c104HalfEEvPKvPT_.numbered_sgpr, 12
	.set _ZL21dequantize_block_q3_KIN3c104HalfEEvPKvPT_.num_named_barrier, 0
	.set _ZL21dequantize_block_q3_KIN3c104HalfEEvPKvPT_.private_seg_size, 0
	.set _ZL21dequantize_block_q3_KIN3c104HalfEEvPKvPT_.uses_vcc, 1
	.set _ZL21dequantize_block_q3_KIN3c104HalfEEvPKvPT_.uses_flat_scratch, 0
	.set _ZL21dequantize_block_q3_KIN3c104HalfEEvPKvPT_.has_dyn_sized_stack, 0
	.set _ZL21dequantize_block_q3_KIN3c104HalfEEvPKvPT_.has_recursion, 0
	.set _ZL21dequantize_block_q3_KIN3c104HalfEEvPKvPT_.has_indirect_call, 0
	.section	.AMDGPU.csdata,"",@progbits
; Kernel info:
; codeLenInByte = 824
; TotalNumSgprs: 16
; NumVgprs: 15
; ScratchSize: 0
; MemoryBound: 0
; FloatMode: 240
; IeeeMode: 1
; LDSByteSize: 0 bytes/workgroup (compile time only)
; SGPRBlocks: 1
; VGPRBlocks: 3
; NumSGPRsForWavesPerEU: 16
; NumVGPRsForWavesPerEU: 15
; Occupancy: 10
; WaveLimiterHint : 0
; COMPUTE_PGM_RSRC2:SCRATCH_EN: 0
; COMPUTE_PGM_RSRC2:USER_SGPR: 6
; COMPUTE_PGM_RSRC2:TRAP_HANDLER: 0
; COMPUTE_PGM_RSRC2:TGID_X_EN: 1
; COMPUTE_PGM_RSRC2:TGID_Y_EN: 0
; COMPUTE_PGM_RSRC2:TGID_Z_EN: 0
; COMPUTE_PGM_RSRC2:TIDIG_COMP_CNT: 0
	.section	.text._ZL21dequantize_block_q4_KIN3c104HalfEEvPKvPT_,"axG",@progbits,_ZL21dequantize_block_q4_KIN3c104HalfEEvPKvPT_,comdat
	.globl	_ZL21dequantize_block_q4_KIN3c104HalfEEvPKvPT_ ; -- Begin function _ZL21dequantize_block_q4_KIN3c104HalfEEvPKvPT_
	.p2align	8
	.type	_ZL21dequantize_block_q4_KIN3c104HalfEEvPKvPT_,@function
_ZL21dequantize_block_q4_KIN3c104HalfEEvPKvPT_: ; @_ZL21dequantize_block_q4_KIN3c104HalfEEvPKvPT_
; %bb.0:
	s_load_dwordx2 s[0:1], s[4:5], 0x0
	s_mul_i32 s2, s6, 0x90
	v_lshrrev_b32_e32 v3, 3, v0
	s_mul_hi_u32 s3, s6, 0x90
	v_lshlrev_b32_e32 v1, 1, v3
	s_waitcnt lgkmcnt(0)
	s_add_u32 s2, s0, s2
	s_addc_u32 s3, s1, s3
	v_mov_b32_e32 v2, s3
	v_add_co_u32_e64 v1, s[0:1], s2, v1
	v_cmp_lt_u32_e32 vcc, 15, v0
	v_addc_co_u32_e64 v2, s[0:1], 0, v2, s[0:1]
                                        ; implicit-def: $vgpr5
                                        ; implicit-def: $vgpr4
	s_and_saveexec_b64 s[0:1], vcc
	s_xor_b64 s[0:1], exec, s[0:1]
	s_cbranch_execz .LBB26_2
; %bb.1:
	global_load_ubyte v4, v[1:2], off offset:8
	global_load_ubyte v5, v[1:2], off
	global_load_ubyte v6, v[1:2], off offset:4
	s_waitcnt vmcnt(2)
	v_and_b32_e32 v7, 15, v4
	s_waitcnt vmcnt(1)
	v_lshrrev_b16_e32 v5, 2, v5
	v_lshrrev_b16_e32 v8, 4, v4
	s_waitcnt vmcnt(0)
	v_lshrrev_b16_e32 v4, 2, v6
	v_and_b32_e32 v5, 48, v5
	v_and_b32_e32 v6, 48, v4
	v_or_b32_e32 v4, v5, v7
	v_or_b32_e32 v5, v6, v8
.LBB26_2:
	s_andn2_saveexec_b64 s[0:1], s[0:1]
	s_cbranch_execz .LBB26_4
; %bb.3:
	global_load_ubyte v4, v[1:2], off offset:4
	global_load_ubyte v5, v[1:2], off offset:8
	s_waitcnt vmcnt(1)
	v_and_b32_e32 v4, 63, v4
	s_waitcnt vmcnt(0)
	v_and_b32_e32 v5, 63, v5
.LBB26_4:
	s_or_b64 exec, exec, s[0:1]
	s_load_dwordx2 s[0:1], s[4:5], 0x8
	s_load_dword s7, s[2:3], 0x0
                                        ; implicit-def: $vgpr7
                                        ; implicit-def: $vgpr6
	s_and_saveexec_b64 s[4:5], vcc
	s_xor_b64 s[4:5], exec, s[4:5]
	s_cbranch_execz .LBB26_6
; %bb.5:
	global_load_ubyte v6, v[1:2], off offset:9
	global_load_ubyte v7, v[1:2], off offset:1
	global_load_ubyte v8, v[1:2], off offset:5
	s_waitcnt vmcnt(2)
	v_and_b32_e32 v1, 15, v6
	s_waitcnt vmcnt(1)
	v_lshrrev_b16_e32 v2, 2, v7
	v_lshrrev_b16_e32 v7, 4, v6
	s_waitcnt vmcnt(0)
	v_lshrrev_b16_e32 v6, 2, v8
	v_and_b32_e32 v2, 48, v2
	v_and_b32_e32 v8, 48, v6
	v_or_b32_e32 v6, v2, v1
	v_or_b32_e32 v7, v8, v7
                                        ; implicit-def: $vgpr1_vgpr2
.LBB26_6:
	s_andn2_saveexec_b64 s[4:5], s[4:5]
	s_cbranch_execz .LBB26_8
; %bb.7:
	global_load_ubyte v6, v[1:2], off offset:5
	global_load_ubyte v7, v[1:2], off offset:9
	s_waitcnt vmcnt(1)
	v_and_b32_e32 v6, 63, v6
	s_waitcnt vmcnt(0)
	v_and_b32_e32 v7, 63, v7
.LBB26_8:
	s_or_b64 exec, exec, s[4:5]
	v_lshlrev_b32_e32 v1, 5, v3
	v_mov_b32_e32 v2, s3
	v_add_co_u32_e32 v1, vcc, s2, v1
	v_lshlrev_b32_e32 v0, 2, v0
	v_addc_co_u32_e32 v2, vcc, 0, v2, vcc
	v_and_b32_e32 v8, 28, v0
	v_add_co_u32_e32 v0, vcc, v1, v8
	v_addc_co_u32_e32 v1, vcc, 0, v2, vcc
	global_load_dword v2, v[0:1], off offset:16
	s_mov_b32 s3, 0
	s_lshl_b32 s2, s6, 8
	s_waitcnt lgkmcnt(0)
	s_lshr_b32 s4, s7, 16
	s_lshl_b64 s[2:3], s[2:3], 1
	s_add_u32 s0, s0, s2
	v_cvt_f16_u16_sdwa v1, v4 dst_sel:DWORD dst_unused:UNUSED_PAD src0_sel:BYTE_0
	v_lshlrev_b32_e32 v3, 7, v3
	s_addc_u32 s1, s1, s3
	v_cvt_f16_u16_sdwa v0, v5 dst_sel:DWORD dst_unused:UNUSED_PAD src0_sel:BYTE_0
	v_mul_f16_e32 v10, s7, v1
	v_mov_b32_e32 v1, s1
	v_add_co_u32_e32 v3, vcc, s0, v3
	v_mul_f16_e32 v9, s4, v0
	v_lshlrev_b32_e32 v0, 1, v8
	v_addc_co_u32_e32 v1, vcc, 0, v1, vcc
	v_cvt_f16_u16_sdwa v4, v6 dst_sel:DWORD dst_unused:UNUSED_PAD src0_sel:BYTE_0
	v_cvt_f16_u16_sdwa v5, v7 dst_sel:DWORD dst_unused:UNUSED_PAD src0_sel:BYTE_0
	v_mov_b32_e32 v6, 15
	v_mov_b32_e32 v7, 4
	v_add_co_u32_e32 v0, vcc, v3, v0
	v_mul_f16_e32 v11, s7, v4
	v_mul_f16_e32 v5, s4, v5
	v_addc_co_u32_e32 v1, vcc, 0, v1, vcc
	s_waitcnt vmcnt(0)
	v_lshrrev_b32_e32 v3, 8, v2
	v_and_b32_e32 v4, 15, v2
	v_lshrrev_b16_e32 v8, 4, v2
	v_and_b32_sdwa v12, v2, v6 dst_sel:DWORD dst_unused:UNUSED_PAD src0_sel:WORD_1 src1_sel:DWORD
	v_and_b32_sdwa v6, v2, v6 dst_sel:DWORD dst_unused:UNUSED_PAD src0_sel:BYTE_3 src1_sel:DWORD
	v_lshrrev_b32_e32 v13, 20, v2
	v_lshrrev_b16_sdwa v2, v7, v2 dst_sel:DWORD dst_unused:UNUSED_PAD src0_sel:DWORD src1_sel:BYTE_3
	v_and_b32_e32 v7, 15, v3
	v_lshrrev_b16_e32 v3, 4, v3
	v_cvt_f16_u16_e32 v4, v4
	v_and_b32_e32 v8, 15, v8
	v_cvt_f16_u16_e32 v6, v6
	v_cvt_f16_u16_e32 v12, v12
	v_and_b32_e32 v13, 15, v13
	v_cvt_f16_u16_e32 v7, v7
	v_and_b32_e32 v3, 15, v3
	v_cvt_f16_u16_e32 v2, v2
	v_cvt_f16_u16_e32 v8, v8
	v_pack_b32_f16 v6, v12, v6
	v_cvt_f16_u16_e32 v12, v13
	v_pack_b32_f16 v4, v4, v7
	v_cvt_f16_u16_e32 v7, v3
	v_pk_fma_f16 v3, v10, v6, v9 op_sel_hi:[0,1,0] neg_lo:[0,0,1] neg_hi:[0,0,1]
	v_pack_b32_f16 v6, v12, v2
	v_pk_fma_f16 v2, v10, v4, v9 op_sel_hi:[0,1,0] neg_lo:[0,0,1] neg_hi:[0,0,1]
	v_pack_b32_f16 v4, v8, v7
	v_pk_fma_f16 v4, v11, v4, v5 op_sel_hi:[0,1,0] neg_lo:[0,0,1] neg_hi:[0,0,1]
	v_pk_fma_f16 v5, v11, v6, v5 op_sel_hi:[0,1,0] neg_lo:[0,0,1] neg_hi:[0,0,1]
	global_store_dwordx2 v[0:1], v[2:3], off
	global_store_dwordx2 v[0:1], v[4:5], off offset:64
	s_endpgm
	.section	.rodata,"a",@progbits
	.p2align	6, 0x0
	.amdhsa_kernel _ZL21dequantize_block_q4_KIN3c104HalfEEvPKvPT_
		.amdhsa_group_segment_fixed_size 0
		.amdhsa_private_segment_fixed_size 0
		.amdhsa_kernarg_size 16
		.amdhsa_user_sgpr_count 6
		.amdhsa_user_sgpr_private_segment_buffer 1
		.amdhsa_user_sgpr_dispatch_ptr 0
		.amdhsa_user_sgpr_queue_ptr 0
		.amdhsa_user_sgpr_kernarg_segment_ptr 1
		.amdhsa_user_sgpr_dispatch_id 0
		.amdhsa_user_sgpr_flat_scratch_init 0
		.amdhsa_user_sgpr_private_segment_size 0
		.amdhsa_uses_dynamic_stack 0
		.amdhsa_system_sgpr_private_segment_wavefront_offset 0
		.amdhsa_system_sgpr_workgroup_id_x 1
		.amdhsa_system_sgpr_workgroup_id_y 0
		.amdhsa_system_sgpr_workgroup_id_z 0
		.amdhsa_system_sgpr_workgroup_info 0
		.amdhsa_system_vgpr_workitem_id 0
		.amdhsa_next_free_vgpr 14
		.amdhsa_next_free_sgpr 8
		.amdhsa_reserve_vcc 1
		.amdhsa_reserve_flat_scratch 0
		.amdhsa_float_round_mode_32 0
		.amdhsa_float_round_mode_16_64 0
		.amdhsa_float_denorm_mode_32 3
		.amdhsa_float_denorm_mode_16_64 3
		.amdhsa_dx10_clamp 1
		.amdhsa_ieee_mode 1
		.amdhsa_fp16_overflow 0
		.amdhsa_exception_fp_ieee_invalid_op 0
		.amdhsa_exception_fp_denorm_src 0
		.amdhsa_exception_fp_ieee_div_zero 0
		.amdhsa_exception_fp_ieee_overflow 0
		.amdhsa_exception_fp_ieee_underflow 0
		.amdhsa_exception_fp_ieee_inexact 0
		.amdhsa_exception_int_div_zero 0
	.end_amdhsa_kernel
	.section	.text._ZL21dequantize_block_q4_KIN3c104HalfEEvPKvPT_,"axG",@progbits,_ZL21dequantize_block_q4_KIN3c104HalfEEvPKvPT_,comdat
.Lfunc_end26:
	.size	_ZL21dequantize_block_q4_KIN3c104HalfEEvPKvPT_, .Lfunc_end26-_ZL21dequantize_block_q4_KIN3c104HalfEEvPKvPT_
                                        ; -- End function
	.set _ZL21dequantize_block_q4_KIN3c104HalfEEvPKvPT_.num_vgpr, 14
	.set _ZL21dequantize_block_q4_KIN3c104HalfEEvPKvPT_.num_agpr, 0
	.set _ZL21dequantize_block_q4_KIN3c104HalfEEvPKvPT_.numbered_sgpr, 8
	.set _ZL21dequantize_block_q4_KIN3c104HalfEEvPKvPT_.num_named_barrier, 0
	.set _ZL21dequantize_block_q4_KIN3c104HalfEEvPKvPT_.private_seg_size, 0
	.set _ZL21dequantize_block_q4_KIN3c104HalfEEvPKvPT_.uses_vcc, 1
	.set _ZL21dequantize_block_q4_KIN3c104HalfEEvPKvPT_.uses_flat_scratch, 0
	.set _ZL21dequantize_block_q4_KIN3c104HalfEEvPKvPT_.has_dyn_sized_stack, 0
	.set _ZL21dequantize_block_q4_KIN3c104HalfEEvPKvPT_.has_recursion, 0
	.set _ZL21dequantize_block_q4_KIN3c104HalfEEvPKvPT_.has_indirect_call, 0
	.section	.AMDGPU.csdata,"",@progbits
; Kernel info:
; codeLenInByte = 664
; TotalNumSgprs: 12
; NumVgprs: 14
; ScratchSize: 0
; MemoryBound: 0
; FloatMode: 240
; IeeeMode: 1
; LDSByteSize: 0 bytes/workgroup (compile time only)
; SGPRBlocks: 1
; VGPRBlocks: 3
; NumSGPRsForWavesPerEU: 12
; NumVGPRsForWavesPerEU: 14
; Occupancy: 10
; WaveLimiterHint : 0
; COMPUTE_PGM_RSRC2:SCRATCH_EN: 0
; COMPUTE_PGM_RSRC2:USER_SGPR: 6
; COMPUTE_PGM_RSRC2:TRAP_HANDLER: 0
; COMPUTE_PGM_RSRC2:TGID_X_EN: 1
; COMPUTE_PGM_RSRC2:TGID_Y_EN: 0
; COMPUTE_PGM_RSRC2:TGID_Z_EN: 0
; COMPUTE_PGM_RSRC2:TIDIG_COMP_CNT: 0
	.section	.text._ZL21dequantize_block_q5_KIN3c104HalfEEvPKvPT_,"axG",@progbits,_ZL21dequantize_block_q5_KIN3c104HalfEEvPKvPT_,comdat
	.globl	_ZL21dequantize_block_q5_KIN3c104HalfEEvPKvPT_ ; -- Begin function _ZL21dequantize_block_q5_KIN3c104HalfEEvPKvPT_
	.p2align	8
	.type	_ZL21dequantize_block_q5_KIN3c104HalfEEvPKvPT_,@function
_ZL21dequantize_block_q5_KIN3c104HalfEEvPKvPT_: ; @_ZL21dequantize_block_q5_KIN3c104HalfEEvPKvPT_
; %bb.0:
	s_load_dwordx2 s[0:1], s[4:5], 0x0
	s_mul_i32 s2, s6, 0xb0
	v_lshrrev_b32_e32 v4, 4, v0
	s_mul_hi_u32 s3, s6, 0xb0
	v_lshlrev_b32_e32 v3, 1, v4
	s_waitcnt lgkmcnt(0)
	s_add_u32 s2, s0, s2
	s_addc_u32 s3, s1, s3
	v_mov_b32_e32 v2, s3
	v_add_co_u32_e64 v1, s[0:1], s2, v3
	v_cmp_lt_u32_e32 vcc, 31, v0
	v_addc_co_u32_e64 v2, s[0:1], 0, v2, s[0:1]
                                        ; implicit-def: $vgpr6
                                        ; implicit-def: $vgpr5
	s_and_saveexec_b64 s[0:1], vcc
	s_xor_b64 s[0:1], exec, s[0:1]
	s_cbranch_execz .LBB27_2
; %bb.1:
	global_load_ubyte v5, v[1:2], off offset:8
	global_load_ubyte v6, v[1:2], off
	global_load_ubyte v7, v[1:2], off offset:4
	s_waitcnt vmcnt(2)
	v_and_b32_e32 v8, 15, v5
	s_waitcnt vmcnt(1)
	v_lshrrev_b16_e32 v6, 2, v6
	v_lshrrev_b16_e32 v9, 4, v5
	s_waitcnt vmcnt(0)
	v_lshrrev_b16_e32 v5, 2, v7
	v_and_b32_e32 v6, 48, v6
	v_and_b32_e32 v7, 48, v5
	v_or_b32_e32 v5, v6, v8
	v_or_b32_e32 v6, v7, v9
.LBB27_2:
	s_andn2_saveexec_b64 s[0:1], s[0:1]
	s_cbranch_execz .LBB27_4
; %bb.3:
	global_load_ubyte v5, v[1:2], off offset:4
	global_load_ubyte v6, v[1:2], off offset:8
	s_waitcnt vmcnt(1)
	v_and_b32_e32 v5, 63, v5
	s_waitcnt vmcnt(0)
	v_and_b32_e32 v6, 63, v6
.LBB27_4:
	s_or_b64 exec, exec, s[0:1]
	s_load_dwordx2 s[0:1], s[4:5], 0x8
	s_load_dword s7, s[2:3], 0x0
                                        ; implicit-def: $vgpr8
                                        ; implicit-def: $vgpr7
	s_and_saveexec_b64 s[4:5], vcc
	s_xor_b64 s[4:5], exec, s[4:5]
	s_cbranch_execz .LBB27_6
; %bb.5:
	global_load_ubyte v7, v[1:2], off offset:9
	global_load_ubyte v8, v[1:2], off offset:1
	;; [unrolled: 1-line block ×3, first 2 shown]
	s_waitcnt vmcnt(2)
	v_and_b32_e32 v1, 15, v7
	s_waitcnt vmcnt(1)
	v_lshrrev_b16_e32 v2, 2, v8
	v_lshrrev_b16_e32 v8, 4, v7
	s_waitcnt vmcnt(0)
	v_lshrrev_b16_e32 v7, 2, v9
	v_and_b32_e32 v2, 48, v2
	v_and_b32_e32 v9, 48, v7
	v_or_b32_e32 v7, v2, v1
	v_or_b32_e32 v8, v9, v8
                                        ; implicit-def: $vgpr1_vgpr2
.LBB27_6:
	s_andn2_saveexec_b64 s[4:5], s[4:5]
	s_cbranch_execz .LBB27_8
; %bb.7:
	global_load_ubyte v7, v[1:2], off offset:5
	global_load_ubyte v8, v[1:2], off offset:9
	s_waitcnt vmcnt(1)
	v_and_b32_e32 v7, 63, v7
	s_waitcnt vmcnt(0)
	v_and_b32_e32 v8, 63, v8
.LBB27_8:
	s_or_b64 exec, exec, s[4:5]
	v_lshlrev_b32_e32 v0, 1, v0
	v_and_b32_e32 v2, 30, v0
	v_lshlrev_b32_e32 v0, 5, v4
	v_mov_b32_e32 v1, s3
	v_add_co_u32_e32 v0, vcc, s2, v0
	v_addc_co_u32_e32 v1, vcc, 0, v1, vcc
	v_add_co_u32_e32 v0, vcc, v0, v2
	v_addc_co_u32_e32 v1, vcc, 0, v1, vcc
	global_load_ushort v9, v[0:1], off offset:48
	global_load_ushort v10, v2, s[2:3] offset:16
	s_mov_b32 s3, 0
	s_lshl_b32 s2, s6, 8
	s_waitcnt lgkmcnt(0)
	s_lshr_b32 s4, s7, 16
	s_lshl_b64 s[2:3], s[2:3], 1
	s_add_u32 s0, s0, s2
	v_cvt_f16_u16_sdwa v0, v6 dst_sel:DWORD dst_unused:UNUSED_PAD src0_sel:BYTE_0
	v_cvt_f16_u16_sdwa v1, v5 dst_sel:DWORD dst_unused:UNUSED_PAD src0_sel:BYTE_0
	v_lshlrev_b32_e32 v4, 7, v4
	s_addc_u32 s1, s1, s3
	v_cvt_f16_u16_sdwa v5, v7 dst_sel:DWORD dst_unused:UNUSED_PAD src0_sel:BYTE_0
	v_lshlrev_b32_e64 v7, v3, 1
	v_mul_f16_e32 v11, s4, v0
	v_mul_f16_e32 v12, s7, v1
	v_lshlrev_b32_e32 v0, 1, v2
	v_mov_b32_e32 v1, s1
	v_add_co_u32_e32 v2, vcc, s0, v4
	v_addc_co_u32_e32 v1, vcc, 0, v1, vcc
	v_lshlrev_b32_e64 v3, v3, 2
	v_cvt_f16_u16_sdwa v6, v8 dst_sel:DWORD dst_unused:UNUSED_PAD src0_sel:BYTE_0
	v_mov_b32_e32 v8, 15
	v_mul_f16_e32 v5, s7, v5
	v_mul_f16_e32 v6, s4, v6
	s_waitcnt vmcnt(1)
	v_lshrrev_b16_e32 v14, 4, v9
	s_waitcnt vmcnt(0)
	v_and_b32_sdwa v13, v7, v10 dst_sel:DWORD dst_unused:UNUSED_PAD src0_sel:DWORD src1_sel:BYTE_1
	v_and_b32_sdwa v7, v7, v10 dst_sel:DWORD dst_unused:UNUSED_PAD src0_sel:DWORD src1_sel:BYTE_0
	v_cmp_eq_u32_e32 vcc, 0, v13
	v_and_b32_sdwa v15, v3, v10 dst_sel:DWORD dst_unused:UNUSED_PAD src0_sel:DWORD src1_sel:BYTE_1
	v_and_b32_sdwa v3, v3, v10 dst_sel:DWORD dst_unused:UNUSED_PAD src0_sel:DWORD src1_sel:BYTE_0
	v_cndmask_b32_e64 v10, 16, 0, vcc
	v_cmp_eq_u32_e32 vcc, 0, v7
	v_cndmask_b32_e64 v7, 16, 0, vcc
	v_cmp_eq_u32_e32 vcc, 0, v15
	v_and_b32_sdwa v4, v9, v8 dst_sel:DWORD dst_unused:UNUSED_PAD src0_sel:BYTE_1 src1_sel:DWORD
	v_and_b32_e32 v8, 15, v9
	v_and_b32_e32 v13, 15, v14
	v_cndmask_b32_e64 v14, 16, 0, vcc
	v_cmp_eq_u32_e32 vcc, 0, v3
	v_lshrrev_b16_e32 v9, 12, v9
	v_cndmask_b32_e64 v3, 16, 0, vcc
	v_or_b32_sdwa v4, v10, v4 dst_sel:DWORD dst_unused:UNUSED_PAD src0_sel:DWORD src1_sel:WORD_0
	v_or_b32_sdwa v7, v7, v8 dst_sel:DWORD dst_unused:UNUSED_PAD src0_sel:DWORD src1_sel:WORD_0
	v_or_b32_e32 v8, v14, v9
	v_or_b32_sdwa v3, v3, v13 dst_sel:DWORD dst_unused:UNUSED_PAD src0_sel:DWORD src1_sel:WORD_0
	v_cvt_f32_ubyte0_e32 v4, v4
	v_cvt_f32_ubyte0_e32 v7, v7
	;; [unrolled: 1-line block ×4, first 2 shown]
	v_cvt_f16_f32_e32 v4, v4
	v_cvt_f16_f32_e32 v7, v7
	;; [unrolled: 1-line block ×4, first 2 shown]
	v_add_co_u32_e32 v0, vcc, v2, v0
	v_pack_b32_f16 v2, v7, v4
	v_addc_co_u32_e32 v1, vcc, 0, v1, vcc
	v_pack_b32_f16 v3, v3, v8
	v_pk_fma_f16 v2, v12, v2, v11 op_sel_hi:[0,1,0] neg_lo:[0,0,1] neg_hi:[0,0,1]
	v_pk_fma_f16 v3, v5, v3, v6 op_sel_hi:[0,1,0] neg_lo:[0,0,1] neg_hi:[0,0,1]
	global_store_dword v[0:1], v2, off
	global_store_dword v[0:1], v3, off offset:64
	s_endpgm
	.section	.rodata,"a",@progbits
	.p2align	6, 0x0
	.amdhsa_kernel _ZL21dequantize_block_q5_KIN3c104HalfEEvPKvPT_
		.amdhsa_group_segment_fixed_size 0
		.amdhsa_private_segment_fixed_size 0
		.amdhsa_kernarg_size 16
		.amdhsa_user_sgpr_count 6
		.amdhsa_user_sgpr_private_segment_buffer 1
		.amdhsa_user_sgpr_dispatch_ptr 0
		.amdhsa_user_sgpr_queue_ptr 0
		.amdhsa_user_sgpr_kernarg_segment_ptr 1
		.amdhsa_user_sgpr_dispatch_id 0
		.amdhsa_user_sgpr_flat_scratch_init 0
		.amdhsa_user_sgpr_private_segment_size 0
		.amdhsa_uses_dynamic_stack 0
		.amdhsa_system_sgpr_private_segment_wavefront_offset 0
		.amdhsa_system_sgpr_workgroup_id_x 1
		.amdhsa_system_sgpr_workgroup_id_y 0
		.amdhsa_system_sgpr_workgroup_id_z 0
		.amdhsa_system_sgpr_workgroup_info 0
		.amdhsa_system_vgpr_workitem_id 0
		.amdhsa_next_free_vgpr 16
		.amdhsa_next_free_sgpr 8
		.amdhsa_reserve_vcc 1
		.amdhsa_reserve_flat_scratch 0
		.amdhsa_float_round_mode_32 0
		.amdhsa_float_round_mode_16_64 0
		.amdhsa_float_denorm_mode_32 3
		.amdhsa_float_denorm_mode_16_64 3
		.amdhsa_dx10_clamp 1
		.amdhsa_ieee_mode 1
		.amdhsa_fp16_overflow 0
		.amdhsa_exception_fp_ieee_invalid_op 0
		.amdhsa_exception_fp_denorm_src 0
		.amdhsa_exception_fp_ieee_div_zero 0
		.amdhsa_exception_fp_ieee_overflow 0
		.amdhsa_exception_fp_ieee_underflow 0
		.amdhsa_exception_fp_ieee_inexact 0
		.amdhsa_exception_int_div_zero 0
	.end_amdhsa_kernel
	.section	.text._ZL21dequantize_block_q5_KIN3c104HalfEEvPKvPT_,"axG",@progbits,_ZL21dequantize_block_q5_KIN3c104HalfEEvPKvPT_,comdat
.Lfunc_end27:
	.size	_ZL21dequantize_block_q5_KIN3c104HalfEEvPKvPT_, .Lfunc_end27-_ZL21dequantize_block_q5_KIN3c104HalfEEvPKvPT_
                                        ; -- End function
	.set _ZL21dequantize_block_q5_KIN3c104HalfEEvPKvPT_.num_vgpr, 16
	.set _ZL21dequantize_block_q5_KIN3c104HalfEEvPKvPT_.num_agpr, 0
	.set _ZL21dequantize_block_q5_KIN3c104HalfEEvPKvPT_.numbered_sgpr, 8
	.set _ZL21dequantize_block_q5_KIN3c104HalfEEvPKvPT_.num_named_barrier, 0
	.set _ZL21dequantize_block_q5_KIN3c104HalfEEvPKvPT_.private_seg_size, 0
	.set _ZL21dequantize_block_q5_KIN3c104HalfEEvPKvPT_.uses_vcc, 1
	.set _ZL21dequantize_block_q5_KIN3c104HalfEEvPKvPT_.uses_flat_scratch, 0
	.set _ZL21dequantize_block_q5_KIN3c104HalfEEvPKvPT_.has_dyn_sized_stack, 0
	.set _ZL21dequantize_block_q5_KIN3c104HalfEEvPKvPT_.has_recursion, 0
	.set _ZL21dequantize_block_q5_KIN3c104HalfEEvPKvPT_.has_indirect_call, 0
	.section	.AMDGPU.csdata,"",@progbits
; Kernel info:
; codeLenInByte = 728
; TotalNumSgprs: 12
; NumVgprs: 16
; ScratchSize: 0
; MemoryBound: 0
; FloatMode: 240
; IeeeMode: 1
; LDSByteSize: 0 bytes/workgroup (compile time only)
; SGPRBlocks: 1
; VGPRBlocks: 3
; NumSGPRsForWavesPerEU: 12
; NumVGPRsForWavesPerEU: 16
; Occupancy: 10
; WaveLimiterHint : 0
; COMPUTE_PGM_RSRC2:SCRATCH_EN: 0
; COMPUTE_PGM_RSRC2:USER_SGPR: 6
; COMPUTE_PGM_RSRC2:TRAP_HANDLER: 0
; COMPUTE_PGM_RSRC2:TGID_X_EN: 1
; COMPUTE_PGM_RSRC2:TGID_Y_EN: 0
; COMPUTE_PGM_RSRC2:TGID_Z_EN: 0
; COMPUTE_PGM_RSRC2:TIDIG_COMP_CNT: 0
	.section	.text._ZL21dequantize_block_q6_KIN3c104HalfEEvPKvPT_,"axG",@progbits,_ZL21dequantize_block_q6_KIN3c104HalfEEvPKvPT_,comdat
	.globl	_ZL21dequantize_block_q6_KIN3c104HalfEEvPKvPT_ ; -- Begin function _ZL21dequantize_block_q6_KIN3c104HalfEEvPKvPT_
	.p2align	8
	.type	_ZL21dequantize_block_q6_KIN3c104HalfEEvPKvPT_,@function
_ZL21dequantize_block_q6_KIN3c104HalfEEvPKvPT_: ; @_ZL21dequantize_block_q6_KIN3c104HalfEEvPKvPT_
; %bb.0:
	s_load_dwordx4 s[0:3], s[4:5], 0x0
	s_lshl_b32 s4, s6, 8
	s_mov_b32 s5, 0
	s_lshl_b64 s[4:5], s[4:5], 1
	v_lshrrev_b32_e32 v3, 5, v0
	s_waitcnt lgkmcnt(0)
	s_add_u32 s2, s2, s4
	s_addc_u32 s3, s3, s5
	s_mul_hi_u32 s4, s6, 0xd2
	s_mulk_i32 s6, 0xd2
	s_add_u32 s0, s0, s6
	s_addc_u32 s1, s1, s4
	v_lshlrev_b32_e32 v1, 6, v3
	v_mov_b32_e32 v2, s1
	v_add_co_u32_e32 v1, vcc, s0, v1
	v_and_b32_e32 v4, 31, v0
	v_addc_co_u32_e32 v2, vcc, 0, v2, vcc
	global_load_ubyte v5, v0, s[0:1] offset:128
	v_add_co_u32_e32 v1, vcc, v1, v4
	v_addc_co_u32_e32 v2, vcc, 0, v2, vcc
	global_load_ubyte v6, v[1:2], off
	global_load_ubyte v7, v[1:2], off offset:32
	v_bfe_u32 v0, v0, 4, 1
	v_lshl_or_b32 v0, v3, 3, v0
	global_load_sbyte v2, v0, s[0:1] offset:192
	global_load_sbyte v8, v0, s[0:1] offset:194
	;; [unrolled: 1-line block ×4, first 2 shown]
	v_mov_b32_e32 v0, 0
	global_load_ushort v11, v0, s[0:1] offset:208
	v_lshlrev_b32_e32 v0, 8, v3
	v_mov_b32_e32 v3, s3
	v_add_co_u32_e32 v0, vcc, s2, v0
	v_lshlrev_b32_e32 v1, 1, v4
	v_addc_co_u32_e32 v3, vcc, 0, v3, vcc
	v_add_co_u32_e32 v0, vcc, v0, v1
	v_addc_co_u32_e32 v1, vcc, 0, v3, vcc
	v_mov_b32_e32 v12, 32
	s_waitcnt vmcnt(7)
	v_lshlrev_b16_e32 v3, 4, v5
	v_lshlrev_b16_e32 v4, 2, v5
	v_and_b32_e32 v13, 48, v5
	v_lshrrev_b16_e32 v5, 2, v5
	v_and_b32_e32 v3, 48, v3
	s_waitcnt vmcnt(6)
	v_and_b32_e32 v14, 15, v6
	v_and_b32_e32 v4, 48, v4
	;; [unrolled: 1-line block ×3, first 2 shown]
	s_waitcnt vmcnt(5)
	v_and_b32_e32 v15, 15, v7
	v_lshrrev_b16_e32 v6, 4, v6
	v_lshrrev_b16_e32 v7, 4, v7
	v_or_b32_e32 v3, v14, v3
	v_or_b32_e32 v4, v15, v4
	;; [unrolled: 1-line block ×4, first 2 shown]
	v_sub_u32_sdwa v3, v3, v12 dst_sel:DWORD dst_unused:UNUSED_PAD src0_sel:WORD_0 src1_sel:DWORD
	v_sub_u32_sdwa v4, v4, v12 dst_sel:DWORD dst_unused:UNUSED_PAD src0_sel:WORD_0 src1_sel:DWORD
	;; [unrolled: 1-line block ×4, first 2 shown]
	s_waitcnt vmcnt(4)
	v_mul_i32_i24_e32 v2, v3, v2
	s_waitcnt vmcnt(3)
	v_mul_i32_i24_e32 v3, v4, v8
	;; [unrolled: 2-line block ×4, first 2 shown]
	v_cvt_f32_i32_e32 v2, v2
	v_cvt_f32_i32_e32 v3, v3
	;; [unrolled: 1-line block ×4, first 2 shown]
	v_cvt_f16_f32_e32 v2, v2
	v_cvt_f16_f32_e32 v3, v3
	;; [unrolled: 1-line block ×4, first 2 shown]
	s_waitcnt vmcnt(0)
	v_mul_f16_e32 v2, v11, v2
	v_mul_f16_e32 v3, v11, v3
	;; [unrolled: 1-line block ×4, first 2 shown]
	global_store_short v[0:1], v2, off
	global_store_short v[0:1], v3, off offset:64
	global_store_short v[0:1], v4, off offset:128
	global_store_short v[0:1], v5, off offset:192
	s_endpgm
	.section	.rodata,"a",@progbits
	.p2align	6, 0x0
	.amdhsa_kernel _ZL21dequantize_block_q6_KIN3c104HalfEEvPKvPT_
		.amdhsa_group_segment_fixed_size 0
		.amdhsa_private_segment_fixed_size 0
		.amdhsa_kernarg_size 16
		.amdhsa_user_sgpr_count 6
		.amdhsa_user_sgpr_private_segment_buffer 1
		.amdhsa_user_sgpr_dispatch_ptr 0
		.amdhsa_user_sgpr_queue_ptr 0
		.amdhsa_user_sgpr_kernarg_segment_ptr 1
		.amdhsa_user_sgpr_dispatch_id 0
		.amdhsa_user_sgpr_flat_scratch_init 0
		.amdhsa_user_sgpr_private_segment_size 0
		.amdhsa_uses_dynamic_stack 0
		.amdhsa_system_sgpr_private_segment_wavefront_offset 0
		.amdhsa_system_sgpr_workgroup_id_x 1
		.amdhsa_system_sgpr_workgroup_id_y 0
		.amdhsa_system_sgpr_workgroup_id_z 0
		.amdhsa_system_sgpr_workgroup_info 0
		.amdhsa_system_vgpr_workitem_id 0
		.amdhsa_next_free_vgpr 16
		.amdhsa_next_free_sgpr 7
		.amdhsa_reserve_vcc 1
		.amdhsa_reserve_flat_scratch 0
		.amdhsa_float_round_mode_32 0
		.amdhsa_float_round_mode_16_64 0
		.amdhsa_float_denorm_mode_32 3
		.amdhsa_float_denorm_mode_16_64 3
		.amdhsa_dx10_clamp 1
		.amdhsa_ieee_mode 1
		.amdhsa_fp16_overflow 0
		.amdhsa_exception_fp_ieee_invalid_op 0
		.amdhsa_exception_fp_denorm_src 0
		.amdhsa_exception_fp_ieee_div_zero 0
		.amdhsa_exception_fp_ieee_overflow 0
		.amdhsa_exception_fp_ieee_underflow 0
		.amdhsa_exception_fp_ieee_inexact 0
		.amdhsa_exception_int_div_zero 0
	.end_amdhsa_kernel
	.section	.text._ZL21dequantize_block_q6_KIN3c104HalfEEvPKvPT_,"axG",@progbits,_ZL21dequantize_block_q6_KIN3c104HalfEEvPKvPT_,comdat
.Lfunc_end28:
	.size	_ZL21dequantize_block_q6_KIN3c104HalfEEvPKvPT_, .Lfunc_end28-_ZL21dequantize_block_q6_KIN3c104HalfEEvPKvPT_
                                        ; -- End function
	.set _ZL21dequantize_block_q6_KIN3c104HalfEEvPKvPT_.num_vgpr, 16
	.set _ZL21dequantize_block_q6_KIN3c104HalfEEvPKvPT_.num_agpr, 0
	.set _ZL21dequantize_block_q6_KIN3c104HalfEEvPKvPT_.numbered_sgpr, 7
	.set _ZL21dequantize_block_q6_KIN3c104HalfEEvPKvPT_.num_named_barrier, 0
	.set _ZL21dequantize_block_q6_KIN3c104HalfEEvPKvPT_.private_seg_size, 0
	.set _ZL21dequantize_block_q6_KIN3c104HalfEEvPKvPT_.uses_vcc, 1
	.set _ZL21dequantize_block_q6_KIN3c104HalfEEvPKvPT_.uses_flat_scratch, 0
	.set _ZL21dequantize_block_q6_KIN3c104HalfEEvPKvPT_.has_dyn_sized_stack, 0
	.set _ZL21dequantize_block_q6_KIN3c104HalfEEvPKvPT_.has_recursion, 0
	.set _ZL21dequantize_block_q6_KIN3c104HalfEEvPKvPT_.has_indirect_call, 0
	.section	.AMDGPU.csdata,"",@progbits
; Kernel info:
; codeLenInByte = 424
; TotalNumSgprs: 11
; NumVgprs: 16
; ScratchSize: 0
; MemoryBound: 0
; FloatMode: 240
; IeeeMode: 1
; LDSByteSize: 0 bytes/workgroup (compile time only)
; SGPRBlocks: 1
; VGPRBlocks: 3
; NumSGPRsForWavesPerEU: 11
; NumVGPRsForWavesPerEU: 16
; Occupancy: 10
; WaveLimiterHint : 0
; COMPUTE_PGM_RSRC2:SCRATCH_EN: 0
; COMPUTE_PGM_RSRC2:USER_SGPR: 6
; COMPUTE_PGM_RSRC2:TRAP_HANDLER: 0
; COMPUTE_PGM_RSRC2:TGID_X_EN: 1
; COMPUTE_PGM_RSRC2:TGID_Y_EN: 0
; COMPUTE_PGM_RSRC2:TGID_Z_EN: 0
; COMPUTE_PGM_RSRC2:TIDIG_COMP_CNT: 0
	.section	.text._ZL24dequantize_block_iq2_xxsIN3c104HalfEEvPKvPT_,"axG",@progbits,_ZL24dequantize_block_iq2_xxsIN3c104HalfEEvPKvPT_,comdat
	.globl	_ZL24dequantize_block_iq2_xxsIN3c104HalfEEvPKvPT_ ; -- Begin function _ZL24dequantize_block_iq2_xxsIN3c104HalfEEvPKvPT_
	.p2align	8
	.type	_ZL24dequantize_block_iq2_xxsIN3c104HalfEEvPKvPT_,@function
_ZL24dequantize_block_iq2_xxsIN3c104HalfEEvPKvPT_: ; @_ZL24dequantize_block_iq2_xxsIN3c104HalfEEvPKvPT_
; %bb.0:
	s_load_dwordx4 s[0:3], s[4:5], 0x0
	s_lshl_b32 s4, s6, 8
	s_mov_b32 s5, 0
	s_lshl_b64 s[4:5], s[4:5], 1
	v_and_b32_e32 v4, 7, v0
	s_waitcnt lgkmcnt(0)
	s_add_u32 s4, s2, s4
	s_addc_u32 s5, s3, s5
	s_mul_hi_u32 s2, s6, 0x42
	s_mulk_i32 s6, 0x42
	s_add_u32 s0, s0, s6
	s_addc_u32 s1, s1, s2
	v_lshlrev_b32_e32 v6, 3, v4
	v_mov_b32_e32 v1, s1
	v_add_co_u32_e32 v2, vcc, s0, v6
	v_lshrrev_b32_e32 v3, 3, v0
	v_addc_co_u32_e32 v7, vcc, 0, v1, vcc
	v_add_co_u32_e32 v1, vcc, v2, v3
	v_addc_co_u32_e32 v2, vcc, 0, v7, vcc
	v_mov_b32_e32 v5, 0
	global_load_ubyte v7, v[1:2], off offset:2
	global_load_ushort v8, v5, s[0:1]
	global_load_dword v9, v6, s[0:1] offset:6
	s_getpc_b64 s[0:1]
	s_add_u32 s0, s0, _ZL11iq2xxs_grid@rel32@lo+4
	s_addc_u32 s1, s1, _ZL11iq2xxs_grid@rel32@hi+12
	v_mul_u32_u24_e32 v1, 7, v3
	s_getpc_b64 s[2:3]
	s_add_u32 s2, s2, _ZL12ksigns_iq2xs@rel32@lo+4
	s_addc_u32 s3, s3, _ZL12ksigns_iq2xs@rel32@hi+12
	v_and_b32_e32 v0, 0x3f8, v0
	v_lshlrev_b32_e32 v0, 1, v0
	s_waitcnt vmcnt(2)
	v_lshlrev_b32_e32 v3, 3, v7
	s_waitcnt vmcnt(0)
	v_bfe_u32 v6, v9, v1, 7
	global_load_dwordx2 v[1:2], v3, s[0:1]
	global_load_sbyte v7, v6, s[2:3]
	v_lshlrev_b32_e32 v3, 6, v4
	v_mov_b32_e32 v4, s5
	v_add_co_u32_e32 v3, vcc, s4, v3
	v_addc_co_u32_e32 v5, vcc, 0, v4, vcc
	v_add_co_u32_e32 v4, vcc, v3, v0
	v_cvt_f32_f16_e32 v0, v8
	v_lshrrev_b32_e32 v3, 28, v9
	v_cvt_f32_ubyte0_e32 v3, v3
	v_add_f32_e32 v3, 0.5, v3
	v_mul_f32_e32 v0, v3, v0
	v_addc_co_u32_e32 v5, vcc, 0, v5, vcc
	v_mul_f32_e32 v0, 0x3e800000, v0
	s_waitcnt vmcnt(1)
	v_cvt_f32_ubyte0_e32 v3, v1
	s_waitcnt vmcnt(0)
	v_and_b32_e32 v8, 1, v7
	v_cvt_f32_ubyte1_e32 v9, v1
	v_and_b32_e32 v10, 2, v7
	v_cvt_f32_ubyte2_e32 v11, v1
	v_cvt_f32_ubyte3_e32 v1, v1
	v_cvt_f32_ubyte0_e32 v14, v2
	v_cvt_f32_ubyte1_e32 v16, v2
	v_cvt_f32_ubyte2_e32 v18, v2
	v_cvt_f32_ubyte3_e32 v2, v2
	v_mul_f32_e32 v3, v0, v3
	v_cmp_eq_u16_e32 vcc, 0, v8
	v_and_b32_e32 v12, 4, v7
	v_mul_f32_e32 v9, v0, v9
	v_mul_f32_e32 v11, v0, v11
	;; [unrolled: 1-line block ×7, first 2 shown]
	v_cndmask_b32_e64 v2, -v3, v3, vcc
	v_cmp_eq_u16_e32 vcc, 0, v10
	v_and_b32_e32 v13, 8, v7
	v_cndmask_b32_e64 v3, -v9, v9, vcc
	v_cmp_eq_u16_e32 vcc, 0, v12
	v_and_b32_e32 v15, 16, v7
	;; [unrolled: 3-line block ×3, first 2 shown]
	v_cndmask_b32_e64 v1, -v1, v1, vcc
	v_cmp_eq_u16_e32 vcc, 0, v15
	v_cndmask_b32_e64 v9, -v14, v14, vcc
	v_cmp_eq_u16_e32 vcc, 0, v17
	v_cndmask_b32_e64 v10, -v16, v16, vcc
	v_cmp_gt_u32_e32 vcc, 64, v6
	v_cndmask_b32_e64 v6, -v18, v18, vcc
	v_cmp_gt_i16_e32 vcc, 0, v7
	v_cndmask_b32_e64 v0, v0, -v0, vcc
	v_cvt_f16_f32_e32 v7, v2
	v_cvt_f16_f32_e32 v8, v8
	;; [unrolled: 1-line block ×8, first 2 shown]
	v_pack_b32_f16 v3, v6, v0
	v_pack_b32_f16 v2, v2, v9
	v_pack_b32_f16 v1, v8, v1
	v_pack_b32_f16 v0, v7, v10
	global_store_dwordx4 v[4:5], v[0:3], off
	s_endpgm
	.section	.rodata,"a",@progbits
	.p2align	6, 0x0
	.amdhsa_kernel _ZL24dequantize_block_iq2_xxsIN3c104HalfEEvPKvPT_
		.amdhsa_group_segment_fixed_size 0
		.amdhsa_private_segment_fixed_size 0
		.amdhsa_kernarg_size 16
		.amdhsa_user_sgpr_count 6
		.amdhsa_user_sgpr_private_segment_buffer 1
		.amdhsa_user_sgpr_dispatch_ptr 0
		.amdhsa_user_sgpr_queue_ptr 0
		.amdhsa_user_sgpr_kernarg_segment_ptr 1
		.amdhsa_user_sgpr_dispatch_id 0
		.amdhsa_user_sgpr_flat_scratch_init 0
		.amdhsa_user_sgpr_private_segment_size 0
		.amdhsa_uses_dynamic_stack 0
		.amdhsa_system_sgpr_private_segment_wavefront_offset 0
		.amdhsa_system_sgpr_workgroup_id_x 1
		.amdhsa_system_sgpr_workgroup_id_y 0
		.amdhsa_system_sgpr_workgroup_id_z 0
		.amdhsa_system_sgpr_workgroup_info 0
		.amdhsa_system_vgpr_workitem_id 0
		.amdhsa_next_free_vgpr 19
		.amdhsa_next_free_sgpr 7
		.amdhsa_reserve_vcc 1
		.amdhsa_reserve_flat_scratch 0
		.amdhsa_float_round_mode_32 0
		.amdhsa_float_round_mode_16_64 0
		.amdhsa_float_denorm_mode_32 3
		.amdhsa_float_denorm_mode_16_64 3
		.amdhsa_dx10_clamp 1
		.amdhsa_ieee_mode 1
		.amdhsa_fp16_overflow 0
		.amdhsa_exception_fp_ieee_invalid_op 0
		.amdhsa_exception_fp_denorm_src 0
		.amdhsa_exception_fp_ieee_div_zero 0
		.amdhsa_exception_fp_ieee_overflow 0
		.amdhsa_exception_fp_ieee_underflow 0
		.amdhsa_exception_fp_ieee_inexact 0
		.amdhsa_exception_int_div_zero 0
	.end_amdhsa_kernel
	.section	.text._ZL24dequantize_block_iq2_xxsIN3c104HalfEEvPKvPT_,"axG",@progbits,_ZL24dequantize_block_iq2_xxsIN3c104HalfEEvPKvPT_,comdat
.Lfunc_end29:
	.size	_ZL24dequantize_block_iq2_xxsIN3c104HalfEEvPKvPT_, .Lfunc_end29-_ZL24dequantize_block_iq2_xxsIN3c104HalfEEvPKvPT_
                                        ; -- End function
	.set _ZL24dequantize_block_iq2_xxsIN3c104HalfEEvPKvPT_.num_vgpr, 19
	.set _ZL24dequantize_block_iq2_xxsIN3c104HalfEEvPKvPT_.num_agpr, 0
	.set _ZL24dequantize_block_iq2_xxsIN3c104HalfEEvPKvPT_.numbered_sgpr, 7
	.set _ZL24dequantize_block_iq2_xxsIN3c104HalfEEvPKvPT_.num_named_barrier, 0
	.set _ZL24dequantize_block_iq2_xxsIN3c104HalfEEvPKvPT_.private_seg_size, 0
	.set _ZL24dequantize_block_iq2_xxsIN3c104HalfEEvPKvPT_.uses_vcc, 1
	.set _ZL24dequantize_block_iq2_xxsIN3c104HalfEEvPKvPT_.uses_flat_scratch, 0
	.set _ZL24dequantize_block_iq2_xxsIN3c104HalfEEvPKvPT_.has_dyn_sized_stack, 0
	.set _ZL24dequantize_block_iq2_xxsIN3c104HalfEEvPKvPT_.has_recursion, 0
	.set _ZL24dequantize_block_iq2_xxsIN3c104HalfEEvPKvPT_.has_indirect_call, 0
	.section	.AMDGPU.csdata,"",@progbits
; Kernel info:
; codeLenInByte = 524
; TotalNumSgprs: 11
; NumVgprs: 19
; ScratchSize: 0
; MemoryBound: 0
; FloatMode: 240
; IeeeMode: 1
; LDSByteSize: 0 bytes/workgroup (compile time only)
; SGPRBlocks: 1
; VGPRBlocks: 4
; NumSGPRsForWavesPerEU: 11
; NumVGPRsForWavesPerEU: 19
; Occupancy: 10
; WaveLimiterHint : 0
; COMPUTE_PGM_RSRC2:SCRATCH_EN: 0
; COMPUTE_PGM_RSRC2:USER_SGPR: 6
; COMPUTE_PGM_RSRC2:TRAP_HANDLER: 0
; COMPUTE_PGM_RSRC2:TGID_X_EN: 1
; COMPUTE_PGM_RSRC2:TGID_Y_EN: 0
; COMPUTE_PGM_RSRC2:TGID_Z_EN: 0
; COMPUTE_PGM_RSRC2:TIDIG_COMP_CNT: 0
	.section	.text._ZL23dequantize_block_iq2_xsIN3c104HalfEEvPKvPT_,"axG",@progbits,_ZL23dequantize_block_iq2_xsIN3c104HalfEEvPKvPT_,comdat
	.globl	_ZL23dequantize_block_iq2_xsIN3c104HalfEEvPKvPT_ ; -- Begin function _ZL23dequantize_block_iq2_xsIN3c104HalfEEvPKvPT_
	.p2align	8
	.type	_ZL23dequantize_block_iq2_xsIN3c104HalfEEvPKvPT_,@function
_ZL23dequantize_block_iq2_xsIN3c104HalfEEvPKvPT_: ; @_ZL23dequantize_block_iq2_xsIN3c104HalfEEvPKvPT_
; %bb.0:
	s_load_dwordx4 s[0:3], s[4:5], 0x0
	s_lshl_b32 s4, s6, 8
	s_mov_b32 s5, 0
	s_lshl_b64 s[4:5], s[4:5], 1
	v_and_b32_e32 v5, 7, v0
	s_waitcnt lgkmcnt(0)
	s_add_u32 s7, s2, s4
	s_addc_u32 s8, s3, s5
	s_mul_hi_u32 s2, s6, 0x4a
	s_mulk_i32 s6, 0x4a
	s_add_u32 s0, s0, s6
	s_addc_u32 s1, s1, s2
	v_lshlrev_b32_e32 v1, 3, v5
	v_mov_b32_e32 v2, s1
	v_add_co_u32_e32 v1, vcc, s0, v1
	v_lshrrev_b32_e32 v6, 2, v0
	v_addc_co_u32_e32 v2, vcc, 0, v2, vcc
	v_and_b32_e32 v3, 0xfe, v6
	v_add_co_u32_e32 v1, vcc, v1, v3
	v_addc_co_u32_e32 v2, vcc, 0, v2, vcc
	global_load_ushort v7, v[1:2], off offset:2
	v_mov_b32_e32 v1, 0
	global_load_ushort v8, v1, s[0:1]
	global_load_ubyte v9, v5, s[0:1] offset:66
	s_getpc_b64 s[2:3]
	s_add_u32 s2, s2, _ZL10iq2xs_grid@rel32@lo+4
	s_addc_u32 s3, s3, _ZL10iq2xs_grid@rel32@hi+12
	v_mov_b32_e32 v2, 3
	s_getpc_b64 s[4:5]
	s_add_u32 s4, s4, _ZL12ksigns_iq2xs@rel32@lo+4
	s_addc_u32 s5, s5, _ZL12ksigns_iq2xs@rel32@hi+12
	v_mov_b32_e32 v3, s5
	v_and_b32_e32 v0, 0x3f8, v0
	v_lshlrev_b32_e32 v0, 1, v0
	s_waitcnt vmcnt(2)
	v_and_b32_e32 v1, 0x1ff, v7
	v_lshrrev_b16_e32 v4, 9, v7
	v_lshlrev_b32_sdwa v10, v2, v1 dst_sel:DWORD dst_unused:UNUSED_PAD src0_sel:DWORD src1_sel:WORD_0
	v_add_co_u32_e32 v1, vcc, s4, v4
	v_addc_co_u32_e32 v2, vcc, 0, v3, vcc
	global_load_dwordx2 v[3:4], v10, s[2:3]
	global_load_sbyte v11, v[1:2], off
	v_lshlrev_b32_e32 v1, 6, v5
	v_mov_b32_e32 v5, s8
	v_add_co_u32_e32 v1, vcc, s7, v1
	v_and_b32_e32 v2, 0xfc, v6
	v_addc_co_u32_e32 v6, vcc, 0, v5, vcc
	v_add_co_u32_e32 v5, vcc, v1, v0
	s_waitcnt vmcnt(3)
	v_cvt_f32_f16_e32 v0, v8
	s_waitcnt vmcnt(2)
	v_bfe_u32 v1, v9, v2, 4
	v_cvt_f32_ubyte0_e32 v1, v1
	v_add_f32_e32 v1, 0.5, v1
	v_mul_f32_e32 v0, v1, v0
	v_addc_co_u32_e32 v6, vcc, 0, v6, vcc
	v_mul_f32_e32 v0, 0x3e800000, v0
	s_waitcnt vmcnt(1)
	v_cvt_f32_ubyte0_e32 v1, v3
	s_waitcnt vmcnt(0)
	v_and_b32_e32 v2, 1, v11
	v_cvt_f32_ubyte1_e32 v8, v3
	v_and_b32_e32 v9, 2, v11
	v_mul_f32_e32 v1, v0, v1
	v_cmp_eq_u16_e32 vcc, 0, v2
	v_cvt_f32_ubyte2_e32 v10, v3
	v_and_b32_e32 v12, 4, v11
	v_mul_f32_e32 v8, v0, v8
	v_cndmask_b32_e64 v1, -v1, v1, vcc
	v_cmp_eq_u16_e32 vcc, 0, v9
	v_cvt_f32_ubyte3_e32 v3, v3
	v_and_b32_e32 v13, 8, v11
	v_cvt_f32_ubyte0_e32 v14, v4
	v_cvt_f32_ubyte1_e32 v16, v4
	v_cvt_f32_ubyte2_e32 v18, v4
	v_cvt_f32_ubyte3_e32 v4, v4
	v_mul_f32_e32 v10, v0, v10
	v_cndmask_b32_e64 v2, -v8, v8, vcc
	v_cmp_eq_u16_e32 vcc, 0, v12
	v_and_b32_e32 v15, 16, v11
	v_mul_f32_e32 v3, v0, v3
	v_mul_f32_e32 v14, v0, v14
	;; [unrolled: 1-line block ×5, first 2 shown]
	v_cndmask_b32_e64 v4, -v10, v10, vcc
	v_cmp_eq_u16_e32 vcc, 0, v13
	v_and_b32_e32 v17, 32, v11
	v_cndmask_b32_e64 v3, -v3, v3, vcc
	v_cmp_eq_u16_e32 vcc, 0, v15
	v_cndmask_b32_e64 v8, -v14, v14, vcc
	v_cmp_eq_u16_e32 vcc, 0, v17
	v_cndmask_b32_e64 v9, -v16, v16, vcc
	v_cmp_gt_i16_e32 vcc, 0, v7
	v_cndmask_b32_e64 v7, v18, -v18, vcc
	v_cmp_gt_i16_e32 vcc, 0, v11
	v_cndmask_b32_e64 v0, v0, -v0, vcc
	v_cvt_f16_f32_e32 v10, v1
	v_cvt_f16_f32_e32 v1, v4
	;; [unrolled: 1-line block ×8, first 2 shown]
	v_pack_b32_f16 v3, v7, v0
	v_pack_b32_f16 v2, v4, v8
	;; [unrolled: 1-line block ×4, first 2 shown]
	global_store_dwordx4 v[5:6], v[0:3], off
	s_endpgm
	.section	.rodata,"a",@progbits
	.p2align	6, 0x0
	.amdhsa_kernel _ZL23dequantize_block_iq2_xsIN3c104HalfEEvPKvPT_
		.amdhsa_group_segment_fixed_size 0
		.amdhsa_private_segment_fixed_size 0
		.amdhsa_kernarg_size 16
		.amdhsa_user_sgpr_count 6
		.amdhsa_user_sgpr_private_segment_buffer 1
		.amdhsa_user_sgpr_dispatch_ptr 0
		.amdhsa_user_sgpr_queue_ptr 0
		.amdhsa_user_sgpr_kernarg_segment_ptr 1
		.amdhsa_user_sgpr_dispatch_id 0
		.amdhsa_user_sgpr_flat_scratch_init 0
		.amdhsa_user_sgpr_private_segment_size 0
		.amdhsa_uses_dynamic_stack 0
		.amdhsa_system_sgpr_private_segment_wavefront_offset 0
		.amdhsa_system_sgpr_workgroup_id_x 1
		.amdhsa_system_sgpr_workgroup_id_y 0
		.amdhsa_system_sgpr_workgroup_id_z 0
		.amdhsa_system_sgpr_workgroup_info 0
		.amdhsa_system_vgpr_workitem_id 0
		.amdhsa_next_free_vgpr 19
		.amdhsa_next_free_sgpr 9
		.amdhsa_reserve_vcc 1
		.amdhsa_reserve_flat_scratch 0
		.amdhsa_float_round_mode_32 0
		.amdhsa_float_round_mode_16_64 0
		.amdhsa_float_denorm_mode_32 3
		.amdhsa_float_denorm_mode_16_64 3
		.amdhsa_dx10_clamp 1
		.amdhsa_ieee_mode 1
		.amdhsa_fp16_overflow 0
		.amdhsa_exception_fp_ieee_invalid_op 0
		.amdhsa_exception_fp_denorm_src 0
		.amdhsa_exception_fp_ieee_div_zero 0
		.amdhsa_exception_fp_ieee_overflow 0
		.amdhsa_exception_fp_ieee_underflow 0
		.amdhsa_exception_fp_ieee_inexact 0
		.amdhsa_exception_int_div_zero 0
	.end_amdhsa_kernel
	.section	.text._ZL23dequantize_block_iq2_xsIN3c104HalfEEvPKvPT_,"axG",@progbits,_ZL23dequantize_block_iq2_xsIN3c104HalfEEvPKvPT_,comdat
.Lfunc_end30:
	.size	_ZL23dequantize_block_iq2_xsIN3c104HalfEEvPKvPT_, .Lfunc_end30-_ZL23dequantize_block_iq2_xsIN3c104HalfEEvPKvPT_
                                        ; -- End function
	.set _ZL23dequantize_block_iq2_xsIN3c104HalfEEvPKvPT_.num_vgpr, 19
	.set _ZL23dequantize_block_iq2_xsIN3c104HalfEEvPKvPT_.num_agpr, 0
	.set _ZL23dequantize_block_iq2_xsIN3c104HalfEEvPKvPT_.numbered_sgpr, 9
	.set _ZL23dequantize_block_iq2_xsIN3c104HalfEEvPKvPT_.num_named_barrier, 0
	.set _ZL23dequantize_block_iq2_xsIN3c104HalfEEvPKvPT_.private_seg_size, 0
	.set _ZL23dequantize_block_iq2_xsIN3c104HalfEEvPKvPT_.uses_vcc, 1
	.set _ZL23dequantize_block_iq2_xsIN3c104HalfEEvPKvPT_.uses_flat_scratch, 0
	.set _ZL23dequantize_block_iq2_xsIN3c104HalfEEvPKvPT_.has_dyn_sized_stack, 0
	.set _ZL23dequantize_block_iq2_xsIN3c104HalfEEvPKvPT_.has_recursion, 0
	.set _ZL23dequantize_block_iq2_xsIN3c104HalfEEvPKvPT_.has_indirect_call, 0
	.section	.AMDGPU.csdata,"",@progbits
; Kernel info:
; codeLenInByte = 568
; TotalNumSgprs: 13
; NumVgprs: 19
; ScratchSize: 0
; MemoryBound: 0
; FloatMode: 240
; IeeeMode: 1
; LDSByteSize: 0 bytes/workgroup (compile time only)
; SGPRBlocks: 1
; VGPRBlocks: 4
; NumSGPRsForWavesPerEU: 13
; NumVGPRsForWavesPerEU: 19
; Occupancy: 10
; WaveLimiterHint : 0
; COMPUTE_PGM_RSRC2:SCRATCH_EN: 0
; COMPUTE_PGM_RSRC2:USER_SGPR: 6
; COMPUTE_PGM_RSRC2:TRAP_HANDLER: 0
; COMPUTE_PGM_RSRC2:TGID_X_EN: 1
; COMPUTE_PGM_RSRC2:TGID_Y_EN: 0
; COMPUTE_PGM_RSRC2:TGID_Z_EN: 0
; COMPUTE_PGM_RSRC2:TIDIG_COMP_CNT: 0
	.section	.text._ZL24dequantize_block_iq3_xxsIN3c104HalfEEvPKvPT_,"axG",@progbits,_ZL24dequantize_block_iq3_xxsIN3c104HalfEEvPKvPT_,comdat
	.globl	_ZL24dequantize_block_iq3_xxsIN3c104HalfEEvPKvPT_ ; -- Begin function _ZL24dequantize_block_iq3_xxsIN3c104HalfEEvPKvPT_
	.p2align	8
	.type	_ZL24dequantize_block_iq3_xxsIN3c104HalfEEvPKvPT_,@function
_ZL24dequantize_block_iq3_xxsIN3c104HalfEEvPKvPT_: ; @_ZL24dequantize_block_iq3_xxsIN3c104HalfEEvPKvPT_
; %bb.0:
	s_load_dwordx4 s[0:3], s[4:5], 0x0
	s_lshl_b32 s4, s6, 8
	s_mov_b32 s5, 0
	s_lshl_b64 s[4:5], s[4:5], 1
	v_and_b32_e32 v4, 7, v0
	s_waitcnt lgkmcnt(0)
	s_add_u32 s4, s2, s4
	s_addc_u32 s5, s3, s5
	s_mul_hi_u32 s2, s6, 0x62
	s_mulk_i32 s6, 0x62
	s_add_u32 s0, s0, s6
	s_addc_u32 s1, s1, s2
	v_lshlrev_b32_e32 v1, 3, v4
	v_lshrrev_b32_e32 v3, 3, v0
	v_mov_b32_e32 v2, s1
	v_add_co_u32_e32 v1, vcc, s0, v1
	v_addc_co_u32_e32 v2, vcc, 0, v2, vcc
	v_lshlrev_b32_e32 v7, 1, v3
	v_add_co_u32_e32 v1, vcc, v1, v7
	v_addc_co_u32_e32 v2, vcc, 0, v2, vcc
	v_mov_b32_e32 v5, 0
	v_lshlrev_b32_e32 v6, 2, v4
	global_load_ushort v7, v[1:2], off offset:2
	global_load_ushort v8, v5, s[0:1]
	global_load_dword v9, v6, s[0:1] offset:66
	v_mov_b32_e32 v1, 2
	s_getpc_b64 s[0:1]
	s_add_u32 s0, s0, _ZL11iq3xxs_grid@rel32@lo+4
	s_addc_u32 s1, s1, _ZL11iq3xxs_grid@rel32@hi+12
	v_mul_u32_u24_e32 v2, 7, v3
	s_getpc_b64 s[2:3]
	s_add_u32 s2, s2, _ZL12ksigns_iq2xs@rel32@lo+4
	s_addc_u32 s3, s3, _ZL12ksigns_iq2xs@rel32@hi+12
	v_and_b32_e32 v0, 0x3f8, v0
	v_lshlrev_b32_e32 v0, 1, v0
	s_waitcnt vmcnt(2)
	v_lshlrev_b32_sdwa v3, v1, v7 dst_sel:DWORD dst_unused:UNUSED_PAD src0_sel:DWORD src1_sel:BYTE_0
	v_lshlrev_b32_sdwa v1, v1, v7 dst_sel:DWORD dst_unused:UNUSED_PAD src0_sel:DWORD src1_sel:BYTE_1
	s_waitcnt vmcnt(0)
	v_bfe_u32 v2, v9, v2, 7
	global_load_dword v6, v3, s[0:1]
	global_load_sbyte v7, v2, s[2:3]
	global_load_dword v10, v1, s[0:1]
	v_lshlrev_b32_e32 v1, 6, v4
	v_mov_b32_e32 v3, s5
	v_add_co_u32_e32 v1, vcc, s4, v1
	v_addc_co_u32_e32 v3, vcc, 0, v3, vcc
	v_add_co_u32_e32 v4, vcc, v1, v0
	v_cvt_f32_f16_e32 v0, v8
	v_lshrrev_b32_e32 v1, 28, v9
	v_cvt_f32_ubyte0_e32 v1, v1
	v_add_f32_e32 v1, 0.5, v1
	v_mul_f32_e32 v0, v1, v0
	v_addc_co_u32_e32 v5, vcc, 0, v3, vcc
	v_mul_f32_e32 v0, 0.5, v0
	s_waitcnt vmcnt(2)
	v_cvt_f32_ubyte0_e32 v1, v6
	s_waitcnt vmcnt(1)
	v_and_b32_e32 v3, 1, v7
	s_waitcnt vmcnt(0)
	v_cvt_f32_ubyte0_e32 v8, v10
	v_and_b32_e32 v9, 16, v7
	v_mul_f32_e32 v1, v0, v1
	v_cmp_eq_u16_e32 vcc, 0, v3
	v_cvt_f32_ubyte1_e32 v11, v6
	v_and_b32_e32 v12, 2, v7
	v_mul_f32_e32 v8, v0, v8
	v_cndmask_b32_e64 v1, -v1, v1, vcc
	v_cmp_eq_u16_e32 vcc, 0, v9
	v_cvt_f32_ubyte1_e32 v13, v10
	v_and_b32_e32 v14, 32, v7
	v_mul_f32_e32 v11, v0, v11
	v_cndmask_b32_e64 v3, -v8, v8, vcc
	v_cmp_eq_u16_e32 vcc, 0, v12
	v_cvt_f32_ubyte2_e32 v15, v6
	v_and_b32_e32 v16, 4, v7
	v_mul_f32_e32 v13, v0, v13
	v_cndmask_b32_e64 v8, -v11, v11, vcc
	v_cmp_eq_u16_e32 vcc, 0, v14
	v_cvt_f32_ubyte2_e32 v17, v10
	v_cvt_f32_ubyte3_e32 v6, v6
	v_cvt_f32_ubyte3_e32 v10, v10
	v_mul_f32_e32 v15, v0, v15
	v_cndmask_b32_e64 v9, -v13, v13, vcc
	v_cmp_eq_u16_e32 vcc, 0, v16
	v_and_b32_e32 v18, 8, v7
	v_mul_f32_e32 v17, v0, v17
	v_mul_f32_e32 v6, v0, v6
	;; [unrolled: 1-line block ×3, first 2 shown]
	v_cndmask_b32_e64 v10, -v15, v15, vcc
	v_cmp_gt_u32_e32 vcc, 64, v2
	v_cndmask_b32_e64 v2, -v17, v17, vcc
	v_cmp_eq_u16_e32 vcc, 0, v18
	v_cndmask_b32_e64 v6, -v6, v6, vcc
	v_cmp_gt_i16_e32 vcc, 0, v7
	v_cndmask_b32_e64 v0, v0, -v0, vcc
	v_cvt_f16_f32_e32 v7, v1
	v_cvt_f16_f32_e32 v1, v3
	v_cvt_f16_f32_e32 v9, v9
	v_cvt_f16_f32_e32 v2, v2
	v_cvt_f16_f32_e32 v0, v0
	v_cvt_f16_f32_e32 v10, v10
	v_cvt_f16_f32_e32 v6, v6
	v_cvt_f16_f32_e32 v8, v8
	v_pack_b32_f16 v3, v2, v0
	v_pack_b32_f16 v2, v1, v9
	;; [unrolled: 1-line block ×4, first 2 shown]
	global_store_dwordx4 v[4:5], v[0:3], off
	s_endpgm
	.section	.rodata,"a",@progbits
	.p2align	6, 0x0
	.amdhsa_kernel _ZL24dequantize_block_iq3_xxsIN3c104HalfEEvPKvPT_
		.amdhsa_group_segment_fixed_size 0
		.amdhsa_private_segment_fixed_size 0
		.amdhsa_kernarg_size 16
		.amdhsa_user_sgpr_count 6
		.amdhsa_user_sgpr_private_segment_buffer 1
		.amdhsa_user_sgpr_dispatch_ptr 0
		.amdhsa_user_sgpr_queue_ptr 0
		.amdhsa_user_sgpr_kernarg_segment_ptr 1
		.amdhsa_user_sgpr_dispatch_id 0
		.amdhsa_user_sgpr_flat_scratch_init 0
		.amdhsa_user_sgpr_private_segment_size 0
		.amdhsa_uses_dynamic_stack 0
		.amdhsa_system_sgpr_private_segment_wavefront_offset 0
		.amdhsa_system_sgpr_workgroup_id_x 1
		.amdhsa_system_sgpr_workgroup_id_y 0
		.amdhsa_system_sgpr_workgroup_id_z 0
		.amdhsa_system_sgpr_workgroup_info 0
		.amdhsa_system_vgpr_workitem_id 0
		.amdhsa_next_free_vgpr 19
		.amdhsa_next_free_sgpr 7
		.amdhsa_reserve_vcc 1
		.amdhsa_reserve_flat_scratch 0
		.amdhsa_float_round_mode_32 0
		.amdhsa_float_round_mode_16_64 0
		.amdhsa_float_denorm_mode_32 3
		.amdhsa_float_denorm_mode_16_64 3
		.amdhsa_dx10_clamp 1
		.amdhsa_ieee_mode 1
		.amdhsa_fp16_overflow 0
		.amdhsa_exception_fp_ieee_invalid_op 0
		.amdhsa_exception_fp_denorm_src 0
		.amdhsa_exception_fp_ieee_div_zero 0
		.amdhsa_exception_fp_ieee_overflow 0
		.amdhsa_exception_fp_ieee_underflow 0
		.amdhsa_exception_fp_ieee_inexact 0
		.amdhsa_exception_int_div_zero 0
	.end_amdhsa_kernel
	.section	.text._ZL24dequantize_block_iq3_xxsIN3c104HalfEEvPKvPT_,"axG",@progbits,_ZL24dequantize_block_iq3_xxsIN3c104HalfEEvPKvPT_,comdat
.Lfunc_end31:
	.size	_ZL24dequantize_block_iq3_xxsIN3c104HalfEEvPKvPT_, .Lfunc_end31-_ZL24dequantize_block_iq3_xxsIN3c104HalfEEvPKvPT_
                                        ; -- End function
	.set _ZL24dequantize_block_iq3_xxsIN3c104HalfEEvPKvPT_.num_vgpr, 19
	.set _ZL24dequantize_block_iq3_xxsIN3c104HalfEEvPKvPT_.num_agpr, 0
	.set _ZL24dequantize_block_iq3_xxsIN3c104HalfEEvPKvPT_.numbered_sgpr, 7
	.set _ZL24dequantize_block_iq3_xxsIN3c104HalfEEvPKvPT_.num_named_barrier, 0
	.set _ZL24dequantize_block_iq3_xxsIN3c104HalfEEvPKvPT_.private_seg_size, 0
	.set _ZL24dequantize_block_iq3_xxsIN3c104HalfEEvPKvPT_.uses_vcc, 1
	.set _ZL24dequantize_block_iq3_xxsIN3c104HalfEEvPKvPT_.uses_flat_scratch, 0
	.set _ZL24dequantize_block_iq3_xxsIN3c104HalfEEvPKvPT_.has_dyn_sized_stack, 0
	.set _ZL24dequantize_block_iq3_xxsIN3c104HalfEEvPKvPT_.has_recursion, 0
	.set _ZL24dequantize_block_iq3_xxsIN3c104HalfEEvPKvPT_.has_indirect_call, 0
	.section	.AMDGPU.csdata,"",@progbits
; Kernel info:
; codeLenInByte = 556
; TotalNumSgprs: 11
; NumVgprs: 19
; ScratchSize: 0
; MemoryBound: 0
; FloatMode: 240
; IeeeMode: 1
; LDSByteSize: 0 bytes/workgroup (compile time only)
; SGPRBlocks: 1
; VGPRBlocks: 4
; NumSGPRsForWavesPerEU: 11
; NumVGPRsForWavesPerEU: 19
; Occupancy: 10
; WaveLimiterHint : 0
; COMPUTE_PGM_RSRC2:SCRATCH_EN: 0
; COMPUTE_PGM_RSRC2:USER_SGPR: 6
; COMPUTE_PGM_RSRC2:TRAP_HANDLER: 0
; COMPUTE_PGM_RSRC2:TGID_X_EN: 1
; COMPUTE_PGM_RSRC2:TGID_Y_EN: 0
; COMPUTE_PGM_RSRC2:TGID_Z_EN: 0
; COMPUTE_PGM_RSRC2:TIDIG_COMP_CNT: 0
	.section	.text._ZL22dequantize_block_iq1_sIN3c104HalfEEvPKvPT_,"axG",@progbits,_ZL22dequantize_block_iq1_sIN3c104HalfEEvPKvPT_,comdat
	.globl	_ZL22dequantize_block_iq1_sIN3c104HalfEEvPKvPT_ ; -- Begin function _ZL22dequantize_block_iq1_sIN3c104HalfEEvPKvPT_
	.p2align	8
	.type	_ZL22dequantize_block_iq1_sIN3c104HalfEEvPKvPT_,@function
_ZL22dequantize_block_iq1_sIN3c104HalfEEvPKvPT_: ; @_ZL22dequantize_block_iq1_sIN3c104HalfEEvPKvPT_
; %bb.0:
	s_load_dwordx4 s[0:3], s[4:5], 0x0
	s_mov_b32 s7, 0
	s_lshl_b64 s[4:5], s[6:7], 9
	v_and_b32_e32 v4, 7, v0
	v_lshlrev_b32_e32 v1, 1, v4
	s_waitcnt lgkmcnt(0)
	s_add_u32 s2, s2, s4
	s_addc_u32 s3, s3, s5
	s_mul_i32 s5, s6, 50
	s_mul_hi_u32 s4, s6, 50
	s_add_u32 s0, s0, s5
	s_addc_u32 s1, s1, s4
	v_mov_b32_e32 v2, s1
	v_add_co_u32_e32 v5, vcc, s0, v1
	v_addc_co_u32_e32 v2, vcc, 0, v2, vcc
	global_load_ushort v6, v1, s[0:1] offset:34
	v_add_co_u32_e32 v1, vcc, v5, v1
	v_lshrrev_b32_e32 v3, 3, v0
	v_addc_co_u32_e32 v2, vcc, 0, v2, vcc
	v_add_co_u32_e32 v1, vcc, v1, v3
	v_addc_co_u32_e32 v2, vcc, 0, v2, vcc
	global_load_ubyte v1, v[1:2], off offset:2
	v_mov_b32_e32 v2, 0
	v_mul_u32_u24_e32 v3, 3, v3
	global_load_ushort v2, v2, s[0:1]
	s_movk_i32 s4, 0x700
	s_getpc_b64 s[0:1]
	s_add_u32 s0, s0, _ZL13iq1s_grid_gpu@rel32@lo+4
	s_addc_u32 s1, s1, _ZL13iq1s_grid_gpu@rel32@hi+12
	v_lshlrev_b32_e32 v4, 6, v4
	v_and_b32_e32 v0, 0x3f8, v0
	v_mov_b32_e32 v5, s3
	v_add_co_u32_e32 v4, vcc, s2, v4
	v_lshlrev_b32_e32 v0, 1, v0
	v_addc_co_u32_e32 v5, vcc, 0, v5, vcc
	v_add_co_u32_e32 v4, vcc, v4, v0
	v_addc_co_u32_e32 v5, vcc, 0, v5, vcc
	v_mov_b32_e32 v7, 0xbf600000
	s_waitcnt vmcnt(2)
	v_lshrrev_b32_sdwa v3, v3, v6 dst_sel:DWORD dst_unused:UNUSED_PAD src0_sel:DWORD src1_sel:WORD_0
	v_lshlrev_b32_e32 v3, 8, v3
	v_cmp_lt_i16_e32 vcc, -1, v6
	s_waitcnt vmcnt(1)
	v_and_or_b32 v1, v3, s4, v1
	v_lshlrev_b32_e32 v1, 3, v1
	global_load_dword v1, v1, s[0:1]
	v_mov_b32_e32 v3, 0xbf900000
	v_cndmask_b32_e32 v0, v3, v7, vcc
	s_waitcnt vmcnt(1)
	v_cvt_f32_f16_e32 v2, v2
	v_lshrrev_b16_e32 v3, 11, v6
	v_and_b32_e32 v3, 14, v3
	v_or_b32_e32 v3, 1, v3
	v_cvt_f32_ubyte0_e32 v3, v3
	v_mul_f32_e32 v6, v2, v3
	s_waitcnt vmcnt(0)
	v_and_b32_e32 v2, 0xf000000, v1
	v_and_b32_e32 v3, 15, v1
	v_bfe_u32 v8, v1, 16, 4
	v_bfe_u32 v9, v1, 4, 4
	;; [unrolled: 1-line block ×5, first 2 shown]
	v_lshrrev_b32_e32 v1, 28, v1
	v_cvt_f32_ubyte0_e32 v3, v3
	v_cvt_f32_ubyte0_e32 v8, v8
	v_cvt_f32_ubyte3_e32 v2, v2
	v_cvt_f32_ubyte0_e32 v9, v9
	v_cvt_f32_ubyte0_e32 v10, v10
	;; [unrolled: 1-line block ×5, first 2 shown]
	v_add_f32_e32 v3, v0, v3
	v_add_f32_e32 v8, v0, v8
	;; [unrolled: 1-line block ×8, first 2 shown]
	v_fma_mixlo_f16 v0, v6, v3, 0
	v_fma_mixlo_f16 v1, v6, v8, 0
	;; [unrolled: 1-line block ×4, first 2 shown]
	v_fma_mixhi_f16 v3, v6, v11, 0
	v_fma_mixhi_f16 v2, v6, v9, 0
	;; [unrolled: 1-line block ×4, first 2 shown]
	global_store_dwordx4 v[4:5], v[0:3], off
	s_endpgm
	.section	.rodata,"a",@progbits
	.p2align	6, 0x0
	.amdhsa_kernel _ZL22dequantize_block_iq1_sIN3c104HalfEEvPKvPT_
		.amdhsa_group_segment_fixed_size 0
		.amdhsa_private_segment_fixed_size 0
		.amdhsa_kernarg_size 16
		.amdhsa_user_sgpr_count 6
		.amdhsa_user_sgpr_private_segment_buffer 1
		.amdhsa_user_sgpr_dispatch_ptr 0
		.amdhsa_user_sgpr_queue_ptr 0
		.amdhsa_user_sgpr_kernarg_segment_ptr 1
		.amdhsa_user_sgpr_dispatch_id 0
		.amdhsa_user_sgpr_flat_scratch_init 0
		.amdhsa_user_sgpr_private_segment_size 0
		.amdhsa_uses_dynamic_stack 0
		.amdhsa_system_sgpr_private_segment_wavefront_offset 0
		.amdhsa_system_sgpr_workgroup_id_x 1
		.amdhsa_system_sgpr_workgroup_id_y 0
		.amdhsa_system_sgpr_workgroup_id_z 0
		.amdhsa_system_sgpr_workgroup_info 0
		.amdhsa_system_vgpr_workitem_id 0
		.amdhsa_next_free_vgpr 13
		.amdhsa_next_free_sgpr 8
		.amdhsa_reserve_vcc 1
		.amdhsa_reserve_flat_scratch 0
		.amdhsa_float_round_mode_32 0
		.amdhsa_float_round_mode_16_64 0
		.amdhsa_float_denorm_mode_32 3
		.amdhsa_float_denorm_mode_16_64 3
		.amdhsa_dx10_clamp 1
		.amdhsa_ieee_mode 1
		.amdhsa_fp16_overflow 0
		.amdhsa_exception_fp_ieee_invalid_op 0
		.amdhsa_exception_fp_denorm_src 0
		.amdhsa_exception_fp_ieee_div_zero 0
		.amdhsa_exception_fp_ieee_overflow 0
		.amdhsa_exception_fp_ieee_underflow 0
		.amdhsa_exception_fp_ieee_inexact 0
		.amdhsa_exception_int_div_zero 0
	.end_amdhsa_kernel
	.section	.text._ZL22dequantize_block_iq1_sIN3c104HalfEEvPKvPT_,"axG",@progbits,_ZL22dequantize_block_iq1_sIN3c104HalfEEvPKvPT_,comdat
.Lfunc_end32:
	.size	_ZL22dequantize_block_iq1_sIN3c104HalfEEvPKvPT_, .Lfunc_end32-_ZL22dequantize_block_iq1_sIN3c104HalfEEvPKvPT_
                                        ; -- End function
	.set _ZL22dequantize_block_iq1_sIN3c104HalfEEvPKvPT_.num_vgpr, 13
	.set _ZL22dequantize_block_iq1_sIN3c104HalfEEvPKvPT_.num_agpr, 0
	.set _ZL22dequantize_block_iq1_sIN3c104HalfEEvPKvPT_.numbered_sgpr, 8
	.set _ZL22dequantize_block_iq1_sIN3c104HalfEEvPKvPT_.num_named_barrier, 0
	.set _ZL22dequantize_block_iq1_sIN3c104HalfEEvPKvPT_.private_seg_size, 0
	.set _ZL22dequantize_block_iq1_sIN3c104HalfEEvPKvPT_.uses_vcc, 1
	.set _ZL22dequantize_block_iq1_sIN3c104HalfEEvPKvPT_.uses_flat_scratch, 0
	.set _ZL22dequantize_block_iq1_sIN3c104HalfEEvPKvPT_.has_dyn_sized_stack, 0
	.set _ZL22dequantize_block_iq1_sIN3c104HalfEEvPKvPT_.has_recursion, 0
	.set _ZL22dequantize_block_iq1_sIN3c104HalfEEvPKvPT_.has_indirect_call, 0
	.section	.AMDGPU.csdata,"",@progbits
; Kernel info:
; codeLenInByte = 468
; TotalNumSgprs: 12
; NumVgprs: 13
; ScratchSize: 0
; MemoryBound: 0
; FloatMode: 240
; IeeeMode: 1
; LDSByteSize: 0 bytes/workgroup (compile time only)
; SGPRBlocks: 1
; VGPRBlocks: 3
; NumSGPRsForWavesPerEU: 12
; NumVGPRsForWavesPerEU: 13
; Occupancy: 10
; WaveLimiterHint : 0
; COMPUTE_PGM_RSRC2:SCRATCH_EN: 0
; COMPUTE_PGM_RSRC2:USER_SGPR: 6
; COMPUTE_PGM_RSRC2:TRAP_HANDLER: 0
; COMPUTE_PGM_RSRC2:TGID_X_EN: 1
; COMPUTE_PGM_RSRC2:TGID_Y_EN: 0
; COMPUTE_PGM_RSRC2:TGID_Z_EN: 0
; COMPUTE_PGM_RSRC2:TIDIG_COMP_CNT: 0
	.section	.text._ZL23dequantize_block_iq4_nlIN3c104HalfEEvPKvPT_,"axG",@progbits,_ZL23dequantize_block_iq4_nlIN3c104HalfEEvPKvPT_,comdat
	.globl	_ZL23dequantize_block_iq4_nlIN3c104HalfEEvPKvPT_ ; -- Begin function _ZL23dequantize_block_iq4_nlIN3c104HalfEEvPKvPT_
	.p2align	8
	.type	_ZL23dequantize_block_iq4_nlIN3c104HalfEEvPKvPT_,@function
_ZL23dequantize_block_iq4_nlIN3c104HalfEEvPKvPT_: ; @_ZL23dequantize_block_iq4_nlIN3c104HalfEEvPKvPT_
; %bb.0:
	s_load_dwordx4 s[0:3], s[4:5], 0x0
	s_lshl_b32 s4, s6, 3
	s_mul_i32 s5, s6, 0x90
	s_mul_hi_u32 s4, s4, 18
	v_and_b32_e32 v5, 7, v0
	s_waitcnt lgkmcnt(0)
	s_add_u32 s0, s0, s5
	s_addc_u32 s1, s1, s4
	v_mad_u64_u32 v[1:2], s[0:1], v5, 18, s[0:1]
	v_lshrrev_b32_e32 v0, 1, v0
	v_and_b32_e32 v6, 0x1fc, v0
	v_add_co_u32_e32 v3, vcc, v1, v6
	v_addc_co_u32_e32 v4, vcc, 0, v2, vcc
	global_load_dword v0, v[3:4], off offset:2
	global_load_ushort v7, v[1:2], off
	s_mov_b32 s1, 0
	s_lshl_b32 s0, s6, 8
	s_lshl_b64 s[0:1], s[0:1], 1
	s_add_u32 s2, s2, s0
	v_mov_b32_e32 v1, 4
	s_addc_u32 s3, s3, s1
	s_getpc_b64 s[0:1]
	s_add_u32 s0, s0, _ZL13kvalues_iq4nl@rel32@lo+4
	s_addc_u32 s1, s1, _ZL13kvalues_iq4nl@rel32@hi+12
	v_mov_b32_e32 v4, s1
	s_waitcnt vmcnt(1)
	v_lshrrev_b32_e32 v2, 8, v0
	v_and_b32_e32 v3, 15, v0
	v_lshrrev_b16_e32 v8, 4, v0
	v_bfe_u32 v9, v0, 8, 4
	v_bfe_u32 v10, v0, 16, 4
	;; [unrolled: 1-line block ×4, first 2 shown]
	v_lshrrev_b16_sdwa v0, v1, v0 dst_sel:DWORD dst_unused:UNUSED_PAD src0_sel:DWORD src1_sel:BYTE_3
	global_load_sbyte v13, v3, s[0:1]
	v_and_b32_e32 v3, 15, v8
	v_add_co_u32_e32 v0, vcc, s0, v0
	v_lshrrev_b16_e32 v2, 4, v2
	v_addc_co_u32_e32 v1, vcc, 0, v4, vcc
	v_and_b32_e32 v3, 0xffff, v3
	v_and_b32_e32 v8, 15, v2
	v_add_co_u32_e32 v2, vcc, s0, v3
	v_addc_co_u32_e32 v3, vcc, 0, v4, vcc
	v_and_b32_e32 v8, 0xffff, v8
	global_load_sbyte v14, v[2:3], off
	global_load_sbyte v15, v9, s[0:1]
	v_add_co_u32_e32 v2, vcc, s0, v8
	v_addc_co_u32_e32 v3, vcc, 0, v4, vcc
	global_load_sbyte v4, v[2:3], off
	global_load_sbyte v8, v10, s[0:1]
	global_load_sbyte v9, v11, s[0:1]
	;; [unrolled: 1-line block ×3, first 2 shown]
	global_load_sbyte v17, v[0:1], off
	v_lshlrev_b32_e32 v0, 6, v5
	v_mov_b32_e32 v2, s3
	v_add_co_u32_e32 v0, vcc, s2, v0
	v_lshlrev_b32_e32 v1, 1, v6
	v_addc_co_u32_e32 v2, vcc, 0, v2, vcc
	v_add_co_u32_e32 v0, vcc, v0, v1
	v_addc_co_u32_e32 v1, vcc, 0, v2, vcc
	s_waitcnt vmcnt(7)
	v_cvt_f32_i32_e32 v3, v13
	v_fma_mixlo_f16 v2, v7, v3, 0 op_sel_hi:[1,0,0]
	s_waitcnt vmcnt(6)
	v_cvt_f32_i32_e32 v5, v14
	s_waitcnt vmcnt(5)
	v_cvt_f32_i32_e32 v6, v15
	;; [unrolled: 2-line block ×7, first 2 shown]
	v_fma_mixlo_f16 v3, v7, v3, 0 op_sel_hi:[1,0,0]
	v_fma_mixlo_f16 v4, v7, v5, 0 op_sel_hi:[1,0,0]
	v_fma_mixhi_f16 v2, v7, v6, 0 op_sel_hi:[1,0,0]
	v_fma_mixlo_f16 v5, v7, v8, 0 op_sel_hi:[1,0,0]
	v_fma_mixhi_f16 v3, v7, v9, 0 op_sel_hi:[1,0,0]
	v_fma_mixhi_f16 v4, v7, v10, 0 op_sel_hi:[1,0,0]
	;; [unrolled: 1-line block ×3, first 2 shown]
	global_store_dwordx2 v[0:1], v[2:3], off
	global_store_dwordx2 v[0:1], v[4:5], off offset:32
	s_endpgm
	.section	.rodata,"a",@progbits
	.p2align	6, 0x0
	.amdhsa_kernel _ZL23dequantize_block_iq4_nlIN3c104HalfEEvPKvPT_
		.amdhsa_group_segment_fixed_size 0
		.amdhsa_private_segment_fixed_size 0
		.amdhsa_kernarg_size 16
		.amdhsa_user_sgpr_count 6
		.amdhsa_user_sgpr_private_segment_buffer 1
		.amdhsa_user_sgpr_dispatch_ptr 0
		.amdhsa_user_sgpr_queue_ptr 0
		.amdhsa_user_sgpr_kernarg_segment_ptr 1
		.amdhsa_user_sgpr_dispatch_id 0
		.amdhsa_user_sgpr_flat_scratch_init 0
		.amdhsa_user_sgpr_private_segment_size 0
		.amdhsa_uses_dynamic_stack 0
		.amdhsa_system_sgpr_private_segment_wavefront_offset 0
		.amdhsa_system_sgpr_workgroup_id_x 1
		.amdhsa_system_sgpr_workgroup_id_y 0
		.amdhsa_system_sgpr_workgroup_id_z 0
		.amdhsa_system_sgpr_workgroup_info 0
		.amdhsa_system_vgpr_workitem_id 0
		.amdhsa_next_free_vgpr 18
		.amdhsa_next_free_sgpr 7
		.amdhsa_reserve_vcc 1
		.amdhsa_reserve_flat_scratch 0
		.amdhsa_float_round_mode_32 0
		.amdhsa_float_round_mode_16_64 0
		.amdhsa_float_denorm_mode_32 3
		.amdhsa_float_denorm_mode_16_64 3
		.amdhsa_dx10_clamp 1
		.amdhsa_ieee_mode 1
		.amdhsa_fp16_overflow 0
		.amdhsa_exception_fp_ieee_invalid_op 0
		.amdhsa_exception_fp_denorm_src 0
		.amdhsa_exception_fp_ieee_div_zero 0
		.amdhsa_exception_fp_ieee_overflow 0
		.amdhsa_exception_fp_ieee_underflow 0
		.amdhsa_exception_fp_ieee_inexact 0
		.amdhsa_exception_int_div_zero 0
	.end_amdhsa_kernel
	.section	.text._ZL23dequantize_block_iq4_nlIN3c104HalfEEvPKvPT_,"axG",@progbits,_ZL23dequantize_block_iq4_nlIN3c104HalfEEvPKvPT_,comdat
.Lfunc_end33:
	.size	_ZL23dequantize_block_iq4_nlIN3c104HalfEEvPKvPT_, .Lfunc_end33-_ZL23dequantize_block_iq4_nlIN3c104HalfEEvPKvPT_
                                        ; -- End function
	.set _ZL23dequantize_block_iq4_nlIN3c104HalfEEvPKvPT_.num_vgpr, 18
	.set _ZL23dequantize_block_iq4_nlIN3c104HalfEEvPKvPT_.num_agpr, 0
	.set _ZL23dequantize_block_iq4_nlIN3c104HalfEEvPKvPT_.numbered_sgpr, 7
	.set _ZL23dequantize_block_iq4_nlIN3c104HalfEEvPKvPT_.num_named_barrier, 0
	.set _ZL23dequantize_block_iq4_nlIN3c104HalfEEvPKvPT_.private_seg_size, 0
	.set _ZL23dequantize_block_iq4_nlIN3c104HalfEEvPKvPT_.uses_vcc, 1
	.set _ZL23dequantize_block_iq4_nlIN3c104HalfEEvPKvPT_.uses_flat_scratch, 0
	.set _ZL23dequantize_block_iq4_nlIN3c104HalfEEvPKvPT_.has_dyn_sized_stack, 0
	.set _ZL23dequantize_block_iq4_nlIN3c104HalfEEvPKvPT_.has_recursion, 0
	.set _ZL23dequantize_block_iq4_nlIN3c104HalfEEvPKvPT_.has_indirect_call, 0
	.section	.AMDGPU.csdata,"",@progbits
; Kernel info:
; codeLenInByte = 480
; TotalNumSgprs: 11
; NumVgprs: 18
; ScratchSize: 0
; MemoryBound: 0
; FloatMode: 240
; IeeeMode: 1
; LDSByteSize: 0 bytes/workgroup (compile time only)
; SGPRBlocks: 1
; VGPRBlocks: 4
; NumSGPRsForWavesPerEU: 11
; NumVGPRsForWavesPerEU: 18
; Occupancy: 10
; WaveLimiterHint : 0
; COMPUTE_PGM_RSRC2:SCRATCH_EN: 0
; COMPUTE_PGM_RSRC2:USER_SGPR: 6
; COMPUTE_PGM_RSRC2:TRAP_HANDLER: 0
; COMPUTE_PGM_RSRC2:TGID_X_EN: 1
; COMPUTE_PGM_RSRC2:TGID_Y_EN: 0
; COMPUTE_PGM_RSRC2:TGID_Z_EN: 0
; COMPUTE_PGM_RSRC2:TIDIG_COMP_CNT: 0
	.section	.text._ZL22dequantize_block_iq3_sIN3c104HalfEEvPKvPT_,"axG",@progbits,_ZL22dequantize_block_iq3_sIN3c104HalfEEvPKvPT_,comdat
	.globl	_ZL22dequantize_block_iq3_sIN3c104HalfEEvPKvPT_ ; -- Begin function _ZL22dequantize_block_iq3_sIN3c104HalfEEvPKvPT_
	.p2align	8
	.type	_ZL22dequantize_block_iq3_sIN3c104HalfEEvPKvPT_,@function
_ZL22dequantize_block_iq3_sIN3c104HalfEEvPKvPT_: ; @_ZL22dequantize_block_iq3_sIN3c104HalfEEvPKvPT_
; %bb.0:
	s_load_dwordx4 s[0:3], s[4:5], 0x0
	s_lshl_b32 s4, s6, 8
	s_mov_b32 s5, 0
	s_lshl_b64 s[4:5], s[4:5], 1
	v_and_b32_e32 v4, 7, v0
	s_waitcnt lgkmcnt(0)
	s_add_u32 s2, s2, s4
	s_addc_u32 s3, s3, s5
	s_mul_hi_u32 s4, s6, 0x6e
	s_mulk_i32 s6, 0x6e
	s_add_u32 s0, s0, s6
	s_addc_u32 s1, s1, s4
	v_lshlrev_b32_e32 v1, 3, v4
	v_lshrrev_b32_e32 v3, 3, v0
	v_mov_b32_e32 v2, s1
	v_add_co_u32_e32 v1, vcc, s0, v1
	v_addc_co_u32_e32 v2, vcc, 0, v2, vcc
	v_lshlrev_b32_e32 v5, 1, v3
	v_add_co_u32_e32 v1, vcc, v1, v5
	v_addc_co_u32_e32 v2, vcc, 0, v2, vcc
	v_bfe_u32 v6, v0, 1, 2
	v_lshl_add_u32 v3, v4, 2, v3
	global_load_ushort v7, v[1:2], off offset:2
	global_load_ubyte v8, v6, s[0:1] offset:106
	global_load_sbyte v9, v3, s[0:1] offset:74
	global_load_ubyte v10, v4, s[0:1] offset:66
	v_mov_b32_e32 v1, 0
	global_load_ushort v1, v1, s[0:1]
	v_sub_u32_e32 v2, 8, v5
	s_movk_i32 s4, 0x100
	v_sub_u32_e32 v3, 7, v5
	s_getpc_b64 s[0:1]
	s_add_u32 s0, s0, _ZL10iq3xs_grid@rel32@lo+4
	s_addc_u32 s1, s1, _ZL10iq3xs_grid@rel32@hi+12
	s_waitcnt vmcnt(4)
	v_and_b32_e32 v5, 0xff, v7
	v_lshrrev_b16_e32 v6, 8, v7
	s_waitcnt vmcnt(2)
	v_and_b32_e32 v11, 4, v9
	s_waitcnt vmcnt(1)
	v_lshlrev_b32_e32 v2, v2, v10
	v_lshlrev_b32_e32 v3, v3, v10
	v_and_or_b32 v2, v2, s4, v5
	v_and_or_b32 v3, v3, s4, v6
	v_lshlrev_b32_e32 v2, 2, v2
	v_lshlrev_b32_e32 v3, 2, v3
	global_load_dword v6, v2, s[0:1]
	global_load_dword v7, v3, s[0:1]
	v_and_b32_e32 v2, 0x3f8, v0
	v_lshlrev_b32_e32 v0, 2, v0
	v_and_b32_e32 v0, 4, v0
	s_waitcnt vmcnt(2)
	v_cvt_f32_f16_e32 v1, v1
	v_lshlrev_b32_e32 v3, 6, v4
	v_bfe_u32 v0, v8, v0, 4
	v_mov_b32_e32 v4, s3
	v_add_co_u32_e32 v3, vcc, s2, v3
	v_cvt_f32_ubyte0_e32 v0, v0
	v_lshlrev_b32_e32 v2, 1, v2
	v_addc_co_u32_e32 v5, vcc, 0, v4, vcc
	v_add_f32_e32 v0, 0.5, v0
	v_add_co_u32_e32 v4, vcc, v3, v2
	v_mul_f32_e32 v0, v0, v1
	v_addc_co_u32_e32 v5, vcc, 0, v5, vcc
	v_and_b32_e32 v2, 1, v9
	v_mul_f32_e32 v0, 0.5, v0
	v_and_b32_e32 v3, 16, v9
	v_cmp_eq_u16_e32 vcc, 0, v2
	v_and_b32_e32 v8, 2, v9
	v_and_b32_e32 v10, 32, v9
	;; [unrolled: 1-line block ×4, first 2 shown]
	s_waitcnt vmcnt(1)
	v_cvt_f32_ubyte0_e32 v1, v6
	s_waitcnt vmcnt(0)
	v_cvt_f32_ubyte0_e32 v14, v7
	v_mul_f32_e32 v1, v0, v1
	v_cvt_f32_ubyte1_e32 v15, v6
	v_mul_f32_e32 v14, v0, v14
	v_cndmask_b32_e64 v1, -v1, v1, vcc
	v_cmp_eq_u16_e32 vcc, 0, v3
	v_cvt_f32_ubyte1_e32 v16, v7
	v_mul_f32_e32 v15, v0, v15
	v_cndmask_b32_e64 v2, -v14, v14, vcc
	v_cmp_eq_u16_e32 vcc, 0, v8
	v_cvt_f32_ubyte2_e32 v17, v6
	v_cvt_f32_ubyte2_e32 v18, v7
	v_cvt_f32_ubyte3_e32 v6, v6
	v_cvt_f32_ubyte3_e32 v7, v7
	v_mul_f32_e32 v16, v0, v16
	v_cndmask_b32_e64 v3, -v15, v15, vcc
	v_cmp_eq_u16_e32 vcc, 0, v10
	v_mul_f32_e32 v17, v0, v17
	v_mul_f32_e32 v18, v0, v18
	v_mul_f32_e32 v6, v0, v6
	v_mul_f32_e32 v0, v0, v7
	v_cndmask_b32_e64 v7, -v16, v16, vcc
	v_cmp_eq_u16_e32 vcc, 0, v11
	v_cndmask_b32_e64 v8, -v17, v17, vcc
	v_cmp_eq_u16_e32 vcc, 0, v12
	;; [unrolled: 2-line block ×3, first 2 shown]
	v_cndmask_b32_e64 v6, -v6, v6, vcc
	v_cmp_gt_i16_e32 vcc, 0, v9
	v_cndmask_b32_e64 v0, v0, -v0, vcc
	v_cvt_f16_f32_e32 v9, v1
	v_cvt_f16_f32_e32 v1, v2
	;; [unrolled: 1-line block ×8, first 2 shown]
	v_pack_b32_f16 v3, v7, v0
	v_pack_b32_f16 v2, v1, v2
	;; [unrolled: 1-line block ×4, first 2 shown]
	global_store_dwordx4 v[4:5], v[0:3], off
	s_endpgm
	.section	.rodata,"a",@progbits
	.p2align	6, 0x0
	.amdhsa_kernel _ZL22dequantize_block_iq3_sIN3c104HalfEEvPKvPT_
		.amdhsa_group_segment_fixed_size 0
		.amdhsa_private_segment_fixed_size 0
		.amdhsa_kernarg_size 16
		.amdhsa_user_sgpr_count 6
		.amdhsa_user_sgpr_private_segment_buffer 1
		.amdhsa_user_sgpr_dispatch_ptr 0
		.amdhsa_user_sgpr_queue_ptr 0
		.amdhsa_user_sgpr_kernarg_segment_ptr 1
		.amdhsa_user_sgpr_dispatch_id 0
		.amdhsa_user_sgpr_flat_scratch_init 0
		.amdhsa_user_sgpr_private_segment_size 0
		.amdhsa_uses_dynamic_stack 0
		.amdhsa_system_sgpr_private_segment_wavefront_offset 0
		.amdhsa_system_sgpr_workgroup_id_x 1
		.amdhsa_system_sgpr_workgroup_id_y 0
		.amdhsa_system_sgpr_workgroup_id_z 0
		.amdhsa_system_sgpr_workgroup_info 0
		.amdhsa_system_vgpr_workitem_id 0
		.amdhsa_next_free_vgpr 19
		.amdhsa_next_free_sgpr 7
		.amdhsa_reserve_vcc 1
		.amdhsa_reserve_flat_scratch 0
		.amdhsa_float_round_mode_32 0
		.amdhsa_float_round_mode_16_64 0
		.amdhsa_float_denorm_mode_32 3
		.amdhsa_float_denorm_mode_16_64 3
		.amdhsa_dx10_clamp 1
		.amdhsa_ieee_mode 1
		.amdhsa_fp16_overflow 0
		.amdhsa_exception_fp_ieee_invalid_op 0
		.amdhsa_exception_fp_denorm_src 0
		.amdhsa_exception_fp_ieee_div_zero 0
		.amdhsa_exception_fp_ieee_overflow 0
		.amdhsa_exception_fp_ieee_underflow 0
		.amdhsa_exception_fp_ieee_inexact 0
		.amdhsa_exception_int_div_zero 0
	.end_amdhsa_kernel
	.section	.text._ZL22dequantize_block_iq3_sIN3c104HalfEEvPKvPT_,"axG",@progbits,_ZL22dequantize_block_iq3_sIN3c104HalfEEvPKvPT_,comdat
.Lfunc_end34:
	.size	_ZL22dequantize_block_iq3_sIN3c104HalfEEvPKvPT_, .Lfunc_end34-_ZL22dequantize_block_iq3_sIN3c104HalfEEvPKvPT_
                                        ; -- End function
	.set _ZL22dequantize_block_iq3_sIN3c104HalfEEvPKvPT_.num_vgpr, 19
	.set _ZL22dequantize_block_iq3_sIN3c104HalfEEvPKvPT_.num_agpr, 0
	.set _ZL22dequantize_block_iq3_sIN3c104HalfEEvPKvPT_.numbered_sgpr, 7
	.set _ZL22dequantize_block_iq3_sIN3c104HalfEEvPKvPT_.num_named_barrier, 0
	.set _ZL22dequantize_block_iq3_sIN3c104HalfEEvPKvPT_.private_seg_size, 0
	.set _ZL22dequantize_block_iq3_sIN3c104HalfEEvPKvPT_.uses_vcc, 1
	.set _ZL22dequantize_block_iq3_sIN3c104HalfEEvPKvPT_.uses_flat_scratch, 0
	.set _ZL22dequantize_block_iq3_sIN3c104HalfEEvPKvPT_.has_dyn_sized_stack, 0
	.set _ZL22dequantize_block_iq3_sIN3c104HalfEEvPKvPT_.has_recursion, 0
	.set _ZL22dequantize_block_iq3_sIN3c104HalfEEvPKvPT_.has_indirect_call, 0
	.section	.AMDGPU.csdata,"",@progbits
; Kernel info:
; codeLenInByte = 600
; TotalNumSgprs: 11
; NumVgprs: 19
; ScratchSize: 0
; MemoryBound: 0
; FloatMode: 240
; IeeeMode: 1
; LDSByteSize: 0 bytes/workgroup (compile time only)
; SGPRBlocks: 1
; VGPRBlocks: 4
; NumSGPRsForWavesPerEU: 11
; NumVGPRsForWavesPerEU: 19
; Occupancy: 10
; WaveLimiterHint : 0
; COMPUTE_PGM_RSRC2:SCRATCH_EN: 0
; COMPUTE_PGM_RSRC2:USER_SGPR: 6
; COMPUTE_PGM_RSRC2:TRAP_HANDLER: 0
; COMPUTE_PGM_RSRC2:TGID_X_EN: 1
; COMPUTE_PGM_RSRC2:TGID_Y_EN: 0
; COMPUTE_PGM_RSRC2:TGID_Z_EN: 0
; COMPUTE_PGM_RSRC2:TIDIG_COMP_CNT: 0
	.section	.text._ZL22dequantize_block_iq2_sIN3c104HalfEEvPKvPT_,"axG",@progbits,_ZL22dequantize_block_iq2_sIN3c104HalfEEvPKvPT_,comdat
	.globl	_ZL22dequantize_block_iq2_sIN3c104HalfEEvPKvPT_ ; -- Begin function _ZL22dequantize_block_iq2_sIN3c104HalfEEvPKvPT_
	.p2align	8
	.type	_ZL22dequantize_block_iq2_sIN3c104HalfEEvPKvPT_,@function
_ZL22dequantize_block_iq2_sIN3c104HalfEEvPKvPT_: ; @_ZL22dequantize_block_iq2_sIN3c104HalfEEvPKvPT_
; %bb.0:
	s_load_dwordx4 s[0:3], s[4:5], 0x0
	s_lshl_b32 s4, s6, 8
	s_mov_b32 s5, 0
	s_lshl_b64 s[4:5], s[4:5], 1
	v_lshrrev_b32_e32 v1, 3, v0
	s_waitcnt lgkmcnt(0)
	s_add_u32 s2, s2, s4
	s_addc_u32 s3, s3, s5
	s_mul_hi_u32 s4, s6, 0x52
	s_mulk_i32 s6, 0x52
	s_add_u32 s0, s0, s6
	v_and_b32_e32 v3, 7, v0
	s_addc_u32 s1, s1, s4
	v_lshl_add_u32 v2, v3, 2, v1
	global_load_ubyte v4, v3, s[0:1] offset:66
	global_load_ubyte v5, v2, s[0:1] offset:2
	v_mov_b32_e32 v6, 0
	v_lshlrev_b32_e32 v1, 1, v1
	global_load_ushort v7, v6, s[0:1]
	global_load_sbyte v8, v2, s[0:1] offset:34
	global_load_ubyte v9, v3, s[0:1] offset:74
	v_sub_u32_e32 v1, 8, v1
	s_movk_i32 s4, 0x300
	s_getpc_b64 s[0:1]
	s_add_u32 s0, s0, _ZL9iq2s_grid@rel32@lo+4
	s_addc_u32 s1, s1, _ZL9iq2s_grid@rel32@hi+12
	v_lshlrev_b32_e32 v3, 6, v3
	v_add_co_u32_e32 v3, vcc, s2, v3
	s_waitcnt vmcnt(4)
	v_lshlrev_b32_e32 v1, v1, v4
	s_waitcnt vmcnt(3)
	v_and_or_b32 v1, v1, s4, v5
	v_lshlrev_b32_e32 v1, 3, v1
	global_load_dwordx2 v[1:2], v1, s[0:1]
	v_and_b32_e32 v4, 0x3f8, v0
	v_mov_b32_e32 v5, s3
	v_lshrrev_b32_e32 v0, 2, v0
	v_lshlrev_b32_e32 v4, 1, v4
	v_addc_co_u32_e32 v5, vcc, 0, v5, vcc
	v_and_b32_e32 v0, 0xfc, v0
	v_add_co_u32_e32 v4, vcc, v3, v4
	s_waitcnt vmcnt(3)
	v_cvt_f32_f16_e32 v3, v7
	s_waitcnt vmcnt(1)
	v_bfe_u32 v0, v9, v0, 4
	v_cvt_f32_ubyte0_e32 v0, v0
	v_add_f32_e32 v0, 0.5, v0
	v_mul_f32_e32 v0, v0, v3
	v_addc_co_u32_e32 v5, vcc, 0, v5, vcc
	v_and_b32_e32 v6, 1, v8
	v_mul_f32_e32 v0, 0x3e800000, v0
	v_and_b32_e32 v7, 2, v8
	v_cmp_eq_u16_e32 vcc, 0, v6
	v_and_b32_e32 v9, 4, v8
	v_and_b32_e32 v10, 8, v8
	v_and_b32_e32 v11, 16, v8
	v_and_b32_e32 v12, 32, v8
	v_and_b32_e32 v13, 64, v8
	s_waitcnt vmcnt(0)
	v_cvt_f32_ubyte0_e32 v3, v1
	v_cvt_f32_ubyte1_e32 v14, v1
	v_cvt_f32_ubyte2_e32 v15, v1
	v_cvt_f32_ubyte3_e32 v1, v1
	v_cvt_f32_ubyte0_e32 v16, v2
	v_cvt_f32_ubyte1_e32 v17, v2
	v_cvt_f32_ubyte2_e32 v18, v2
	v_cvt_f32_ubyte3_e32 v2, v2
	v_mul_f32_e32 v3, v0, v3
	v_mul_f32_e32 v14, v0, v14
	;; [unrolled: 1-line block ×8, first 2 shown]
	v_cndmask_b32_e64 v2, -v3, v3, vcc
	v_cmp_eq_u16_e32 vcc, 0, v7
	v_cndmask_b32_e64 v3, -v14, v14, vcc
	v_cmp_eq_u16_e32 vcc, 0, v9
	;; [unrolled: 2-line block ×6, first 2 shown]
	v_cndmask_b32_e64 v10, -v18, v18, vcc
	v_cmp_gt_i16_e32 vcc, 0, v8
	v_cndmask_b32_e64 v0, v0, -v0, vcc
	v_cvt_f16_f32_e32 v8, v2
	v_cvt_f16_f32_e32 v6, v6
	v_cvt_f16_f32_e32 v2, v7
	v_cvt_f16_f32_e32 v7, v10
	v_cvt_f16_f32_e32 v0, v0
	v_cvt_f16_f32_e32 v9, v9
	v_cvt_f16_f32_e32 v1, v1
	v_cvt_f16_f32_e32 v10, v3
	v_pack_b32_f16 v3, v7, v0
	v_pack_b32_f16 v2, v2, v9
	;; [unrolled: 1-line block ×4, first 2 shown]
	global_store_dwordx4 v[4:5], v[0:3], off
	s_endpgm
	.section	.rodata,"a",@progbits
	.p2align	6, 0x0
	.amdhsa_kernel _ZL22dequantize_block_iq2_sIN3c104HalfEEvPKvPT_
		.amdhsa_group_segment_fixed_size 0
		.amdhsa_private_segment_fixed_size 0
		.amdhsa_kernarg_size 16
		.amdhsa_user_sgpr_count 6
		.amdhsa_user_sgpr_private_segment_buffer 1
		.amdhsa_user_sgpr_dispatch_ptr 0
		.amdhsa_user_sgpr_queue_ptr 0
		.amdhsa_user_sgpr_kernarg_segment_ptr 1
		.amdhsa_user_sgpr_dispatch_id 0
		.amdhsa_user_sgpr_flat_scratch_init 0
		.amdhsa_user_sgpr_private_segment_size 0
		.amdhsa_uses_dynamic_stack 0
		.amdhsa_system_sgpr_private_segment_wavefront_offset 0
		.amdhsa_system_sgpr_workgroup_id_x 1
		.amdhsa_system_sgpr_workgroup_id_y 0
		.amdhsa_system_sgpr_workgroup_id_z 0
		.amdhsa_system_sgpr_workgroup_info 0
		.amdhsa_system_vgpr_workitem_id 0
		.amdhsa_next_free_vgpr 19
		.amdhsa_next_free_sgpr 7
		.amdhsa_reserve_vcc 1
		.amdhsa_reserve_flat_scratch 0
		.amdhsa_float_round_mode_32 0
		.amdhsa_float_round_mode_16_64 0
		.amdhsa_float_denorm_mode_32 3
		.amdhsa_float_denorm_mode_16_64 3
		.amdhsa_dx10_clamp 1
		.amdhsa_ieee_mode 1
		.amdhsa_fp16_overflow 0
		.amdhsa_exception_fp_ieee_invalid_op 0
		.amdhsa_exception_fp_denorm_src 0
		.amdhsa_exception_fp_ieee_div_zero 0
		.amdhsa_exception_fp_ieee_overflow 0
		.amdhsa_exception_fp_ieee_underflow 0
		.amdhsa_exception_fp_ieee_inexact 0
		.amdhsa_exception_int_div_zero 0
	.end_amdhsa_kernel
	.section	.text._ZL22dequantize_block_iq2_sIN3c104HalfEEvPKvPT_,"axG",@progbits,_ZL22dequantize_block_iq2_sIN3c104HalfEEvPKvPT_,comdat
.Lfunc_end35:
	.size	_ZL22dequantize_block_iq2_sIN3c104HalfEEvPKvPT_, .Lfunc_end35-_ZL22dequantize_block_iq2_sIN3c104HalfEEvPKvPT_
                                        ; -- End function
	.set _ZL22dequantize_block_iq2_sIN3c104HalfEEvPKvPT_.num_vgpr, 19
	.set _ZL22dequantize_block_iq2_sIN3c104HalfEEvPKvPT_.num_agpr, 0
	.set _ZL22dequantize_block_iq2_sIN3c104HalfEEvPKvPT_.numbered_sgpr, 7
	.set _ZL22dequantize_block_iq2_sIN3c104HalfEEvPKvPT_.num_named_barrier, 0
	.set _ZL22dequantize_block_iq2_sIN3c104HalfEEvPKvPT_.private_seg_size, 0
	.set _ZL22dequantize_block_iq2_sIN3c104HalfEEvPKvPT_.uses_vcc, 1
	.set _ZL22dequantize_block_iq2_sIN3c104HalfEEvPKvPT_.uses_flat_scratch, 0
	.set _ZL22dequantize_block_iq2_sIN3c104HalfEEvPKvPT_.has_dyn_sized_stack, 0
	.set _ZL22dequantize_block_iq2_sIN3c104HalfEEvPKvPT_.has_recursion, 0
	.set _ZL22dequantize_block_iq2_sIN3c104HalfEEvPKvPT_.has_indirect_call, 0
	.section	.AMDGPU.csdata,"",@progbits
; Kernel info:
; codeLenInByte = 532
; TotalNumSgprs: 11
; NumVgprs: 19
; ScratchSize: 0
; MemoryBound: 0
; FloatMode: 240
; IeeeMode: 1
; LDSByteSize: 0 bytes/workgroup (compile time only)
; SGPRBlocks: 1
; VGPRBlocks: 4
; NumSGPRsForWavesPerEU: 11
; NumVGPRsForWavesPerEU: 19
; Occupancy: 10
; WaveLimiterHint : 0
; COMPUTE_PGM_RSRC2:SCRATCH_EN: 0
; COMPUTE_PGM_RSRC2:USER_SGPR: 6
; COMPUTE_PGM_RSRC2:TRAP_HANDLER: 0
; COMPUTE_PGM_RSRC2:TGID_X_EN: 1
; COMPUTE_PGM_RSRC2:TGID_Y_EN: 0
; COMPUTE_PGM_RSRC2:TGID_Z_EN: 0
; COMPUTE_PGM_RSRC2:TIDIG_COMP_CNT: 0
	.section	.text._ZL23dequantize_block_iq4_xsIN3c104HalfEEvPKvPT_,"axG",@progbits,_ZL23dequantize_block_iq4_xsIN3c104HalfEEvPKvPT_,comdat
	.globl	_ZL23dequantize_block_iq4_xsIN3c104HalfEEvPKvPT_ ; -- Begin function _ZL23dequantize_block_iq4_xsIN3c104HalfEEvPKvPT_
	.p2align	8
	.type	_ZL23dequantize_block_iq4_xsIN3c104HalfEEvPKvPT_,@function
_ZL23dequantize_block_iq4_xsIN3c104HalfEEvPKvPT_: ; @_ZL23dequantize_block_iq4_xsIN3c104HalfEEvPKvPT_
; %bb.0:
	s_load_dwordx4 s[0:3], s[4:5], 0x0
	s_lshl_b32 s4, s6, 8
	s_mov_b32 s5, 0
	s_lshl_b64 s[4:5], s[4:5], 1
	v_and_b32_e32 v1, 7, v0
	s_waitcnt lgkmcnt(0)
	s_add_u32 s2, s2, s4
	s_addc_u32 s3, s3, s5
	s_mul_hi_u32 s4, s6, 0x88
	s_mulk_i32 s6, 0x88
	s_add_u32 s0, s0, s6
	s_addc_u32 s1, s1, s4
	v_lshlrev_b32_e32 v3, 4, v1
	v_lshrrev_b32_e32 v2, 1, v0
	v_mov_b32_e32 v4, s1
	v_add_co_u32_e32 v3, vcc, s0, v3
	v_and_b32_e32 v2, 0x1fc, v2
	v_addc_co_u32_e32 v4, vcc, 0, v4, vcc
	v_add_co_u32_e32 v3, vcc, v3, v2
	v_addc_co_u32_e32 v4, vcc, 0, v4, vcc
	global_load_dword v3, v[3:4], off offset:8
	v_mov_b32_e32 v4, 0
	v_bfe_u32 v5, v0, 1, 2
	global_load_dword v7, v4, s[0:1]
	global_load_ubyte v8, v5, s[0:1] offset:4
	v_mov_b32_e32 v4, 4
	s_getpc_b64 s[0:1]
	s_add_u32 s0, s0, _ZL13kvalues_iq4nl@rel32@lo+4
	s_addc_u32 s1, s1, _ZL13kvalues_iq4nl@rel32@hi+12
	v_mov_b32_e32 v9, s1
	v_lshlrev_b32_e32 v0, 2, v0
	v_and_b32_e32 v0, 4, v0
	v_lshlrev_b32_e32 v2, 1, v2
	s_waitcnt vmcnt(2)
	v_lshrrev_b32_e32 v5, 8, v3
	v_and_b32_e32 v10, 15, v3
	v_lshrrev_b16_e32 v6, 4, v3
	v_bfe_u32 v11, v3, 8, 4
	v_bfe_u32 v12, v3, 16, 4
	;; [unrolled: 1-line block ×4, first 2 shown]
	v_lshrrev_b16_sdwa v3, v4, v3 dst_sel:DWORD dst_unused:UNUSED_PAD src0_sel:DWORD src1_sel:BYTE_3
	v_and_b32_e32 v6, 15, v6
	v_add_co_u32_e32 v3, vcc, s0, v3
	v_lshrrev_b16_e32 v5, 4, v5
	v_addc_co_u32_e32 v4, vcc, 0, v9, vcc
	v_and_b32_e32 v6, 0xffff, v6
	v_and_b32_e32 v15, 15, v5
	v_add_co_u32_e32 v5, vcc, s0, v6
	v_addc_co_u32_e32 v6, vcc, 0, v9, vcc
	v_and_b32_e32 v15, 0xffff, v15
	global_load_sbyte v16, v10, s[0:1]
	global_load_sbyte v17, v[5:6], off
	global_load_sbyte v18, v11, s[0:1]
	v_add_co_u32_e32 v5, vcc, s0, v15
	v_addc_co_u32_e32 v6, vcc, 0, v9, vcc
	global_load_sbyte v9, v[5:6], off
	global_load_sbyte v10, v12, s[0:1]
	global_load_sbyte v11, v13, s[0:1]
	;; [unrolled: 1-line block ×3, first 2 shown]
	global_load_sbyte v19, v[3:4], off
	v_lshlrev_b32_e32 v3, 6, v1
	v_lshlrev_b32_e32 v1, 1, v1
	s_waitcnt vmcnt(9)
	v_lshrrev_b32_sdwa v1, v1, v7 dst_sel:DWORD dst_unused:UNUSED_PAD src0_sel:DWORD src1_sel:WORD_1
	s_waitcnt vmcnt(8)
	v_bfe_u32 v0, v8, v0, 4
	v_lshlrev_b32_e32 v1, 4, v1
	v_and_or_b32 v0, v1, 48, v0
	v_subrev_u32_e32 v0, 32, v0
	v_cvt_f32_f16_e32 v5, v7
	v_cvt_f32_i32_e32 v6, v0
	v_mov_b32_e32 v4, s3
	v_add_co_u32_e32 v3, vcc, s2, v3
	v_addc_co_u32_e32 v4, vcc, 0, v4, vcc
	v_add_co_u32_e32 v0, vcc, v3, v2
	v_mul_f32_e32 v6, v5, v6
	v_addc_co_u32_e32 v1, vcc, 0, v4, vcc
	s_waitcnt vmcnt(7)
	v_cvt_f32_i32_e32 v2, v16
	s_waitcnt vmcnt(6)
	v_cvt_f32_i32_e32 v3, v17
	;; [unrolled: 2-line block ×8, first 2 shown]
	v_fma_mixlo_f16 v2, v6, v2, 0
	v_fma_mixlo_f16 v4, v6, v3, 0
	;; [unrolled: 1-line block ×3, first 2 shown]
	v_fma_mixhi_f16 v2, v6, v5, 0
	v_fma_mixlo_f16 v5, v6, v9, 0
	v_fma_mixhi_f16 v3, v6, v10, 0
	v_fma_mixhi_f16 v4, v6, v7, 0
	;; [unrolled: 1-line block ×3, first 2 shown]
	global_store_dwordx2 v[0:1], v[2:3], off
	global_store_dwordx2 v[0:1], v[4:5], off offset:32
	s_endpgm
	.section	.rodata,"a",@progbits
	.p2align	6, 0x0
	.amdhsa_kernel _ZL23dequantize_block_iq4_xsIN3c104HalfEEvPKvPT_
		.amdhsa_group_segment_fixed_size 0
		.amdhsa_private_segment_fixed_size 0
		.amdhsa_kernarg_size 16
		.amdhsa_user_sgpr_count 6
		.amdhsa_user_sgpr_private_segment_buffer 1
		.amdhsa_user_sgpr_dispatch_ptr 0
		.amdhsa_user_sgpr_queue_ptr 0
		.amdhsa_user_sgpr_kernarg_segment_ptr 1
		.amdhsa_user_sgpr_dispatch_id 0
		.amdhsa_user_sgpr_flat_scratch_init 0
		.amdhsa_user_sgpr_private_segment_size 0
		.amdhsa_uses_dynamic_stack 0
		.amdhsa_system_sgpr_private_segment_wavefront_offset 0
		.amdhsa_system_sgpr_workgroup_id_x 1
		.amdhsa_system_sgpr_workgroup_id_y 0
		.amdhsa_system_sgpr_workgroup_id_z 0
		.amdhsa_system_sgpr_workgroup_info 0
		.amdhsa_system_vgpr_workitem_id 0
		.amdhsa_next_free_vgpr 20
		.amdhsa_next_free_sgpr 7
		.amdhsa_reserve_vcc 1
		.amdhsa_reserve_flat_scratch 0
		.amdhsa_float_round_mode_32 0
		.amdhsa_float_round_mode_16_64 0
		.amdhsa_float_denorm_mode_32 3
		.amdhsa_float_denorm_mode_16_64 3
		.amdhsa_dx10_clamp 1
		.amdhsa_ieee_mode 1
		.amdhsa_fp16_overflow 0
		.amdhsa_exception_fp_ieee_invalid_op 0
		.amdhsa_exception_fp_denorm_src 0
		.amdhsa_exception_fp_ieee_div_zero 0
		.amdhsa_exception_fp_ieee_overflow 0
		.amdhsa_exception_fp_ieee_underflow 0
		.amdhsa_exception_fp_ieee_inexact 0
		.amdhsa_exception_int_div_zero 0
	.end_amdhsa_kernel
	.section	.text._ZL23dequantize_block_iq4_xsIN3c104HalfEEvPKvPT_,"axG",@progbits,_ZL23dequantize_block_iq4_xsIN3c104HalfEEvPKvPT_,comdat
.Lfunc_end36:
	.size	_ZL23dequantize_block_iq4_xsIN3c104HalfEEvPKvPT_, .Lfunc_end36-_ZL23dequantize_block_iq4_xsIN3c104HalfEEvPKvPT_
                                        ; -- End function
	.set _ZL23dequantize_block_iq4_xsIN3c104HalfEEvPKvPT_.num_vgpr, 20
	.set _ZL23dequantize_block_iq4_xsIN3c104HalfEEvPKvPT_.num_agpr, 0
	.set _ZL23dequantize_block_iq4_xsIN3c104HalfEEvPKvPT_.numbered_sgpr, 7
	.set _ZL23dequantize_block_iq4_xsIN3c104HalfEEvPKvPT_.num_named_barrier, 0
	.set _ZL23dequantize_block_iq4_xsIN3c104HalfEEvPKvPT_.private_seg_size, 0
	.set _ZL23dequantize_block_iq4_xsIN3c104HalfEEvPKvPT_.uses_vcc, 1
	.set _ZL23dequantize_block_iq4_xsIN3c104HalfEEvPKvPT_.uses_flat_scratch, 0
	.set _ZL23dequantize_block_iq4_xsIN3c104HalfEEvPKvPT_.has_dyn_sized_stack, 0
	.set _ZL23dequantize_block_iq4_xsIN3c104HalfEEvPKvPT_.has_recursion, 0
	.set _ZL23dequantize_block_iq4_xsIN3c104HalfEEvPKvPT_.has_indirect_call, 0
	.section	.AMDGPU.csdata,"",@progbits
; Kernel info:
; codeLenInByte = 568
; TotalNumSgprs: 11
; NumVgprs: 20
; ScratchSize: 0
; MemoryBound: 0
; FloatMode: 240
; IeeeMode: 1
; LDSByteSize: 0 bytes/workgroup (compile time only)
; SGPRBlocks: 1
; VGPRBlocks: 4
; NumSGPRsForWavesPerEU: 11
; NumVGPRsForWavesPerEU: 20
; Occupancy: 10
; WaveLimiterHint : 0
; COMPUTE_PGM_RSRC2:SCRATCH_EN: 0
; COMPUTE_PGM_RSRC2:USER_SGPR: 6
; COMPUTE_PGM_RSRC2:TRAP_HANDLER: 0
; COMPUTE_PGM_RSRC2:TGID_X_EN: 1
; COMPUTE_PGM_RSRC2:TGID_Y_EN: 0
; COMPUTE_PGM_RSRC2:TGID_Z_EN: 0
; COMPUTE_PGM_RSRC2:TIDIG_COMP_CNT: 0
	.section	.text._ZL22dequantize_block_iq1_mIN3c104HalfEEvPKvPT_,"axG",@progbits,_ZL22dequantize_block_iq1_mIN3c104HalfEEvPKvPT_,comdat
	.globl	_ZL22dequantize_block_iq1_mIN3c104HalfEEvPKvPT_ ; -- Begin function _ZL22dequantize_block_iq1_mIN3c104HalfEEvPKvPT_
	.p2align	8
	.type	_ZL22dequantize_block_iq1_mIN3c104HalfEEvPKvPT_,@function
_ZL22dequantize_block_iq1_mIN3c104HalfEEvPKvPT_: ; @_ZL22dequantize_block_iq1_mIN3c104HalfEEvPKvPT_
; %bb.0:
	s_load_dwordx4 s[0:3], s[4:5], 0x0
	s_mov_b32 s7, 0
	s_lshl_b64 s[4:5], s[6:7], 9
	v_and_b32_e32 v5, 7, v0
	v_lshlrev_b32_e32 v2, 2, v5
	s_waitcnt lgkmcnt(0)
	s_add_u32 s2, s2, s4
	s_addc_u32 s3, s3, s5
	s_mul_i32 s5, s6, 56
	s_mul_hi_u32 s4, s6, 56
	s_add_u32 s0, s0, s5
	s_addc_u32 s1, s1, s4
	v_mov_b32_e32 v7, s1
	v_add_co_u32_e32 v2, vcc, s0, v2
	v_lshrrev_b32_e32 v1, 3, v0
	v_addc_co_u32_e32 v7, vcc, 0, v7, vcc
	v_add_co_u32_e32 v1, vcc, v2, v1
	v_lshlrev_b32_e32 v3, 1, v5
	v_lshrrev_b32_e32 v4, 4, v0
	v_addc_co_u32_e32 v2, vcc, 0, v7, vcc
	v_add_u32_e32 v6, v3, v4
	global_load_ubyte v7, v[1:2], off
	global_load_ubyte v8, v6, s[0:1] offset:32
	v_mov_b32_e32 v1, 0
	v_add_u16_e32 v3, v3, v4
	global_load_dwordx2 v[1:2], v1, s[0:1] offset:48
	v_lshrrev_b16_e32 v3, 1, v3
	v_and_b32_e32 v3, 62, v3
	v_mov_b32_e32 v4, s1
	v_add_co_u32_e32 v3, vcc, s0, v3
	v_addc_co_u32_e32 v4, vcc, 0, v4, vcc
	global_load_ushort v3, v[3:4], off offset:48
	v_lshrrev_b32_e32 v4, 1, v0
	v_and_b32_e32 v4, 4, v4
	s_movk_i32 s4, 0x700
	s_getpc_b64 s[0:1]
	s_add_u32 s0, s0, _ZL13iq1s_grid_gpu@rel32@lo+4
	s_addc_u32 s1, s1, _ZL13iq1s_grid_gpu@rel32@hi+12
	v_and_b32_e32 v0, 0x3f8, v0
	v_lshlrev_b32_e32 v0, 1, v0
	v_mov_b32_e32 v9, 0xbf900000
	v_mov_b32_e32 v10, 0xbf600000
	s_waitcnt vmcnt(2)
	v_lshrrev_b32_e32 v8, v4, v8
	v_lshlrev_b32_e32 v4, 8, v8
	v_and_or_b32 v4, v4, s4, v7
	v_lshlrev_b32_e32 v4, 3, v4
	global_load_dword v7, v4, s[0:1]
	v_lshlrev_b32_e32 v4, 6, v5
	v_and_b32_e32 v5, 3, v6
	s_waitcnt vmcnt(2)
	v_readfirstlane_b32 s0, v1
	v_mul_u32_u24_e32 v6, 3, v5
	v_mov_b32_e32 v5, s3
	v_readfirstlane_b32 s1, v2
	s_bfe_u32 s3, s0, 0x4000c
	s_lshr_b32 s0, s0, 24
	v_add_co_u32_e32 v4, vcc, s2, v4
	s_lshr_b32 s2, s1, 16
	s_lshr_b32 s1, s1, 4
	s_and_b32 s0, s0, 0xf0
	s_and_b32 s1, s1, 0xf00
	s_or_b32 s0, s0, s3
	s_and_b32 s2, s2, 0xf000
	s_or_b32 s0, s0, s1
	v_addc_co_u32_e32 v5, vcc, 0, v5, vcc
	s_or_b32 s0, s0, s2
	v_add_co_u32_e32 v4, vcc, v4, v0
	s_waitcnt vmcnt(1)
	v_lshrrev_b32_e32 v0, v6, v3
	v_cvt_f32_f16_e32 v2, s0
	v_lshlrev_b32_e32 v0, 1, v0
	v_addc_co_u32_e32 v5, vcc, 0, v5, vcc
	v_and_or_b32 v0, v0, 14, 1
	v_and_b32_e32 v1, 8, v8
	v_cvt_f32_ubyte0_e32 v0, v0
	v_cmp_eq_u32_e32 vcc, 0, v1
	v_cndmask_b32_e32 v1, v9, v10, vcc
	v_mul_f32_e32 v6, v2, v0
	s_waitcnt vmcnt(0)
	v_and_b32_e32 v2, 15, v7
	v_bfe_u32 v3, v7, 8, 4
	v_bfe_u32 v8, v7, 16, 4
	;; [unrolled: 1-line block ×4, first 2 shown]
	v_and_b32_e32 v0, 0xf000000, v7
	v_bfe_u32 v10, v7, 12, 4
	v_lshrrev_b32_e32 v7, 28, v7
	v_cvt_f32_ubyte0_e32 v2, v2
	v_cvt_f32_ubyte0_e32 v3, v3
	;; [unrolled: 1-line block ×5, first 2 shown]
	v_cvt_f32_ubyte3_e32 v0, v0
	v_cvt_f32_ubyte0_e32 v10, v10
	v_cvt_f32_ubyte0_e32 v7, v7
	v_add_f32_e32 v2, v1, v2
	v_add_f32_e32 v12, v1, v3
	;; [unrolled: 1-line block ×8, first 2 shown]
	v_fma_mixlo_f16 v0, v6, v2, 0
	v_fma_mixlo_f16 v1, v6, v3, 0
	;; [unrolled: 1-line block ×4, first 2 shown]
	v_fma_mixhi_f16 v3, v6, v7, 0
	v_fma_mixhi_f16 v2, v6, v10, 0
	;; [unrolled: 1-line block ×4, first 2 shown]
	global_store_dwordx4 v[4:5], v[0:3], off
	s_endpgm
	.section	.rodata,"a",@progbits
	.p2align	6, 0x0
	.amdhsa_kernel _ZL22dequantize_block_iq1_mIN3c104HalfEEvPKvPT_
		.amdhsa_group_segment_fixed_size 0
		.amdhsa_private_segment_fixed_size 0
		.amdhsa_kernarg_size 16
		.amdhsa_user_sgpr_count 6
		.amdhsa_user_sgpr_private_segment_buffer 1
		.amdhsa_user_sgpr_dispatch_ptr 0
		.amdhsa_user_sgpr_queue_ptr 0
		.amdhsa_user_sgpr_kernarg_segment_ptr 1
		.amdhsa_user_sgpr_dispatch_id 0
		.amdhsa_user_sgpr_flat_scratch_init 0
		.amdhsa_user_sgpr_private_segment_size 0
		.amdhsa_uses_dynamic_stack 0
		.amdhsa_system_sgpr_private_segment_wavefront_offset 0
		.amdhsa_system_sgpr_workgroup_id_x 1
		.amdhsa_system_sgpr_workgroup_id_y 0
		.amdhsa_system_sgpr_workgroup_id_z 0
		.amdhsa_system_sgpr_workgroup_info 0
		.amdhsa_system_vgpr_workitem_id 0
		.amdhsa_next_free_vgpr 13
		.amdhsa_next_free_sgpr 8
		.amdhsa_reserve_vcc 1
		.amdhsa_reserve_flat_scratch 0
		.amdhsa_float_round_mode_32 0
		.amdhsa_float_round_mode_16_64 0
		.amdhsa_float_denorm_mode_32 3
		.amdhsa_float_denorm_mode_16_64 3
		.amdhsa_dx10_clamp 1
		.amdhsa_ieee_mode 1
		.amdhsa_fp16_overflow 0
		.amdhsa_exception_fp_ieee_invalid_op 0
		.amdhsa_exception_fp_denorm_src 0
		.amdhsa_exception_fp_ieee_div_zero 0
		.amdhsa_exception_fp_ieee_overflow 0
		.amdhsa_exception_fp_ieee_underflow 0
		.amdhsa_exception_fp_ieee_inexact 0
		.amdhsa_exception_int_div_zero 0
	.end_amdhsa_kernel
	.section	.text._ZL22dequantize_block_iq1_mIN3c104HalfEEvPKvPT_,"axG",@progbits,_ZL22dequantize_block_iq1_mIN3c104HalfEEvPKvPT_,comdat
.Lfunc_end37:
	.size	_ZL22dequantize_block_iq1_mIN3c104HalfEEvPKvPT_, .Lfunc_end37-_ZL22dequantize_block_iq1_mIN3c104HalfEEvPKvPT_
                                        ; -- End function
	.set _ZL22dequantize_block_iq1_mIN3c104HalfEEvPKvPT_.num_vgpr, 13
	.set _ZL22dequantize_block_iq1_mIN3c104HalfEEvPKvPT_.num_agpr, 0
	.set _ZL22dequantize_block_iq1_mIN3c104HalfEEvPKvPT_.numbered_sgpr, 8
	.set _ZL22dequantize_block_iq1_mIN3c104HalfEEvPKvPT_.num_named_barrier, 0
	.set _ZL22dequantize_block_iq1_mIN3c104HalfEEvPKvPT_.private_seg_size, 0
	.set _ZL22dequantize_block_iq1_mIN3c104HalfEEvPKvPT_.uses_vcc, 1
	.set _ZL22dequantize_block_iq1_mIN3c104HalfEEvPKvPT_.uses_flat_scratch, 0
	.set _ZL22dequantize_block_iq1_mIN3c104HalfEEvPKvPT_.has_dyn_sized_stack, 0
	.set _ZL22dequantize_block_iq1_mIN3c104HalfEEvPKvPT_.has_recursion, 0
	.set _ZL22dequantize_block_iq1_mIN3c104HalfEEvPKvPT_.has_indirect_call, 0
	.section	.AMDGPU.csdata,"",@progbits
; Kernel info:
; codeLenInByte = 584
; TotalNumSgprs: 12
; NumVgprs: 13
; ScratchSize: 0
; MemoryBound: 0
; FloatMode: 240
; IeeeMode: 1
; LDSByteSize: 0 bytes/workgroup (compile time only)
; SGPRBlocks: 1
; VGPRBlocks: 3
; NumSGPRsForWavesPerEU: 12
; NumVGPRsForWavesPerEU: 13
; Occupancy: 10
; WaveLimiterHint : 0
; COMPUTE_PGM_RSRC2:SCRATCH_EN: 0
; COMPUTE_PGM_RSRC2:USER_SGPR: 6
; COMPUTE_PGM_RSRC2:TRAP_HANDLER: 0
; COMPUTE_PGM_RSRC2:TGID_X_EN: 1
; COMPUTE_PGM_RSRC2:TGID_Y_EN: 0
; COMPUTE_PGM_RSRC2:TGID_Z_EN: 0
; COMPUTE_PGM_RSRC2:TIDIG_COMP_CNT: 0
	.section	.text._ZL16dequantize_blockILi32ELi2EXadL_ZL15dequantize_q4_0PKviiR7__half2EEN3c108BFloat16EEvS1_PT2_i,"axG",@progbits,_ZL16dequantize_blockILi32ELi2EXadL_ZL15dequantize_q4_0PKviiR7__half2EEN3c108BFloat16EEvS1_PT2_i,comdat
	.globl	_ZL16dequantize_blockILi32ELi2EXadL_ZL15dequantize_q4_0PKviiR7__half2EEN3c108BFloat16EEvS1_PT2_i ; -- Begin function _ZL16dequantize_blockILi32ELi2EXadL_ZL15dequantize_q4_0PKviiR7__half2EEN3c108BFloat16EEvS1_PT2_i
	.p2align	8
	.type	_ZL16dequantize_blockILi32ELi2EXadL_ZL15dequantize_q4_0PKviiR7__half2EEN3c108BFloat16EEvS1_PT2_i,@function
_ZL16dequantize_blockILi32ELi2EXadL_ZL15dequantize_q4_0PKviiR7__half2EEN3c108BFloat16EEvS1_PT2_i: ; @_ZL16dequantize_blockILi32ELi2EXadL_ZL15dequantize_q4_0PKviiR7__half2EEN3c108BFloat16EEvS1_PT2_i
; %bb.0:
	s_load_dword s0, s[4:5], 0x24
	s_load_dword s1, s[4:5], 0x10
	s_waitcnt lgkmcnt(0)
	s_and_b32 s0, s0, 0xffff
	s_mul_i32 s6, s6, s0
	v_add_lshl_u32 v0, s6, v0, 1
	v_cmp_gt_i32_e32 vcc, s1, v0
	s_and_saveexec_b64 s[0:1], vcc
	s_cbranch_execz .LBB38_2
; %bb.1:
	s_load_dwordx4 s[0:3], s[4:5], 0x0
	v_ashrrev_i32_e32 v1, 31, v0
	v_lshrrev_b32_e32 v1, 27, v1
	v_add_u32_e32 v1, v0, v1
	v_ashrrev_i32_e32 v2, 5, v1
	v_and_b32_e32 v4, 0xffffffe0, v1
	v_sub_u32_e32 v3, v0, v4
	s_waitcnt lgkmcnt(0)
	v_mad_i64_i32 v[0:1], s[0:1], v2, 18, s[0:1]
	v_ashrrev_i32_e32 v5, 1, v3
	v_ashrrev_i32_e32 v3, 31, v5
	v_add_co_u32_e32 v2, vcc, v0, v5
	v_addc_co_u32_e32 v3, vcc, v1, v3, vcc
	global_load_ubyte v6, v[2:3], off offset:2
	global_load_ushort v7, v[0:1], off
	v_add_u32_e32 v0, v4, v5
	s_mov_b32 s0, 0xc800
	v_mov_b32_e32 v3, s3
	s_movk_i32 s1, 0x7fff
	v_mov_b32_e32 v2, 0x7fc0
	s_waitcnt vmcnt(1)
	v_and_b32_e32 v1, 15, v6
	v_lshrrev_b32_e32 v4, 4, v6
	v_cvt_f32_ubyte0_e32 v1, v1
	v_cvt_f32_ubyte0_e32 v4, v4
	v_cvt_f16_f32_e32 v5, v1
	v_cvt_f16_f32_e32 v4, v4
	s_waitcnt vmcnt(0)
	v_lshl_or_b32 v6, v7, 16, v7
	v_ashrrev_i32_e32 v1, 31, v0
	v_lshlrev_b64 v[0:1], 1, v[0:1]
	v_pack_b32_f16 v4, v5, v4
	v_pk_add_f16 v4, v4, s0 op_sel_hi:[1,0]
	v_pk_mul_f16 v4, v4, v6
	v_cvt_f32_f16_e32 v5, v4
	v_cvt_f32_f16_sdwa v6, v4 dst_sel:DWORD dst_unused:UNUSED_PAD src0_sel:WORD_1
	v_add_co_u32_e32 v0, vcc, s2, v0
	v_addc_co_u32_e32 v1, vcc, v3, v1, vcc
	v_bfe_u32 v3, v5, 16, 1
	v_bfe_u32 v7, v6, 16, 1
	v_cmp_o_f16_sdwa vcc, v4, v4 src0_sel:WORD_1 src1_sel:WORD_1
	v_add3_u32 v3, v5, v3, s1
	v_add3_u32 v5, v6, v7, s1
	v_lshrrev_b32_e32 v3, 16, v3
	v_cndmask_b32_sdwa v5, v2, v5, vcc dst_sel:DWORD dst_unused:UNUSED_PAD src0_sel:DWORD src1_sel:WORD_1
	v_cmp_o_f16_e32 vcc, v4, v4
	v_cndmask_b32_e32 v2, v2, v3, vcc
	global_store_short v[0:1], v2, off
	global_store_short v[0:1], v5, off offset:32
.LBB38_2:
	s_endpgm
	.section	.rodata,"a",@progbits
	.p2align	6, 0x0
	.amdhsa_kernel _ZL16dequantize_blockILi32ELi2EXadL_ZL15dequantize_q4_0PKviiR7__half2EEN3c108BFloat16EEvS1_PT2_i
		.amdhsa_group_segment_fixed_size 0
		.amdhsa_private_segment_fixed_size 0
		.amdhsa_kernarg_size 280
		.amdhsa_user_sgpr_count 6
		.amdhsa_user_sgpr_private_segment_buffer 1
		.amdhsa_user_sgpr_dispatch_ptr 0
		.amdhsa_user_sgpr_queue_ptr 0
		.amdhsa_user_sgpr_kernarg_segment_ptr 1
		.amdhsa_user_sgpr_dispatch_id 0
		.amdhsa_user_sgpr_flat_scratch_init 0
		.amdhsa_user_sgpr_private_segment_size 0
		.amdhsa_uses_dynamic_stack 0
		.amdhsa_system_sgpr_private_segment_wavefront_offset 0
		.amdhsa_system_sgpr_workgroup_id_x 1
		.amdhsa_system_sgpr_workgroup_id_y 0
		.amdhsa_system_sgpr_workgroup_id_z 0
		.amdhsa_system_sgpr_workgroup_info 0
		.amdhsa_system_vgpr_workitem_id 0
		.amdhsa_next_free_vgpr 8
		.amdhsa_next_free_sgpr 7
		.amdhsa_reserve_vcc 1
		.amdhsa_reserve_flat_scratch 0
		.amdhsa_float_round_mode_32 0
		.amdhsa_float_round_mode_16_64 0
		.amdhsa_float_denorm_mode_32 3
		.amdhsa_float_denorm_mode_16_64 3
		.amdhsa_dx10_clamp 1
		.amdhsa_ieee_mode 1
		.amdhsa_fp16_overflow 0
		.amdhsa_exception_fp_ieee_invalid_op 0
		.amdhsa_exception_fp_denorm_src 0
		.amdhsa_exception_fp_ieee_div_zero 0
		.amdhsa_exception_fp_ieee_overflow 0
		.amdhsa_exception_fp_ieee_underflow 0
		.amdhsa_exception_fp_ieee_inexact 0
		.amdhsa_exception_int_div_zero 0
	.end_amdhsa_kernel
	.section	.text._ZL16dequantize_blockILi32ELi2EXadL_ZL15dequantize_q4_0PKviiR7__half2EEN3c108BFloat16EEvS1_PT2_i,"axG",@progbits,_ZL16dequantize_blockILi32ELi2EXadL_ZL15dequantize_q4_0PKviiR7__half2EEN3c108BFloat16EEvS1_PT2_i,comdat
.Lfunc_end38:
	.size	_ZL16dequantize_blockILi32ELi2EXadL_ZL15dequantize_q4_0PKviiR7__half2EEN3c108BFloat16EEvS1_PT2_i, .Lfunc_end38-_ZL16dequantize_blockILi32ELi2EXadL_ZL15dequantize_q4_0PKviiR7__half2EEN3c108BFloat16EEvS1_PT2_i
                                        ; -- End function
	.set _ZL16dequantize_blockILi32ELi2EXadL_ZL15dequantize_q4_0PKviiR7__half2EEN3c108BFloat16EEvS1_PT2_i.num_vgpr, 8
	.set _ZL16dequantize_blockILi32ELi2EXadL_ZL15dequantize_q4_0PKviiR7__half2EEN3c108BFloat16EEvS1_PT2_i.num_agpr, 0
	.set _ZL16dequantize_blockILi32ELi2EXadL_ZL15dequantize_q4_0PKviiR7__half2EEN3c108BFloat16EEvS1_PT2_i.numbered_sgpr, 7
	.set _ZL16dequantize_blockILi32ELi2EXadL_ZL15dequantize_q4_0PKviiR7__half2EEN3c108BFloat16EEvS1_PT2_i.num_named_barrier, 0
	.set _ZL16dequantize_blockILi32ELi2EXadL_ZL15dequantize_q4_0PKviiR7__half2EEN3c108BFloat16EEvS1_PT2_i.private_seg_size, 0
	.set _ZL16dequantize_blockILi32ELi2EXadL_ZL15dequantize_q4_0PKviiR7__half2EEN3c108BFloat16EEvS1_PT2_i.uses_vcc, 1
	.set _ZL16dequantize_blockILi32ELi2EXadL_ZL15dequantize_q4_0PKviiR7__half2EEN3c108BFloat16EEvS1_PT2_i.uses_flat_scratch, 0
	.set _ZL16dequantize_blockILi32ELi2EXadL_ZL15dequantize_q4_0PKviiR7__half2EEN3c108BFloat16EEvS1_PT2_i.has_dyn_sized_stack, 0
	.set _ZL16dequantize_blockILi32ELi2EXadL_ZL15dequantize_q4_0PKviiR7__half2EEN3c108BFloat16EEvS1_PT2_i.has_recursion, 0
	.set _ZL16dequantize_blockILi32ELi2EXadL_ZL15dequantize_q4_0PKviiR7__half2EEN3c108BFloat16EEvS1_PT2_i.has_indirect_call, 0
	.section	.AMDGPU.csdata,"",@progbits
; Kernel info:
; codeLenInByte = 336
; TotalNumSgprs: 11
; NumVgprs: 8
; ScratchSize: 0
; MemoryBound: 0
; FloatMode: 240
; IeeeMode: 1
; LDSByteSize: 0 bytes/workgroup (compile time only)
; SGPRBlocks: 1
; VGPRBlocks: 1
; NumSGPRsForWavesPerEU: 11
; NumVGPRsForWavesPerEU: 8
; Occupancy: 10
; WaveLimiterHint : 0
; COMPUTE_PGM_RSRC2:SCRATCH_EN: 0
; COMPUTE_PGM_RSRC2:USER_SGPR: 6
; COMPUTE_PGM_RSRC2:TRAP_HANDLER: 0
; COMPUTE_PGM_RSRC2:TGID_X_EN: 1
; COMPUTE_PGM_RSRC2:TGID_Y_EN: 0
; COMPUTE_PGM_RSRC2:TGID_Z_EN: 0
; COMPUTE_PGM_RSRC2:TIDIG_COMP_CNT: 0
	.section	.text._ZL16dequantize_blockILi32ELi2EXadL_ZL15dequantize_q4_1PKviiR7__half2EEN3c108BFloat16EEvS1_PT2_i,"axG",@progbits,_ZL16dequantize_blockILi32ELi2EXadL_ZL15dequantize_q4_1PKviiR7__half2EEN3c108BFloat16EEvS1_PT2_i,comdat
	.globl	_ZL16dequantize_blockILi32ELi2EXadL_ZL15dequantize_q4_1PKviiR7__half2EEN3c108BFloat16EEvS1_PT2_i ; -- Begin function _ZL16dequantize_blockILi32ELi2EXadL_ZL15dequantize_q4_1PKviiR7__half2EEN3c108BFloat16EEvS1_PT2_i
	.p2align	8
	.type	_ZL16dequantize_blockILi32ELi2EXadL_ZL15dequantize_q4_1PKviiR7__half2EEN3c108BFloat16EEvS1_PT2_i,@function
_ZL16dequantize_blockILi32ELi2EXadL_ZL15dequantize_q4_1PKviiR7__half2EEN3c108BFloat16EEvS1_PT2_i: ; @_ZL16dequantize_blockILi32ELi2EXadL_ZL15dequantize_q4_1PKviiR7__half2EEN3c108BFloat16EEvS1_PT2_i
; %bb.0:
	s_load_dword s0, s[4:5], 0x24
	s_load_dword s1, s[4:5], 0x10
	s_waitcnt lgkmcnt(0)
	s_and_b32 s0, s0, 0xffff
	s_mul_i32 s6, s6, s0
	v_add_lshl_u32 v0, s6, v0, 1
	v_cmp_gt_i32_e32 vcc, s1, v0
	s_and_saveexec_b64 s[0:1], vcc
	s_cbranch_execz .LBB39_2
; %bb.1:
	s_load_dwordx4 s[0:3], s[4:5], 0x0
	v_ashrrev_i32_e32 v1, 31, v0
	v_lshrrev_b32_e32 v1, 27, v1
	v_add_u32_e32 v1, v0, v1
	v_ashrrev_i32_e32 v2, 5, v1
	v_and_b32_e32 v4, 0xffffffe0, v1
	v_sub_u32_e32 v3, v0, v4
	s_waitcnt lgkmcnt(0)
	v_mad_i64_i32 v[0:1], s[0:1], v2, 20, s[0:1]
	v_ashrrev_i32_e32 v5, 1, v3
	v_ashrrev_i32_e32 v3, 31, v5
	v_add_co_u32_e32 v2, vcc, v0, v5
	v_addc_co_u32_e32 v3, vcc, v1, v3, vcc
	global_load_ubyte v6, v[2:3], off offset:4
	global_load_dword v7, v[0:1], off
	v_add_u32_e32 v0, v4, v5
	s_mov_b32 s0, 0x10001
	s_mov_b32 s1, 0xffff0000
	v_ashrrev_i32_e32 v1, 31, v0
	v_lshlrev_b64 v[0:1], 1, v[0:1]
	v_mov_b32_e32 v3, s3
	v_add_co_u32_e32 v0, vcc, s2, v0
	s_movk_i32 s4, 0x7fff
	v_addc_co_u32_e32 v1, vcc, v3, v1, vcc
	v_mov_b32_e32 v2, 0x7fc0
	s_waitcnt vmcnt(1)
	v_and_b32_e32 v4, 15, v6
	v_lshrrev_b32_e32 v5, 4, v6
	v_cvt_f32_ubyte0_e32 v4, v4
	v_cvt_f32_ubyte0_e32 v5, v5
	v_cvt_f16_f32_e32 v4, v4
	v_cvt_f16_f32_e32 v5, v5
	s_waitcnt vmcnt(0)
	v_lshrrev_b32_e32 v6, 16, v7
	v_mul_u32_u24_sdwa v8, v7, s0 dst_sel:DWORD dst_unused:UNUSED_PAD src0_sel:WORD_0 src1_sel:DWORD
	v_and_or_b32 v6, v7, s1, v6
	v_pack_b32_f16 v4, v4, v5
	v_pk_fma_f16 v4, v4, v8, v6
	v_cvt_f32_f16_e32 v5, v4
	v_cvt_f32_f16_sdwa v6, v4 dst_sel:DWORD dst_unused:UNUSED_PAD src0_sel:WORD_1
	v_cmp_o_f16_sdwa vcc, v4, v4 src0_sel:WORD_1 src1_sel:WORD_1
	v_bfe_u32 v3, v5, 16, 1
	v_bfe_u32 v7, v6, 16, 1
	v_add3_u32 v3, v5, v3, s4
	v_add3_u32 v5, v6, v7, s4
	v_lshrrev_b32_e32 v3, 16, v3
	v_cndmask_b32_sdwa v5, v2, v5, vcc dst_sel:DWORD dst_unused:UNUSED_PAD src0_sel:DWORD src1_sel:WORD_1
	v_cmp_o_f16_e32 vcc, v4, v4
	v_cndmask_b32_e32 v2, v2, v3, vcc
	global_store_short v[0:1], v2, off
	global_store_short v[0:1], v5, off offset:32
.LBB39_2:
	s_endpgm
	.section	.rodata,"a",@progbits
	.p2align	6, 0x0
	.amdhsa_kernel _ZL16dequantize_blockILi32ELi2EXadL_ZL15dequantize_q4_1PKviiR7__half2EEN3c108BFloat16EEvS1_PT2_i
		.amdhsa_group_segment_fixed_size 0
		.amdhsa_private_segment_fixed_size 0
		.amdhsa_kernarg_size 280
		.amdhsa_user_sgpr_count 6
		.amdhsa_user_sgpr_private_segment_buffer 1
		.amdhsa_user_sgpr_dispatch_ptr 0
		.amdhsa_user_sgpr_queue_ptr 0
		.amdhsa_user_sgpr_kernarg_segment_ptr 1
		.amdhsa_user_sgpr_dispatch_id 0
		.amdhsa_user_sgpr_flat_scratch_init 0
		.amdhsa_user_sgpr_private_segment_size 0
		.amdhsa_uses_dynamic_stack 0
		.amdhsa_system_sgpr_private_segment_wavefront_offset 0
		.amdhsa_system_sgpr_workgroup_id_x 1
		.amdhsa_system_sgpr_workgroup_id_y 0
		.amdhsa_system_sgpr_workgroup_id_z 0
		.amdhsa_system_sgpr_workgroup_info 0
		.amdhsa_system_vgpr_workitem_id 0
		.amdhsa_next_free_vgpr 9
		.amdhsa_next_free_sgpr 7
		.amdhsa_reserve_vcc 1
		.amdhsa_reserve_flat_scratch 0
		.amdhsa_float_round_mode_32 0
		.amdhsa_float_round_mode_16_64 0
		.amdhsa_float_denorm_mode_32 3
		.amdhsa_float_denorm_mode_16_64 3
		.amdhsa_dx10_clamp 1
		.amdhsa_ieee_mode 1
		.amdhsa_fp16_overflow 0
		.amdhsa_exception_fp_ieee_invalid_op 0
		.amdhsa_exception_fp_denorm_src 0
		.amdhsa_exception_fp_ieee_div_zero 0
		.amdhsa_exception_fp_ieee_overflow 0
		.amdhsa_exception_fp_ieee_underflow 0
		.amdhsa_exception_fp_ieee_inexact 0
		.amdhsa_exception_int_div_zero 0
	.end_amdhsa_kernel
	.section	.text._ZL16dequantize_blockILi32ELi2EXadL_ZL15dequantize_q4_1PKviiR7__half2EEN3c108BFloat16EEvS1_PT2_i,"axG",@progbits,_ZL16dequantize_blockILi32ELi2EXadL_ZL15dequantize_q4_1PKviiR7__half2EEN3c108BFloat16EEvS1_PT2_i,comdat
.Lfunc_end39:
	.size	_ZL16dequantize_blockILi32ELi2EXadL_ZL15dequantize_q4_1PKviiR7__half2EEN3c108BFloat16EEvS1_PT2_i, .Lfunc_end39-_ZL16dequantize_blockILi32ELi2EXadL_ZL15dequantize_q4_1PKviiR7__half2EEN3c108BFloat16EEvS1_PT2_i
                                        ; -- End function
	.set _ZL16dequantize_blockILi32ELi2EXadL_ZL15dequantize_q4_1PKviiR7__half2EEN3c108BFloat16EEvS1_PT2_i.num_vgpr, 9
	.set _ZL16dequantize_blockILi32ELi2EXadL_ZL15dequantize_q4_1PKviiR7__half2EEN3c108BFloat16EEvS1_PT2_i.num_agpr, 0
	.set _ZL16dequantize_blockILi32ELi2EXadL_ZL15dequantize_q4_1PKviiR7__half2EEN3c108BFloat16EEvS1_PT2_i.numbered_sgpr, 7
	.set _ZL16dequantize_blockILi32ELi2EXadL_ZL15dequantize_q4_1PKviiR7__half2EEN3c108BFloat16EEvS1_PT2_i.num_named_barrier, 0
	.set _ZL16dequantize_blockILi32ELi2EXadL_ZL15dequantize_q4_1PKviiR7__half2EEN3c108BFloat16EEvS1_PT2_i.private_seg_size, 0
	.set _ZL16dequantize_blockILi32ELi2EXadL_ZL15dequantize_q4_1PKviiR7__half2EEN3c108BFloat16EEvS1_PT2_i.uses_vcc, 1
	.set _ZL16dequantize_blockILi32ELi2EXadL_ZL15dequantize_q4_1PKviiR7__half2EEN3c108BFloat16EEvS1_PT2_i.uses_flat_scratch, 0
	.set _ZL16dequantize_blockILi32ELi2EXadL_ZL15dequantize_q4_1PKviiR7__half2EEN3c108BFloat16EEvS1_PT2_i.has_dyn_sized_stack, 0
	.set _ZL16dequantize_blockILi32ELi2EXadL_ZL15dequantize_q4_1PKviiR7__half2EEN3c108BFloat16EEvS1_PT2_i.has_recursion, 0
	.set _ZL16dequantize_blockILi32ELi2EXadL_ZL15dequantize_q4_1PKviiR7__half2EEN3c108BFloat16EEvS1_PT2_i.has_indirect_call, 0
	.section	.AMDGPU.csdata,"",@progbits
; Kernel info:
; codeLenInByte = 348
; TotalNumSgprs: 11
; NumVgprs: 9
; ScratchSize: 0
; MemoryBound: 0
; FloatMode: 240
; IeeeMode: 1
; LDSByteSize: 0 bytes/workgroup (compile time only)
; SGPRBlocks: 1
; VGPRBlocks: 2
; NumSGPRsForWavesPerEU: 11
; NumVGPRsForWavesPerEU: 9
; Occupancy: 10
; WaveLimiterHint : 0
; COMPUTE_PGM_RSRC2:SCRATCH_EN: 0
; COMPUTE_PGM_RSRC2:USER_SGPR: 6
; COMPUTE_PGM_RSRC2:TRAP_HANDLER: 0
; COMPUTE_PGM_RSRC2:TGID_X_EN: 1
; COMPUTE_PGM_RSRC2:TGID_Y_EN: 0
; COMPUTE_PGM_RSRC2:TGID_Z_EN: 0
; COMPUTE_PGM_RSRC2:TIDIG_COMP_CNT: 0
	.section	.text._ZL16dequantize_blockILi32ELi2EXadL_ZL15dequantize_q5_0PKviiR7__half2EEN3c108BFloat16EEvS1_PT2_i,"axG",@progbits,_ZL16dequantize_blockILi32ELi2EXadL_ZL15dequantize_q5_0PKviiR7__half2EEN3c108BFloat16EEvS1_PT2_i,comdat
	.globl	_ZL16dequantize_blockILi32ELi2EXadL_ZL15dequantize_q5_0PKviiR7__half2EEN3c108BFloat16EEvS1_PT2_i ; -- Begin function _ZL16dequantize_blockILi32ELi2EXadL_ZL15dequantize_q5_0PKviiR7__half2EEN3c108BFloat16EEvS1_PT2_i
	.p2align	8
	.type	_ZL16dequantize_blockILi32ELi2EXadL_ZL15dequantize_q5_0PKviiR7__half2EEN3c108BFloat16EEvS1_PT2_i,@function
_ZL16dequantize_blockILi32ELi2EXadL_ZL15dequantize_q5_0PKviiR7__half2EEN3c108BFloat16EEvS1_PT2_i: ; @_ZL16dequantize_blockILi32ELi2EXadL_ZL15dequantize_q5_0PKviiR7__half2EEN3c108BFloat16EEvS1_PT2_i
; %bb.0:
	s_load_dword s0, s[4:5], 0x24
	s_load_dword s1, s[4:5], 0x10
	s_waitcnt lgkmcnt(0)
	s_and_b32 s0, s0, 0xffff
	s_mul_i32 s6, s6, s0
	v_add_lshl_u32 v0, s6, v0, 1
	v_cmp_gt_i32_e32 vcc, s1, v0
	s_and_saveexec_b64 s[0:1], vcc
	s_cbranch_execz .LBB40_2
; %bb.1:
	s_load_dwordx4 s[0:3], s[4:5], 0x0
	v_ashrrev_i32_e32 v1, 31, v0
	v_lshrrev_b32_e32 v1, 27, v1
	v_add_u32_e32 v3, v0, v1
	v_ashrrev_i32_e32 v1, 5, v3
	s_waitcnt lgkmcnt(0)
	v_mad_i64_i32 v[1:2], s[0:1], v1, 22, s[0:1]
	v_and_b32_e32 v3, 0xffffffe0, v3
	v_sub_u32_e32 v0, v0, v3
	v_ashrrev_i32_e32 v4, 1, v0
	global_load_dword v5, v[1:2], off
	global_load_ushort v6, v[1:2], off offset:4
	v_ashrrev_i32_e32 v7, 31, v4
	v_add_co_u32_e32 v0, vcc, v1, v4
	v_addc_co_u32_e32 v1, vcc, v2, v7, vcc
	global_load_ubyte v2, v[0:1], off offset:6
	s_mov_b32 s0, 0x1000706
	v_add_u32_e32 v0, v3, v4
	v_add_u32_e32 v9, 12, v4
	s_mov_b32 s1, 0xcc00
	v_ashrrev_i32_e32 v1, 31, v0
	v_lshlrev_b64 v[0:1], 1, v[0:1]
	v_mov_b32_e32 v8, s3
	v_add_co_u32_e32 v0, vcc, s2, v0
	s_movk_i32 s4, 0x7fff
	v_addc_co_u32_e32 v1, vcc, v8, v1, vcc
	v_mov_b32_e32 v7, 0x7fc0
	s_waitcnt vmcnt(1)
	v_perm_b32 v3, v5, v6, s0
	v_lshrrev_b32_e32 v4, v4, v3
	v_lshrrev_b32_e32 v3, v9, v3
	v_lshlrev_b32_e32 v4, 4, v4
	s_waitcnt vmcnt(0)
	v_and_b32_e32 v6, 15, v2
	v_lshrrev_b16_e32 v2, 4, v2
	v_and_or_b32 v2, v3, 16, v2
	v_and_or_b32 v3, v4, 16, v6
	v_cvt_f32_ubyte0_e32 v2, v2
	v_cvt_f32_ubyte0_e32 v3, v3
	v_cvt_f16_f32_e32 v2, v2
	v_cvt_f16_f32_e32 v3, v3
	v_and_b32_e32 v4, 0xffff, v5
	v_lshl_or_b32 v4, v5, 16, v4
	v_pack_b32_f16 v2, v3, v2
	v_pk_add_f16 v2, v2, s1 op_sel_hi:[1,0]
	v_pk_mul_f16 v2, v2, v4
	v_cvt_f32_f16_e32 v3, v2
	v_cvt_f32_f16_sdwa v4, v2 dst_sel:DWORD dst_unused:UNUSED_PAD src0_sel:WORD_1
	v_cmp_o_f16_sdwa vcc, v2, v2 src0_sel:WORD_1 src1_sel:WORD_1
	v_bfe_u32 v5, v3, 16, 1
	v_bfe_u32 v6, v4, 16, 1
	v_add3_u32 v3, v3, v5, s4
	v_add3_u32 v4, v4, v6, s4
	v_lshrrev_b32_e32 v3, 16, v3
	v_cndmask_b32_sdwa v4, v7, v4, vcc dst_sel:DWORD dst_unused:UNUSED_PAD src0_sel:DWORD src1_sel:WORD_1
	v_cmp_o_f16_e32 vcc, v2, v2
	v_cndmask_b32_e32 v2, v7, v3, vcc
	global_store_short v[0:1], v2, off
	global_store_short v[0:1], v4, off offset:32
.LBB40_2:
	s_endpgm
	.section	.rodata,"a",@progbits
	.p2align	6, 0x0
	.amdhsa_kernel _ZL16dequantize_blockILi32ELi2EXadL_ZL15dequantize_q5_0PKviiR7__half2EEN3c108BFloat16EEvS1_PT2_i
		.amdhsa_group_segment_fixed_size 0
		.amdhsa_private_segment_fixed_size 0
		.amdhsa_kernarg_size 280
		.amdhsa_user_sgpr_count 6
		.amdhsa_user_sgpr_private_segment_buffer 1
		.amdhsa_user_sgpr_dispatch_ptr 0
		.amdhsa_user_sgpr_queue_ptr 0
		.amdhsa_user_sgpr_kernarg_segment_ptr 1
		.amdhsa_user_sgpr_dispatch_id 0
		.amdhsa_user_sgpr_flat_scratch_init 0
		.amdhsa_user_sgpr_private_segment_size 0
		.amdhsa_uses_dynamic_stack 0
		.amdhsa_system_sgpr_private_segment_wavefront_offset 0
		.amdhsa_system_sgpr_workgroup_id_x 1
		.amdhsa_system_sgpr_workgroup_id_y 0
		.amdhsa_system_sgpr_workgroup_id_z 0
		.amdhsa_system_sgpr_workgroup_info 0
		.amdhsa_system_vgpr_workitem_id 0
		.amdhsa_next_free_vgpr 10
		.amdhsa_next_free_sgpr 7
		.amdhsa_reserve_vcc 1
		.amdhsa_reserve_flat_scratch 0
		.amdhsa_float_round_mode_32 0
		.amdhsa_float_round_mode_16_64 0
		.amdhsa_float_denorm_mode_32 3
		.amdhsa_float_denorm_mode_16_64 3
		.amdhsa_dx10_clamp 1
		.amdhsa_ieee_mode 1
		.amdhsa_fp16_overflow 0
		.amdhsa_exception_fp_ieee_invalid_op 0
		.amdhsa_exception_fp_denorm_src 0
		.amdhsa_exception_fp_ieee_div_zero 0
		.amdhsa_exception_fp_ieee_overflow 0
		.amdhsa_exception_fp_ieee_underflow 0
		.amdhsa_exception_fp_ieee_inexact 0
		.amdhsa_exception_int_div_zero 0
	.end_amdhsa_kernel
	.section	.text._ZL16dequantize_blockILi32ELi2EXadL_ZL15dequantize_q5_0PKviiR7__half2EEN3c108BFloat16EEvS1_PT2_i,"axG",@progbits,_ZL16dequantize_blockILi32ELi2EXadL_ZL15dequantize_q5_0PKviiR7__half2EEN3c108BFloat16EEvS1_PT2_i,comdat
.Lfunc_end40:
	.size	_ZL16dequantize_blockILi32ELi2EXadL_ZL15dequantize_q5_0PKviiR7__half2EEN3c108BFloat16EEvS1_PT2_i, .Lfunc_end40-_ZL16dequantize_blockILi32ELi2EXadL_ZL15dequantize_q5_0PKviiR7__half2EEN3c108BFloat16EEvS1_PT2_i
                                        ; -- End function
	.set _ZL16dequantize_blockILi32ELi2EXadL_ZL15dequantize_q5_0PKviiR7__half2EEN3c108BFloat16EEvS1_PT2_i.num_vgpr, 10
	.set _ZL16dequantize_blockILi32ELi2EXadL_ZL15dequantize_q5_0PKviiR7__half2EEN3c108BFloat16EEvS1_PT2_i.num_agpr, 0
	.set _ZL16dequantize_blockILi32ELi2EXadL_ZL15dequantize_q5_0PKviiR7__half2EEN3c108BFloat16EEvS1_PT2_i.numbered_sgpr, 7
	.set _ZL16dequantize_blockILi32ELi2EXadL_ZL15dequantize_q5_0PKviiR7__half2EEN3c108BFloat16EEvS1_PT2_i.num_named_barrier, 0
	.set _ZL16dequantize_blockILi32ELi2EXadL_ZL15dequantize_q5_0PKviiR7__half2EEN3c108BFloat16EEvS1_PT2_i.private_seg_size, 0
	.set _ZL16dequantize_blockILi32ELi2EXadL_ZL15dequantize_q5_0PKviiR7__half2EEN3c108BFloat16EEvS1_PT2_i.uses_vcc, 1
	.set _ZL16dequantize_blockILi32ELi2EXadL_ZL15dequantize_q5_0PKviiR7__half2EEN3c108BFloat16EEvS1_PT2_i.uses_flat_scratch, 0
	.set _ZL16dequantize_blockILi32ELi2EXadL_ZL15dequantize_q5_0PKviiR7__half2EEN3c108BFloat16EEvS1_PT2_i.has_dyn_sized_stack, 0
	.set _ZL16dequantize_blockILi32ELi2EXadL_ZL15dequantize_q5_0PKviiR7__half2EEN3c108BFloat16EEvS1_PT2_i.has_recursion, 0
	.set _ZL16dequantize_blockILi32ELi2EXadL_ZL15dequantize_q5_0PKviiR7__half2EEN3c108BFloat16EEvS1_PT2_i.has_indirect_call, 0
	.section	.AMDGPU.csdata,"",@progbits
; Kernel info:
; codeLenInByte = 400
; TotalNumSgprs: 11
; NumVgprs: 10
; ScratchSize: 0
; MemoryBound: 0
; FloatMode: 240
; IeeeMode: 1
; LDSByteSize: 0 bytes/workgroup (compile time only)
; SGPRBlocks: 1
; VGPRBlocks: 2
; NumSGPRsForWavesPerEU: 11
; NumVGPRsForWavesPerEU: 10
; Occupancy: 10
; WaveLimiterHint : 0
; COMPUTE_PGM_RSRC2:SCRATCH_EN: 0
; COMPUTE_PGM_RSRC2:USER_SGPR: 6
; COMPUTE_PGM_RSRC2:TRAP_HANDLER: 0
; COMPUTE_PGM_RSRC2:TGID_X_EN: 1
; COMPUTE_PGM_RSRC2:TGID_Y_EN: 0
; COMPUTE_PGM_RSRC2:TGID_Z_EN: 0
; COMPUTE_PGM_RSRC2:TIDIG_COMP_CNT: 0
	.section	.text._ZL16dequantize_blockILi32ELi2EXadL_ZL15dequantize_q5_1PKviiR7__half2EEN3c108BFloat16EEvS1_PT2_i,"axG",@progbits,_ZL16dequantize_blockILi32ELi2EXadL_ZL15dequantize_q5_1PKviiR7__half2EEN3c108BFloat16EEvS1_PT2_i,comdat
	.globl	_ZL16dequantize_blockILi32ELi2EXadL_ZL15dequantize_q5_1PKviiR7__half2EEN3c108BFloat16EEvS1_PT2_i ; -- Begin function _ZL16dequantize_blockILi32ELi2EXadL_ZL15dequantize_q5_1PKviiR7__half2EEN3c108BFloat16EEvS1_PT2_i
	.p2align	8
	.type	_ZL16dequantize_blockILi32ELi2EXadL_ZL15dequantize_q5_1PKviiR7__half2EEN3c108BFloat16EEvS1_PT2_i,@function
_ZL16dequantize_blockILi32ELi2EXadL_ZL15dequantize_q5_1PKviiR7__half2EEN3c108BFloat16EEvS1_PT2_i: ; @_ZL16dequantize_blockILi32ELi2EXadL_ZL15dequantize_q5_1PKviiR7__half2EEN3c108BFloat16EEvS1_PT2_i
; %bb.0:
	s_load_dword s0, s[4:5], 0x24
	s_load_dword s1, s[4:5], 0x10
	s_waitcnt lgkmcnt(0)
	s_and_b32 s0, s0, 0xffff
	s_mul_i32 s6, s6, s0
	v_add_lshl_u32 v0, s6, v0, 1
	v_cmp_gt_i32_e32 vcc, s1, v0
	s_and_saveexec_b64 s[0:1], vcc
	s_cbranch_execz .LBB41_2
; %bb.1:
	s_load_dwordx4 s[0:3], s[4:5], 0x0
	v_ashrrev_i32_e32 v1, 31, v0
	v_lshrrev_b32_e32 v1, 27, v1
	v_add_u32_e32 v3, v0, v1
	v_ashrrev_i32_e32 v1, 5, v3
	s_waitcnt lgkmcnt(0)
	v_mad_i64_i32 v[1:2], s[0:1], v1, 24, s[0:1]
	v_and_b32_e32 v5, 0xffffffe0, v3
	v_sub_u32_e32 v0, v0, v5
	v_ashrrev_i32_e32 v6, 1, v0
	v_ashrrev_i32_e32 v7, 31, v6
	v_add_co_u32_e32 v0, vcc, v1, v6
	global_load_dwordx2 v[3:4], v[1:2], off
	v_addc_co_u32_e32 v1, vcc, v2, v7, vcc
	global_load_ubyte v2, v[0:1], off offset:8
	v_add_u32_e32 v9, 12, v6
	v_add_u32_e32 v0, v5, v6
	s_mov_b32 s0, 0x10001
	s_mov_b32 s1, 0xffff0000
	v_ashrrev_i32_e32 v1, 31, v0
	v_lshlrev_b64 v[0:1], 1, v[0:1]
	v_mov_b32_e32 v8, s3
	v_add_co_u32_e32 v0, vcc, s2, v0
	s_movk_i32 s4, 0x7fff
	v_addc_co_u32_e32 v1, vcc, v8, v1, vcc
	v_mov_b32_e32 v7, 0x7fc0
	s_waitcnt vmcnt(1)
	v_lshrrev_b32_e32 v5, v6, v4
	v_lshrrev_b32_e32 v4, v9, v4
	v_lshlrev_b32_e32 v5, 4, v5
	s_waitcnt vmcnt(0)
	v_and_b32_e32 v6, 15, v2
	v_lshrrev_b16_e32 v2, 4, v2
	v_and_or_b32 v5, v5, 16, v6
	v_and_or_b32 v2, v4, 16, v2
	v_cvt_f32_ubyte0_e32 v4, v5
	v_cvt_f32_ubyte0_e32 v2, v2
	v_cvt_f16_f32_e32 v4, v4
	v_cvt_f16_f32_e32 v2, v2
	v_lshrrev_b32_e32 v5, 16, v3
	v_mul_u32_u24_sdwa v6, v3, s0 dst_sel:DWORD dst_unused:UNUSED_PAD src0_sel:WORD_0 src1_sel:DWORD
	v_and_or_b32 v3, v3, s1, v5
	v_pack_b32_f16 v2, v4, v2
	v_pk_fma_f16 v2, v2, v6, v3
	v_cvt_f32_f16_e32 v3, v2
	v_cvt_f32_f16_sdwa v4, v2 dst_sel:DWORD dst_unused:UNUSED_PAD src0_sel:WORD_1
	v_cmp_o_f16_sdwa vcc, v2, v2 src0_sel:WORD_1 src1_sel:WORD_1
	v_bfe_u32 v5, v3, 16, 1
	v_bfe_u32 v6, v4, 16, 1
	v_add3_u32 v3, v3, v5, s4
	v_add3_u32 v4, v4, v6, s4
	v_lshrrev_b32_e32 v3, 16, v3
	v_cndmask_b32_sdwa v4, v7, v4, vcc dst_sel:DWORD dst_unused:UNUSED_PAD src0_sel:DWORD src1_sel:WORD_1
	v_cmp_o_f16_e32 vcc, v2, v2
	v_cndmask_b32_e32 v2, v7, v3, vcc
	global_store_short v[0:1], v2, off
	global_store_short v[0:1], v4, off offset:32
.LBB41_2:
	s_endpgm
	.section	.rodata,"a",@progbits
	.p2align	6, 0x0
	.amdhsa_kernel _ZL16dequantize_blockILi32ELi2EXadL_ZL15dequantize_q5_1PKviiR7__half2EEN3c108BFloat16EEvS1_PT2_i
		.amdhsa_group_segment_fixed_size 0
		.amdhsa_private_segment_fixed_size 0
		.amdhsa_kernarg_size 280
		.amdhsa_user_sgpr_count 6
		.amdhsa_user_sgpr_private_segment_buffer 1
		.amdhsa_user_sgpr_dispatch_ptr 0
		.amdhsa_user_sgpr_queue_ptr 0
		.amdhsa_user_sgpr_kernarg_segment_ptr 1
		.amdhsa_user_sgpr_dispatch_id 0
		.amdhsa_user_sgpr_flat_scratch_init 0
		.amdhsa_user_sgpr_private_segment_size 0
		.amdhsa_uses_dynamic_stack 0
		.amdhsa_system_sgpr_private_segment_wavefront_offset 0
		.amdhsa_system_sgpr_workgroup_id_x 1
		.amdhsa_system_sgpr_workgroup_id_y 0
		.amdhsa_system_sgpr_workgroup_id_z 0
		.amdhsa_system_sgpr_workgroup_info 0
		.amdhsa_system_vgpr_workitem_id 0
		.amdhsa_next_free_vgpr 10
		.amdhsa_next_free_sgpr 7
		.amdhsa_reserve_vcc 1
		.amdhsa_reserve_flat_scratch 0
		.amdhsa_float_round_mode_32 0
		.amdhsa_float_round_mode_16_64 0
		.amdhsa_float_denorm_mode_32 3
		.amdhsa_float_denorm_mode_16_64 3
		.amdhsa_dx10_clamp 1
		.amdhsa_ieee_mode 1
		.amdhsa_fp16_overflow 0
		.amdhsa_exception_fp_ieee_invalid_op 0
		.amdhsa_exception_fp_denorm_src 0
		.amdhsa_exception_fp_ieee_div_zero 0
		.amdhsa_exception_fp_ieee_overflow 0
		.amdhsa_exception_fp_ieee_underflow 0
		.amdhsa_exception_fp_ieee_inexact 0
		.amdhsa_exception_int_div_zero 0
	.end_amdhsa_kernel
	.section	.text._ZL16dequantize_blockILi32ELi2EXadL_ZL15dequantize_q5_1PKviiR7__half2EEN3c108BFloat16EEvS1_PT2_i,"axG",@progbits,_ZL16dequantize_blockILi32ELi2EXadL_ZL15dequantize_q5_1PKviiR7__half2EEN3c108BFloat16EEvS1_PT2_i,comdat
.Lfunc_end41:
	.size	_ZL16dequantize_blockILi32ELi2EXadL_ZL15dequantize_q5_1PKviiR7__half2EEN3c108BFloat16EEvS1_PT2_i, .Lfunc_end41-_ZL16dequantize_blockILi32ELi2EXadL_ZL15dequantize_q5_1PKviiR7__half2EEN3c108BFloat16EEvS1_PT2_i
                                        ; -- End function
	.set _ZL16dequantize_blockILi32ELi2EXadL_ZL15dequantize_q5_1PKviiR7__half2EEN3c108BFloat16EEvS1_PT2_i.num_vgpr, 10
	.set _ZL16dequantize_blockILi32ELi2EXadL_ZL15dequantize_q5_1PKviiR7__half2EEN3c108BFloat16EEvS1_PT2_i.num_agpr, 0
	.set _ZL16dequantize_blockILi32ELi2EXadL_ZL15dequantize_q5_1PKviiR7__half2EEN3c108BFloat16EEvS1_PT2_i.numbered_sgpr, 7
	.set _ZL16dequantize_blockILi32ELi2EXadL_ZL15dequantize_q5_1PKviiR7__half2EEN3c108BFloat16EEvS1_PT2_i.num_named_barrier, 0
	.set _ZL16dequantize_blockILi32ELi2EXadL_ZL15dequantize_q5_1PKviiR7__half2EEN3c108BFloat16EEvS1_PT2_i.private_seg_size, 0
	.set _ZL16dequantize_blockILi32ELi2EXadL_ZL15dequantize_q5_1PKviiR7__half2EEN3c108BFloat16EEvS1_PT2_i.uses_vcc, 1
	.set _ZL16dequantize_blockILi32ELi2EXadL_ZL15dequantize_q5_1PKviiR7__half2EEN3c108BFloat16EEvS1_PT2_i.uses_flat_scratch, 0
	.set _ZL16dequantize_blockILi32ELi2EXadL_ZL15dequantize_q5_1PKviiR7__half2EEN3c108BFloat16EEvS1_PT2_i.has_dyn_sized_stack, 0
	.set _ZL16dequantize_blockILi32ELi2EXadL_ZL15dequantize_q5_1PKviiR7__half2EEN3c108BFloat16EEvS1_PT2_i.has_recursion, 0
	.set _ZL16dequantize_blockILi32ELi2EXadL_ZL15dequantize_q5_1PKviiR7__half2EEN3c108BFloat16EEvS1_PT2_i.has_indirect_call, 0
	.section	.AMDGPU.csdata,"",@progbits
; Kernel info:
; codeLenInByte = 380
; TotalNumSgprs: 11
; NumVgprs: 10
; ScratchSize: 0
; MemoryBound: 0
; FloatMode: 240
; IeeeMode: 1
; LDSByteSize: 0 bytes/workgroup (compile time only)
; SGPRBlocks: 1
; VGPRBlocks: 2
; NumSGPRsForWavesPerEU: 11
; NumVGPRsForWavesPerEU: 10
; Occupancy: 10
; WaveLimiterHint : 0
; COMPUTE_PGM_RSRC2:SCRATCH_EN: 0
; COMPUTE_PGM_RSRC2:USER_SGPR: 6
; COMPUTE_PGM_RSRC2:TRAP_HANDLER: 0
; COMPUTE_PGM_RSRC2:TGID_X_EN: 1
; COMPUTE_PGM_RSRC2:TGID_Y_EN: 0
; COMPUTE_PGM_RSRC2:TGID_Z_EN: 0
; COMPUTE_PGM_RSRC2:TIDIG_COMP_CNT: 0
	.section	.text._ZL16dequantize_blockILi32ELi1EXadL_ZL15dequantize_q8_0PKviiR7__half2EEN3c108BFloat16EEvS1_PT2_i,"axG",@progbits,_ZL16dequantize_blockILi32ELi1EXadL_ZL15dequantize_q8_0PKviiR7__half2EEN3c108BFloat16EEvS1_PT2_i,comdat
	.globl	_ZL16dequantize_blockILi32ELi1EXadL_ZL15dequantize_q8_0PKviiR7__half2EEN3c108BFloat16EEvS1_PT2_i ; -- Begin function _ZL16dequantize_blockILi32ELi1EXadL_ZL15dequantize_q8_0PKviiR7__half2EEN3c108BFloat16EEvS1_PT2_i
	.p2align	8
	.type	_ZL16dequantize_blockILi32ELi1EXadL_ZL15dequantize_q8_0PKviiR7__half2EEN3c108BFloat16EEvS1_PT2_i,@function
_ZL16dequantize_blockILi32ELi1EXadL_ZL15dequantize_q8_0PKviiR7__half2EEN3c108BFloat16EEvS1_PT2_i: ; @_ZL16dequantize_blockILi32ELi1EXadL_ZL15dequantize_q8_0PKviiR7__half2EEN3c108BFloat16EEvS1_PT2_i
; %bb.0:
	s_load_dword s0, s[4:5], 0x24
	s_load_dword s1, s[4:5], 0x10
	s_waitcnt lgkmcnt(0)
	s_and_b32 s0, s0, 0xffff
	s_mul_i32 s6, s6, s0
	v_add_lshl_u32 v0, s6, v0, 1
	v_cmp_gt_i32_e32 vcc, s1, v0
	s_and_saveexec_b64 s[0:1], vcc
	s_cbranch_execz .LBB42_2
; %bb.1:
	s_load_dwordx4 s[0:3], s[4:5], 0x0
	v_ashrrev_i32_e32 v1, 31, v0
	v_lshrrev_b32_e32 v2, 27, v1
	v_add_u32_e32 v2, v0, v2
	v_ashrrev_i32_e32 v3, 5, v2
	v_and_b32_e32 v4, 0xffffffe0, v2
	s_waitcnt lgkmcnt(0)
	v_mad_i64_i32 v[2:3], s[0:1], v3, 34, s[0:1]
	v_sub_u32_e32 v4, v0, v4
	v_ashrrev_i32_e32 v5, 31, v4
	v_add_co_u32_e32 v4, vcc, v2, v4
	v_addc_co_u32_e32 v5, vcc, v3, v5, vcc
	global_load_ushort v6, v[2:3], off
	global_load_ushort v7, v[4:5], off offset:2
	v_lshlrev_b64 v[0:1], 1, v[0:1]
	v_mov_b32_e32 v4, s3
	v_add_co_u32_e32 v0, vcc, s2, v0
	v_addc_co_u32_e32 v1, vcc, v4, v1, vcc
	v_mov_b32_e32 v2, 1
	s_movk_i32 s4, 0x7fff
	v_mov_b32_e32 v3, 0x7fc0
	s_waitcnt vmcnt(1)
	v_lshl_or_b32 v4, v6, 16, v6
	s_waitcnt vmcnt(0)
	v_cvt_f16_i16_sdwa v5, sext(v7) dst_sel:DWORD dst_unused:UNUSED_PAD src0_sel:BYTE_1
	v_cvt_f16_i16_sdwa v6, sext(v7) dst_sel:DWORD dst_unused:UNUSED_PAD src0_sel:BYTE_0
	v_pack_b32_f16 v5, v6, v5
	v_pk_mul_f16 v4, v5, v4
	v_cvt_f32_f16_sdwa v5, v4 dst_sel:DWORD dst_unused:UNUSED_PAD src0_sel:WORD_1
	v_cvt_f32_f16_e32 v6, v4
	v_cmp_o_f16_e32 vcc, v4, v4
	v_cmp_o_f16_sdwa s[0:1], v4, v4 src0_sel:WORD_1 src1_sel:WORD_1
	v_and_b32_sdwa v4, v5, v2 dst_sel:DWORD dst_unused:UNUSED_PAD src0_sel:WORD_1 src1_sel:DWORD
	v_and_b32_sdwa v2, v6, v2 dst_sel:DWORD dst_unused:UNUSED_PAD src0_sel:WORD_1 src1_sel:DWORD
	v_add3_u32 v2, v6, v2, s4
	v_add3_u32 v4, v5, v4, s4
	v_cndmask_b32_sdwa v2, v3, v2, vcc dst_sel:DWORD dst_unused:UNUSED_PAD src0_sel:DWORD src1_sel:WORD_1
	s_mov_b64 vcc, s[0:1]
	v_cndmask_b32_sdwa v3, v3, v4, vcc dst_sel:DWORD dst_unused:UNUSED_PAD src0_sel:DWORD src1_sel:WORD_1
	s_mov_b32 s0, 0x5040100
	v_perm_b32 v2, v3, v2, s0
	global_store_dword v[0:1], v2, off
.LBB42_2:
	s_endpgm
	.section	.rodata,"a",@progbits
	.p2align	6, 0x0
	.amdhsa_kernel _ZL16dequantize_blockILi32ELi1EXadL_ZL15dequantize_q8_0PKviiR7__half2EEN3c108BFloat16EEvS1_PT2_i
		.amdhsa_group_segment_fixed_size 0
		.amdhsa_private_segment_fixed_size 0
		.amdhsa_kernarg_size 280
		.amdhsa_user_sgpr_count 6
		.amdhsa_user_sgpr_private_segment_buffer 1
		.amdhsa_user_sgpr_dispatch_ptr 0
		.amdhsa_user_sgpr_queue_ptr 0
		.amdhsa_user_sgpr_kernarg_segment_ptr 1
		.amdhsa_user_sgpr_dispatch_id 0
		.amdhsa_user_sgpr_flat_scratch_init 0
		.amdhsa_user_sgpr_private_segment_size 0
		.amdhsa_uses_dynamic_stack 0
		.amdhsa_system_sgpr_private_segment_wavefront_offset 0
		.amdhsa_system_sgpr_workgroup_id_x 1
		.amdhsa_system_sgpr_workgroup_id_y 0
		.amdhsa_system_sgpr_workgroup_id_z 0
		.amdhsa_system_sgpr_workgroup_info 0
		.amdhsa_system_vgpr_workitem_id 0
		.amdhsa_next_free_vgpr 8
		.amdhsa_next_free_sgpr 7
		.amdhsa_reserve_vcc 1
		.amdhsa_reserve_flat_scratch 0
		.amdhsa_float_round_mode_32 0
		.amdhsa_float_round_mode_16_64 0
		.amdhsa_float_denorm_mode_32 3
		.amdhsa_float_denorm_mode_16_64 3
		.amdhsa_dx10_clamp 1
		.amdhsa_ieee_mode 1
		.amdhsa_fp16_overflow 0
		.amdhsa_exception_fp_ieee_invalid_op 0
		.amdhsa_exception_fp_denorm_src 0
		.amdhsa_exception_fp_ieee_div_zero 0
		.amdhsa_exception_fp_ieee_overflow 0
		.amdhsa_exception_fp_ieee_underflow 0
		.amdhsa_exception_fp_ieee_inexact 0
		.amdhsa_exception_int_div_zero 0
	.end_amdhsa_kernel
	.section	.text._ZL16dequantize_blockILi32ELi1EXadL_ZL15dequantize_q8_0PKviiR7__half2EEN3c108BFloat16EEvS1_PT2_i,"axG",@progbits,_ZL16dequantize_blockILi32ELi1EXadL_ZL15dequantize_q8_0PKviiR7__half2EEN3c108BFloat16EEvS1_PT2_i,comdat
.Lfunc_end42:
	.size	_ZL16dequantize_blockILi32ELi1EXadL_ZL15dequantize_q8_0PKviiR7__half2EEN3c108BFloat16EEvS1_PT2_i, .Lfunc_end42-_ZL16dequantize_blockILi32ELi1EXadL_ZL15dequantize_q8_0PKviiR7__half2EEN3c108BFloat16EEvS1_PT2_i
                                        ; -- End function
	.set _ZL16dequantize_blockILi32ELi1EXadL_ZL15dequantize_q8_0PKviiR7__half2EEN3c108BFloat16EEvS1_PT2_i.num_vgpr, 8
	.set _ZL16dequantize_blockILi32ELi1EXadL_ZL15dequantize_q8_0PKviiR7__half2EEN3c108BFloat16EEvS1_PT2_i.num_agpr, 0
	.set _ZL16dequantize_blockILi32ELi1EXadL_ZL15dequantize_q8_0PKviiR7__half2EEN3c108BFloat16EEvS1_PT2_i.numbered_sgpr, 7
	.set _ZL16dequantize_blockILi32ELi1EXadL_ZL15dequantize_q8_0PKviiR7__half2EEN3c108BFloat16EEvS1_PT2_i.num_named_barrier, 0
	.set _ZL16dequantize_blockILi32ELi1EXadL_ZL15dequantize_q8_0PKviiR7__half2EEN3c108BFloat16EEvS1_PT2_i.private_seg_size, 0
	.set _ZL16dequantize_blockILi32ELi1EXadL_ZL15dequantize_q8_0PKviiR7__half2EEN3c108BFloat16EEvS1_PT2_i.uses_vcc, 1
	.set _ZL16dequantize_blockILi32ELi1EXadL_ZL15dequantize_q8_0PKviiR7__half2EEN3c108BFloat16EEvS1_PT2_i.uses_flat_scratch, 0
	.set _ZL16dequantize_blockILi32ELi1EXadL_ZL15dequantize_q8_0PKviiR7__half2EEN3c108BFloat16EEvS1_PT2_i.has_dyn_sized_stack, 0
	.set _ZL16dequantize_blockILi32ELi1EXadL_ZL15dequantize_q8_0PKviiR7__half2EEN3c108BFloat16EEvS1_PT2_i.has_recursion, 0
	.set _ZL16dequantize_blockILi32ELi1EXadL_ZL15dequantize_q8_0PKviiR7__half2EEN3c108BFloat16EEvS1_PT2_i.has_indirect_call, 0
	.section	.AMDGPU.csdata,"",@progbits
; Kernel info:
; codeLenInByte = 316
; TotalNumSgprs: 11
; NumVgprs: 8
; ScratchSize: 0
; MemoryBound: 0
; FloatMode: 240
; IeeeMode: 1
; LDSByteSize: 0 bytes/workgroup (compile time only)
; SGPRBlocks: 1
; VGPRBlocks: 1
; NumSGPRsForWavesPerEU: 11
; NumVGPRsForWavesPerEU: 8
; Occupancy: 10
; WaveLimiterHint : 0
; COMPUTE_PGM_RSRC2:SCRATCH_EN: 0
; COMPUTE_PGM_RSRC2:USER_SGPR: 6
; COMPUTE_PGM_RSRC2:TRAP_HANDLER: 0
; COMPUTE_PGM_RSRC2:TGID_X_EN: 1
; COMPUTE_PGM_RSRC2:TGID_Y_EN: 0
; COMPUTE_PGM_RSRC2:TGID_Z_EN: 0
; COMPUTE_PGM_RSRC2:TIDIG_COMP_CNT: 0
	.section	.text._ZL21dequantize_block_q2_KIN3c108BFloat16EEvPKvPT_,"axG",@progbits,_ZL21dequantize_block_q2_KIN3c108BFloat16EEvPKvPT_,comdat
	.globl	_ZL21dequantize_block_q2_KIN3c108BFloat16EEvPKvPT_ ; -- Begin function _ZL21dequantize_block_q2_KIN3c108BFloat16EEvPKvPT_
	.p2align	8
	.type	_ZL21dequantize_block_q2_KIN3c108BFloat16EEvPKvPT_,@function
_ZL21dequantize_block_q2_KIN3c108BFloat16EEvPKvPT_: ; @_ZL21dequantize_block_q2_KIN3c108BFloat16EEvPKvPT_
; %bb.0:
	s_load_dwordx4 s[0:3], s[4:5], 0x0
	s_mul_i32 s5, s6, 0x54
	v_lshrrev_b32_e32 v1, 5, v0
	v_bfe_u32 v2, v0, 4, 1
	s_mul_hi_u32 s4, s6, 0x54
	s_waitcnt lgkmcnt(0)
	s_add_u32 s0, s0, s5
	v_lshl_or_b32 v2, v1, 3, v2
	s_addc_u32 s1, s1, s4
	global_load_ubyte v3, v2, s[0:1]
	global_load_ubyte v4, v0, s[0:1] offset:16
	global_load_ubyte v5, v2, s[0:1] offset:2
	;; [unrolled: 1-line block ×4, first 2 shown]
	s_load_dword s4, s[0:1], 0x50
	s_mov_b32 s1, 0
	s_lshl_b32 s0, s6, 8
	s_lshl_b64 s[0:1], s[0:1], 1
	s_add_u32 s0, s2, s0
	v_lshlrev_b32_e32 v1, 8, v1
	s_addc_u32 s1, s3, s1
	v_and_b32_e32 v0, 31, v0
	v_mov_b32_e32 v8, s1
	v_add_co_u32_e32 v1, vcc, s0, v1
	v_lshlrev_b32_e32 v0, 1, v0
	v_addc_co_u32_e32 v8, vcc, 0, v8, vcc
	v_add_co_u32_e32 v0, vcc, v1, v0
	v_addc_co_u32_e32 v1, vcc, 0, v8, vcc
	s_waitcnt lgkmcnt(0)
	s_lshr_b32 s0, s4, 16
	s_movk_i32 s5, 0x7fff
	v_mov_b32_e32 v2, 0x7fc0
	s_waitcnt vmcnt(4)
	v_and_b32_e32 v8, 15, v3
	s_waitcnt vmcnt(3)
	v_and_b32_e32 v9, 3, v4
	;; [unrolled: 2-line block ×3, first 2 shown]
	v_bfe_u32 v11, v4, 2, 2
	s_waitcnt vmcnt(1)
	v_and_b32_e32 v12, 15, v6
	v_bfe_u32 v13, v4, 4, 2
	s_waitcnt vmcnt(0)
	v_and_b32_e32 v14, 15, v7
	v_lshrrev_b32_e32 v4, 6, v4
	v_mul_u32_u24_sdwa v8, v9, v8 dst_sel:DWORD dst_unused:UNUSED_PAD src0_sel:DWORD src1_sel:WORD_0
	v_mul_u32_u24_sdwa v9, v11, v10 dst_sel:DWORD dst_unused:UNUSED_PAD src0_sel:DWORD src1_sel:WORD_0
	;; [unrolled: 1-line block ×4, first 2 shown]
	v_cvt_f32_ubyte0_e32 v8, v8
	v_cvt_f32_ubyte0_e32 v9, v9
	;; [unrolled: 1-line block ×4, first 2 shown]
	v_cvt_f16_f32_e32 v8, v8
	v_cvt_f16_f32_e32 v9, v9
	;; [unrolled: 1-line block ×4, first 2 shown]
	v_lshrrev_b16_e32 v3, 4, v3
	v_lshrrev_b16_e32 v5, 4, v5
	;; [unrolled: 1-line block ×4, first 2 shown]
	v_cvt_f16_u16_e32 v3, v3
	v_cvt_f16_u16_e32 v5, v5
	;; [unrolled: 1-line block ×4, first 2 shown]
	v_mul_f16_e32 v3, s0, v3
	v_mul_f16_e32 v5, s0, v5
	;; [unrolled: 1-line block ×4, first 2 shown]
	v_fma_f16 v3, s4, v8, -v3
	v_fma_f16 v5, s4, v9, -v5
	;; [unrolled: 1-line block ×4, first 2 shown]
	v_cvt_f32_f16_e32 v7, v3
	v_cvt_f32_f16_e32 v8, v5
	;; [unrolled: 1-line block ×4, first 2 shown]
	v_cmp_o_f16_e32 vcc, v4, v4
	v_bfe_u32 v4, v7, 16, 1
	v_bfe_u32 v11, v8, 16, 1
	;; [unrolled: 1-line block ×4, first 2 shown]
	v_add3_u32 v4, v7, v4, s5
	v_add3_u32 v7, v8, v11, s5
	;; [unrolled: 1-line block ×4, first 2 shown]
	v_lshrrev_b32_e32 v4, 16, v4
	v_cndmask_b32_sdwa v9, v2, v9, vcc dst_sel:DWORD dst_unused:UNUSED_PAD src0_sel:DWORD src1_sel:WORD_1
	v_cmp_o_f16_e32 vcc, v3, v3
	v_lshrrev_b32_e32 v7, 16, v7
	v_cndmask_b32_e32 v3, v2, v4, vcc
	v_cmp_o_f16_e32 vcc, v5, v5
	v_lshrrev_b32_e32 v8, 16, v8
	v_cndmask_b32_e32 v4, v2, v7, vcc
	v_cmp_o_f16_e32 vcc, v6, v6
	v_cndmask_b32_e32 v2, v2, v8, vcc
	global_store_short v[0:1], v3, off
	global_store_short v[0:1], v4, off offset:64
	global_store_short v[0:1], v2, off offset:128
	;; [unrolled: 1-line block ×3, first 2 shown]
	s_endpgm
	.section	.rodata,"a",@progbits
	.p2align	6, 0x0
	.amdhsa_kernel _ZL21dequantize_block_q2_KIN3c108BFloat16EEvPKvPT_
		.amdhsa_group_segment_fixed_size 0
		.amdhsa_private_segment_fixed_size 0
		.amdhsa_kernarg_size 16
		.amdhsa_user_sgpr_count 6
		.amdhsa_user_sgpr_private_segment_buffer 1
		.amdhsa_user_sgpr_dispatch_ptr 0
		.amdhsa_user_sgpr_queue_ptr 0
		.amdhsa_user_sgpr_kernarg_segment_ptr 1
		.amdhsa_user_sgpr_dispatch_id 0
		.amdhsa_user_sgpr_flat_scratch_init 0
		.amdhsa_user_sgpr_private_segment_size 0
		.amdhsa_uses_dynamic_stack 0
		.amdhsa_system_sgpr_private_segment_wavefront_offset 0
		.amdhsa_system_sgpr_workgroup_id_x 1
		.amdhsa_system_sgpr_workgroup_id_y 0
		.amdhsa_system_sgpr_workgroup_id_z 0
		.amdhsa_system_sgpr_workgroup_info 0
		.amdhsa_system_vgpr_workitem_id 0
		.amdhsa_next_free_vgpr 15
		.amdhsa_next_free_sgpr 7
		.amdhsa_reserve_vcc 1
		.amdhsa_reserve_flat_scratch 0
		.amdhsa_float_round_mode_32 0
		.amdhsa_float_round_mode_16_64 0
		.amdhsa_float_denorm_mode_32 3
		.amdhsa_float_denorm_mode_16_64 3
		.amdhsa_dx10_clamp 1
		.amdhsa_ieee_mode 1
		.amdhsa_fp16_overflow 0
		.amdhsa_exception_fp_ieee_invalid_op 0
		.amdhsa_exception_fp_denorm_src 0
		.amdhsa_exception_fp_ieee_div_zero 0
		.amdhsa_exception_fp_ieee_overflow 0
		.amdhsa_exception_fp_ieee_underflow 0
		.amdhsa_exception_fp_ieee_inexact 0
		.amdhsa_exception_int_div_zero 0
	.end_amdhsa_kernel
	.section	.text._ZL21dequantize_block_q2_KIN3c108BFloat16EEvPKvPT_,"axG",@progbits,_ZL21dequantize_block_q2_KIN3c108BFloat16EEvPKvPT_,comdat
.Lfunc_end43:
	.size	_ZL21dequantize_block_q2_KIN3c108BFloat16EEvPKvPT_, .Lfunc_end43-_ZL21dequantize_block_q2_KIN3c108BFloat16EEvPKvPT_
                                        ; -- End function
	.set _ZL21dequantize_block_q2_KIN3c108BFloat16EEvPKvPT_.num_vgpr, 15
	.set _ZL21dequantize_block_q2_KIN3c108BFloat16EEvPKvPT_.num_agpr, 0
	.set _ZL21dequantize_block_q2_KIN3c108BFloat16EEvPKvPT_.numbered_sgpr, 7
	.set _ZL21dequantize_block_q2_KIN3c108BFloat16EEvPKvPT_.num_named_barrier, 0
	.set _ZL21dequantize_block_q2_KIN3c108BFloat16EEvPKvPT_.private_seg_size, 0
	.set _ZL21dequantize_block_q2_KIN3c108BFloat16EEvPKvPT_.uses_vcc, 1
	.set _ZL21dequantize_block_q2_KIN3c108BFloat16EEvPKvPT_.uses_flat_scratch, 0
	.set _ZL21dequantize_block_q2_KIN3c108BFloat16EEvPKvPT_.has_dyn_sized_stack, 0
	.set _ZL21dequantize_block_q2_KIN3c108BFloat16EEvPKvPT_.has_recursion, 0
	.set _ZL21dequantize_block_q2_KIN3c108BFloat16EEvPKvPT_.has_indirect_call, 0
	.section	.AMDGPU.csdata,"",@progbits
; Kernel info:
; codeLenInByte = 544
; TotalNumSgprs: 11
; NumVgprs: 15
; ScratchSize: 0
; MemoryBound: 0
; FloatMode: 240
; IeeeMode: 1
; LDSByteSize: 0 bytes/workgroup (compile time only)
; SGPRBlocks: 1
; VGPRBlocks: 3
; NumSGPRsForWavesPerEU: 11
; NumVGPRsForWavesPerEU: 15
; Occupancy: 10
; WaveLimiterHint : 0
; COMPUTE_PGM_RSRC2:SCRATCH_EN: 0
; COMPUTE_PGM_RSRC2:USER_SGPR: 6
; COMPUTE_PGM_RSRC2:TRAP_HANDLER: 0
; COMPUTE_PGM_RSRC2:TGID_X_EN: 1
; COMPUTE_PGM_RSRC2:TGID_Y_EN: 0
; COMPUTE_PGM_RSRC2:TGID_Z_EN: 0
; COMPUTE_PGM_RSRC2:TIDIG_COMP_CNT: 0
	.section	.text._ZL21dequantize_block_q3_KIN3c108BFloat16EEvPKvPT_,"axG",@progbits,_ZL21dequantize_block_q3_KIN3c108BFloat16EEvPKvPT_,comdat
	.globl	_ZL21dequantize_block_q3_KIN3c108BFloat16EEvPKvPT_ ; -- Begin function _ZL21dequantize_block_q3_KIN3c108BFloat16EEvPKvPT_
	.p2align	8
	.type	_ZL21dequantize_block_q3_KIN3c108BFloat16EEvPKvPT_,@function
_ZL21dequantize_block_q3_KIN3c108BFloat16EEvPKvPT_: ; @_ZL21dequantize_block_q3_KIN3c108BFloat16EEvPKvPT_
; %bb.0:
	v_lshrrev_b32_e32 v4, 5, v0
	v_lshrrev_b32_e32 v6, 3, v0
	v_lshlrev_b32_e32 v1, 2, v4
	s_load_dwordx4 s[8:11], s[4:5], 0x0
	v_sub_u32_e32 v5, v6, v1
	v_lshlrev_b32_e32 v3, 1, v5
	v_bfe_u32 v7, v0, 2, 1
	v_lshl_add_u32 v11, v4, 3, v3
	v_or_b32_e32 v10, v11, v7
	v_cmp_lt_i32_e32 vcc, 3, v10
	s_mov_b32 s7, 0
	v_mov_b32_e32 v1, s6
	v_mov_b32_e32 v2, s7
                                        ; implicit-def: $vgpr8
                                        ; implicit-def: $vgpr9
	s_and_saveexec_b64 s[0:1], vcc
	s_xor_b64 s[2:3], exec, s[0:1]
	s_cbranch_execz .LBB44_10
; %bb.1:
	v_cmp_lt_u32_e32 vcc, 7, v11
	v_mov_b32_e32 v1, s6
	v_mov_b32_e32 v2, s7
                                        ; implicit-def: $vgpr8
                                        ; implicit-def: $vgpr9
	s_and_saveexec_b64 s[0:1], vcc
	s_xor_b64 s[4:5], exec, s[0:1]
	s_cbranch_execz .LBB44_7
; %bb.2:
	s_mul_i32 s0, s6, 0x6e
	s_mul_hi_u32 s1, s6, 0x6e
	s_waitcnt lgkmcnt(0)
	s_add_u32 s0, s8, s0
	s_addc_u32 s1, s9, s1
	global_load_ubyte v8, v10, s[0:1] offset:88
	v_mov_b32_e32 v2, s1
	v_add_co_u32_e64 v1, s[0:1], s0, v10
	v_cmp_lt_u32_e32 vcc, 11, v11
	v_addc_co_u32_e64 v2, s[0:1], 0, v2, s[0:1]
                                        ; implicit-def: $vgpr9
	s_and_saveexec_b64 s[0:1], vcc
	s_xor_b64 s[0:1], exec, s[0:1]
	s_cbranch_execz .LBB44_4
; %bb.3:
	global_load_ubyte v1, v[1:2], off offset:92
	s_waitcnt vmcnt(0)
	v_lshrrev_b16_e32 v9, 2, v1
                                        ; implicit-def: $vgpr1_vgpr2
.LBB44_4:
	s_andn2_saveexec_b64 s[0:1], s[0:1]
	s_cbranch_execz .LBB44_6
; %bb.5:
	global_load_ubyte v9, v[1:2], off offset:96
.LBB44_6:
	s_or_b64 exec, exec, s[0:1]
	v_mov_b32_e32 v1, s6
	s_waitcnt vmcnt(0)
	v_lshrrev_b16_e32 v8, 4, v8
	v_mov_b32_e32 v2, s7
                                        ; implicit-def: $vgpr10
.LBB44_7:
	s_andn2_saveexec_b64 s[0:1], s[4:5]
	s_cbranch_execz .LBB44_9
; %bb.8:
	s_mul_i32 s4, s6, 0x6e
	s_mul_hi_u32 s5, s6, 0x6e
	s_waitcnt lgkmcnt(0)
	s_add_u32 s4, s8, s4
	s_addc_u32 s5, s9, s5
	global_load_ubyte v2, v10, s[4:5] offset:96
	global_load_ubyte v9, v10, s[4:5] offset:100
	s_waitcnt vmcnt(1)
	v_and_b32_e32 v8, 15, v2
	s_waitcnt vmcnt(0)
	v_lshlrev_b16_e32 v9, 2, v9
.LBB44_9:
	s_or_b64 exec, exec, s[0:1]
                                        ; implicit-def: $vgpr10
.LBB44_10:
	s_andn2_saveexec_b64 s[0:1], s[2:3]
	s_cbranch_execz .LBB44_12
; %bb.11:
	s_mul_i32 s3, s6, 0x6e
	s_mul_hi_u32 s2, s6, 0x6e
	s_waitcnt lgkmcnt(0)
	s_add_u32 s3, s8, s3
	s_addc_u32 s2, s9, s2
	v_ashrrev_i32_e32 v2, 31, v10
	v_mov_b32_e32 v9, s2
	v_add_co_u32_e32 v8, vcc, s3, v10
	v_addc_co_u32_e32 v9, vcc, v9, v2, vcc
	global_load_ubyte v2, v[8:9], off offset:96
	global_load_ubyte v10, v[8:9], off offset:104
	s_waitcnt vmcnt(1)
	v_and_b32_e32 v8, 15, v2
	s_waitcnt vmcnt(0)
	v_lshlrev_b16_e32 v9, 4, v10
.LBB44_12:
	s_or_b64 exec, exec, s[0:1]
	s_waitcnt lgkmcnt(0)
	v_mov_b32_e32 v11, s9
	v_lshlrev_b32_e32 v2, 2, v0
	s_movk_i32 s0, 0x6e
	v_mov_b32_e32 v10, s8
	v_and_b32_e32 v12, 12, v2
	v_mad_u64_u32 v[1:2], s[0:1], v1, s0, v[10:11]
	v_and_b32_e32 v0, 0x3e0, v0
	v_lshl_or_b32 v7, v7, 4, v12
	v_add_co_u32_e32 v0, vcc, v1, v0
	v_addc_co_u32_e32 v11, vcc, 0, v2, vcc
	v_add_co_u32_e32 v10, vcc, v0, v7
	v_addc_co_u32_e32 v11, vcc, 0, v11, vcc
	global_load_dword v12, v[10:11], off offset:32
	v_add_co_u32_e32 v10, vcc, v1, v7
	v_addc_co_u32_e32 v11, vcc, 0, v2, vcc
	global_load_dword v13, v[10:11], off
	global_load_ushort v14, v[1:2], off offset:108
	s_lshl_b32 s0, s6, 8
	s_mov_b32 s1, 0
	s_lshl_b64 s[0:1], s[0:1], 1
	v_and_b32_e32 v1, 48, v9
	v_lshlrev_b32_e32 v0, 5, v5
	s_add_u32 s0, s10, s0
	v_lshlrev_b32_e64 v2, v6, 1
	v_mov_b32_e32 v6, 32
	v_lshlrev_b32_e32 v4, 8, v4
	v_or_b32_e32 v8, v1, v8
	v_ashrrev_i32_e32 v1, 31, v0
	s_addc_u32 s1, s11, s1
	v_sub_u32_sdwa v6, v8, v6 dst_sel:DWORD dst_unused:UNUSED_PAD src0_sel:BYTE_0 src1_sel:DWORD
	v_lshlrev_b64 v[0:1], 1, v[0:1]
	v_mov_b32_e32 v8, s1
	v_add_co_u32_e32 v4, vcc, s0, v4
	v_cvt_f32_i32_e32 v6, v6
	v_addc_co_u32_e32 v8, vcc, 0, v8, vcc
	v_add_co_u32_e32 v0, vcc, v4, v0
	v_addc_co_u32_e32 v1, vcc, v8, v1, vcc
	v_cvt_f16_f32_e32 v4, v6
	v_mov_b32_e32 v5, 1
	v_lshlrev_b32_e32 v7, 1, v7
	s_movk_i32 s2, 0x7fff
	v_mov_b32_e32 v9, 0x7fc0
	s_mov_b32 s0, 0x5040100
	s_waitcnt vmcnt(2)
	v_lshrrev_b32_sdwa v6, v3, v12 dst_sel:DWORD dst_unused:UNUSED_PAD src0_sel:DWORD src1_sel:BYTE_1
	v_lshrrev_b32_sdwa v8, v3, v12 dst_sel:DWORD dst_unused:UNUSED_PAD src0_sel:DWORD src1_sel:BYTE_0
	v_lshrrev_b32_sdwa v15, v3, v12 dst_sel:DWORD dst_unused:UNUSED_PAD src0_sel:DWORD src1_sel:BYTE_3
	v_lshrrev_b32_sdwa v3, v3, v12 dst_sel:DWORD dst_unused:UNUSED_PAD src0_sel:DWORD src1_sel:BYTE_2
	s_waitcnt vmcnt(1)
	v_and_b32_sdwa v10, v2, v13 dst_sel:DWORD dst_unused:UNUSED_PAD src0_sel:DWORD src1_sel:BYTE_1
	v_and_b32_sdwa v11, v2, v13 dst_sel:DWORD dst_unused:UNUSED_PAD src0_sel:DWORD src1_sel:BYTE_0
	v_cmp_eq_u32_e32 vcc, 0, v10
	v_and_b32_sdwa v12, v2, v13 dst_sel:DWORD dst_unused:UNUSED_PAD src0_sel:DWORD src1_sel:BYTE_3
	v_cndmask_b32_e64 v10, 0, -4, vcc
	v_cmp_eq_u32_e32 vcc, 0, v11
	v_and_b32_sdwa v2, v2, v13 dst_sel:DWORD dst_unused:UNUSED_PAD src0_sel:DWORD src1_sel:BYTE_2
	v_cndmask_b32_e64 v11, 0, -4, vcc
	v_cmp_eq_u32_e32 vcc, 0, v12
	v_and_b32_e32 v6, 3, v6
	v_and_b32_e32 v8, 3, v8
	v_cndmask_b32_e64 v12, 0, -4, vcc
	v_cmp_eq_u32_e32 vcc, 0, v2
	v_and_b32_e32 v3, 3, v3
	v_cndmask_b32_e64 v2, 0, -4, vcc
	v_or_b32_e32 v6, v10, v6
	v_or_b32_e32 v8, v11, v8
	v_and_b32_e32 v13, 3, v15
	v_or_b32_e32 v2, v2, v3
	v_cvt_f32_i32_e32 v3, v6
	v_cvt_f32_i32_e32 v6, v8
	v_or_b32_e32 v10, v12, v13
	v_cvt_f32_i32_e32 v8, v10
	v_cvt_f32_i32_e32 v2, v2
	v_cvt_f16_f32_e32 v3, v3
	v_cvt_f16_f32_e32 v6, v6
	;; [unrolled: 1-line block ×4, first 2 shown]
	s_waitcnt vmcnt(0)
	v_mul_f16_e32 v4, v14, v4
	v_pack_b32_f16 v3, v6, v3
	v_pk_mul_f16 v3, v4, v3 op_sel_hi:[0,1]
	v_pack_b32_f16 v2, v2, v8
	v_cvt_f32_f16_e32 v6, v3
	v_pk_mul_f16 v2, v4, v2 op_sel_hi:[0,1]
	v_cvt_f32_f16_sdwa v4, v3 dst_sel:DWORD dst_unused:UNUSED_PAD src0_sel:WORD_1
	v_cvt_f32_f16_e32 v8, v2
	v_add_co_u32_e32 v0, vcc, v0, v7
	v_cvt_f32_f16_sdwa v7, v2 dst_sel:DWORD dst_unused:UNUSED_PAD src0_sel:WORD_1
	v_and_b32_sdwa v11, v6, v5 dst_sel:DWORD dst_unused:UNUSED_PAD src0_sel:WORD_1 src1_sel:DWORD
	v_addc_co_u32_e32 v1, vcc, 0, v1, vcc
	v_and_b32_sdwa v10, v4, v5 dst_sel:DWORD dst_unused:UNUSED_PAD src0_sel:WORD_1 src1_sel:DWORD
	v_add3_u32 v6, v6, v11, s2
	v_add3_u32 v4, v4, v10, s2
	v_lshrrev_b32_e32 v6, 16, v6
	v_cmp_o_f16_e32 vcc, v3, v3
	v_lshrrev_b32_e32 v4, 16, v4
	v_cndmask_b32_e32 v6, v9, v6, vcc
	v_cmp_o_f16_sdwa vcc, v3, v3 src0_sel:WORD_1 src1_sel:WORD_1
	v_and_b32_sdwa v3, v8, v5 dst_sel:DWORD dst_unused:UNUSED_PAD src0_sel:WORD_1 src1_sel:DWORD
	v_and_b32_sdwa v12, v7, v5 dst_sel:DWORD dst_unused:UNUSED_PAD src0_sel:WORD_1 src1_sel:DWORD
	v_cndmask_b32_e32 v4, v9, v4, vcc
	v_add3_u32 v3, v8, v3, s2
	v_cmp_o_f16_e32 vcc, v2, v2
	v_add3_u32 v5, v7, v12, s2
	v_cndmask_b32_sdwa v3, v9, v3, vcc dst_sel:DWORD dst_unused:UNUSED_PAD src0_sel:DWORD src1_sel:WORD_1
	v_cmp_o_f16_sdwa vcc, v2, v2 src0_sel:WORD_1 src1_sel:WORD_1
	v_cndmask_b32_sdwa v2, v9, v5, vcc dst_sel:DWORD dst_unused:UNUSED_PAD src0_sel:DWORD src1_sel:WORD_1
	v_perm_b32 v3, v2, v3, s0
	v_perm_b32 v2, v4, v6, s0
	global_store_dwordx2 v[0:1], v[2:3], off
	s_endpgm
	.section	.rodata,"a",@progbits
	.p2align	6, 0x0
	.amdhsa_kernel _ZL21dequantize_block_q3_KIN3c108BFloat16EEvPKvPT_
		.amdhsa_group_segment_fixed_size 0
		.amdhsa_private_segment_fixed_size 0
		.amdhsa_kernarg_size 16
		.amdhsa_user_sgpr_count 6
		.amdhsa_user_sgpr_private_segment_buffer 1
		.amdhsa_user_sgpr_dispatch_ptr 0
		.amdhsa_user_sgpr_queue_ptr 0
		.amdhsa_user_sgpr_kernarg_segment_ptr 1
		.amdhsa_user_sgpr_dispatch_id 0
		.amdhsa_user_sgpr_flat_scratch_init 0
		.amdhsa_user_sgpr_private_segment_size 0
		.amdhsa_uses_dynamic_stack 0
		.amdhsa_system_sgpr_private_segment_wavefront_offset 0
		.amdhsa_system_sgpr_workgroup_id_x 1
		.amdhsa_system_sgpr_workgroup_id_y 0
		.amdhsa_system_sgpr_workgroup_id_z 0
		.amdhsa_system_sgpr_workgroup_info 0
		.amdhsa_system_vgpr_workitem_id 0
		.amdhsa_next_free_vgpr 16
		.amdhsa_next_free_sgpr 12
		.amdhsa_reserve_vcc 1
		.amdhsa_reserve_flat_scratch 0
		.amdhsa_float_round_mode_32 0
		.amdhsa_float_round_mode_16_64 0
		.amdhsa_float_denorm_mode_32 3
		.amdhsa_float_denorm_mode_16_64 3
		.amdhsa_dx10_clamp 1
		.amdhsa_ieee_mode 1
		.amdhsa_fp16_overflow 0
		.amdhsa_exception_fp_ieee_invalid_op 0
		.amdhsa_exception_fp_denorm_src 0
		.amdhsa_exception_fp_ieee_div_zero 0
		.amdhsa_exception_fp_ieee_overflow 0
		.amdhsa_exception_fp_ieee_underflow 0
		.amdhsa_exception_fp_ieee_inexact 0
		.amdhsa_exception_int_div_zero 0
	.end_amdhsa_kernel
	.section	.text._ZL21dequantize_block_q3_KIN3c108BFloat16EEvPKvPT_,"axG",@progbits,_ZL21dequantize_block_q3_KIN3c108BFloat16EEvPKvPT_,comdat
.Lfunc_end44:
	.size	_ZL21dequantize_block_q3_KIN3c108BFloat16EEvPKvPT_, .Lfunc_end44-_ZL21dequantize_block_q3_KIN3c108BFloat16EEvPKvPT_
                                        ; -- End function
	.set _ZL21dequantize_block_q3_KIN3c108BFloat16EEvPKvPT_.num_vgpr, 16
	.set _ZL21dequantize_block_q3_KIN3c108BFloat16EEvPKvPT_.num_agpr, 0
	.set _ZL21dequantize_block_q3_KIN3c108BFloat16EEvPKvPT_.numbered_sgpr, 12
	.set _ZL21dequantize_block_q3_KIN3c108BFloat16EEvPKvPT_.num_named_barrier, 0
	.set _ZL21dequantize_block_q3_KIN3c108BFloat16EEvPKvPT_.private_seg_size, 0
	.set _ZL21dequantize_block_q3_KIN3c108BFloat16EEvPKvPT_.uses_vcc, 1
	.set _ZL21dequantize_block_q3_KIN3c108BFloat16EEvPKvPT_.uses_flat_scratch, 0
	.set _ZL21dequantize_block_q3_KIN3c108BFloat16EEvPKvPT_.has_dyn_sized_stack, 0
	.set _ZL21dequantize_block_q3_KIN3c108BFloat16EEvPKvPT_.has_recursion, 0
	.set _ZL21dequantize_block_q3_KIN3c108BFloat16EEvPKvPT_.has_indirect_call, 0
	.section	.AMDGPU.csdata,"",@progbits
; Kernel info:
; codeLenInByte = 1008
; TotalNumSgprs: 16
; NumVgprs: 16
; ScratchSize: 0
; MemoryBound: 0
; FloatMode: 240
; IeeeMode: 1
; LDSByteSize: 0 bytes/workgroup (compile time only)
; SGPRBlocks: 1
; VGPRBlocks: 3
; NumSGPRsForWavesPerEU: 16
; NumVGPRsForWavesPerEU: 16
; Occupancy: 10
; WaveLimiterHint : 0
; COMPUTE_PGM_RSRC2:SCRATCH_EN: 0
; COMPUTE_PGM_RSRC2:USER_SGPR: 6
; COMPUTE_PGM_RSRC2:TRAP_HANDLER: 0
; COMPUTE_PGM_RSRC2:TGID_X_EN: 1
; COMPUTE_PGM_RSRC2:TGID_Y_EN: 0
; COMPUTE_PGM_RSRC2:TGID_Z_EN: 0
; COMPUTE_PGM_RSRC2:TIDIG_COMP_CNT: 0
	.section	.text._ZL21dequantize_block_q4_KIN3c108BFloat16EEvPKvPT_,"axG",@progbits,_ZL21dequantize_block_q4_KIN3c108BFloat16EEvPKvPT_,comdat
	.globl	_ZL21dequantize_block_q4_KIN3c108BFloat16EEvPKvPT_ ; -- Begin function _ZL21dequantize_block_q4_KIN3c108BFloat16EEvPKvPT_
	.p2align	8
	.type	_ZL21dequantize_block_q4_KIN3c108BFloat16EEvPKvPT_,@function
_ZL21dequantize_block_q4_KIN3c108BFloat16EEvPKvPT_: ; @_ZL21dequantize_block_q4_KIN3c108BFloat16EEvPKvPT_
; %bb.0:
	s_load_dwordx2 s[0:1], s[4:5], 0x0
	s_mul_i32 s2, s6, 0x90
	v_lshrrev_b32_e32 v3, 3, v0
	s_mul_hi_u32 s3, s6, 0x90
	v_lshlrev_b32_e32 v1, 1, v3
	s_waitcnt lgkmcnt(0)
	s_add_u32 s2, s0, s2
	s_addc_u32 s3, s1, s3
	v_mov_b32_e32 v2, s3
	v_add_co_u32_e64 v1, s[0:1], s2, v1
	v_cmp_lt_u32_e32 vcc, 15, v0
	v_addc_co_u32_e64 v2, s[0:1], 0, v2, s[0:1]
                                        ; implicit-def: $vgpr5
                                        ; implicit-def: $vgpr4
	s_and_saveexec_b64 s[0:1], vcc
	s_xor_b64 s[0:1], exec, s[0:1]
	s_cbranch_execz .LBB45_2
; %bb.1:
	global_load_ubyte v4, v[1:2], off offset:8
	global_load_ubyte v5, v[1:2], off
	global_load_ubyte v6, v[1:2], off offset:4
	s_waitcnt vmcnt(2)
	v_and_b32_e32 v7, 15, v4
	s_waitcnt vmcnt(1)
	v_lshrrev_b16_e32 v5, 2, v5
	v_lshrrev_b16_e32 v8, 4, v4
	s_waitcnt vmcnt(0)
	v_lshrrev_b16_e32 v4, 2, v6
	v_and_b32_e32 v5, 48, v5
	v_and_b32_e32 v6, 48, v4
	v_or_b32_e32 v4, v5, v7
	v_or_b32_e32 v5, v6, v8
.LBB45_2:
	s_andn2_saveexec_b64 s[0:1], s[0:1]
	s_cbranch_execz .LBB45_4
; %bb.3:
	global_load_ubyte v4, v[1:2], off offset:4
	global_load_ubyte v5, v[1:2], off offset:8
	s_waitcnt vmcnt(1)
	v_and_b32_e32 v4, 63, v4
	s_waitcnt vmcnt(0)
	v_and_b32_e32 v5, 63, v5
.LBB45_4:
	s_or_b64 exec, exec, s[0:1]
	s_load_dwordx2 s[0:1], s[4:5], 0x8
	s_load_dword s7, s[2:3], 0x0
                                        ; implicit-def: $vgpr7
                                        ; implicit-def: $vgpr6
	s_and_saveexec_b64 s[4:5], vcc
	s_xor_b64 s[4:5], exec, s[4:5]
	s_cbranch_execz .LBB45_6
; %bb.5:
	global_load_ubyte v6, v[1:2], off offset:9
	global_load_ubyte v7, v[1:2], off offset:1
	;; [unrolled: 1-line block ×3, first 2 shown]
	s_waitcnt vmcnt(2)
	v_and_b32_e32 v1, 15, v6
	s_waitcnt vmcnt(1)
	v_lshrrev_b16_e32 v2, 2, v7
	v_lshrrev_b16_e32 v7, 4, v6
	s_waitcnt vmcnt(0)
	v_lshrrev_b16_e32 v6, 2, v8
	v_and_b32_e32 v2, 48, v2
	v_and_b32_e32 v8, 48, v6
	v_or_b32_e32 v6, v2, v1
	v_or_b32_e32 v7, v8, v7
                                        ; implicit-def: $vgpr1_vgpr2
.LBB45_6:
	s_andn2_saveexec_b64 s[4:5], s[4:5]
	s_cbranch_execz .LBB45_8
; %bb.7:
	global_load_ubyte v6, v[1:2], off offset:5
	global_load_ubyte v7, v[1:2], off offset:9
	s_waitcnt vmcnt(1)
	v_and_b32_e32 v6, 63, v6
	s_waitcnt vmcnt(0)
	v_and_b32_e32 v7, 63, v7
.LBB45_8:
	s_or_b64 exec, exec, s[4:5]
	v_lshlrev_b32_e32 v1, 5, v3
	v_mov_b32_e32 v2, s3
	v_add_co_u32_e32 v1, vcc, s2, v1
	v_lshlrev_b32_e32 v0, 2, v0
	v_addc_co_u32_e32 v2, vcc, 0, v2, vcc
	v_and_b32_e32 v8, 28, v0
	v_add_co_u32_e32 v0, vcc, v1, v8
	v_addc_co_u32_e32 v1, vcc, 0, v2, vcc
	global_load_dword v0, v[0:1], off offset:16
	s_mov_b32 s3, 0
	s_lshl_b32 s2, s6, 8
	s_waitcnt lgkmcnt(0)
	s_lshr_b32 s4, s7, 16
	s_lshl_b64 s[2:3], s[2:3], 1
	s_add_u32 s0, s0, s2
	v_cvt_f16_u16_sdwa v2, v4 dst_sel:DWORD dst_unused:UNUSED_PAD src0_sel:BYTE_0
	v_lshlrev_b32_e32 v3, 7, v3
	s_addc_u32 s1, s1, s3
	v_cvt_f16_u16_sdwa v1, v5 dst_sel:DWORD dst_unused:UNUSED_PAD src0_sel:BYTE_0
	v_mul_f16_e32 v11, s7, v2
	v_mov_b32_e32 v2, s1
	v_add_co_u32_e32 v3, vcc, s0, v3
	v_mov_b32_e32 v9, 15
	v_mul_f16_e32 v10, s4, v1
	v_lshlrev_b32_e32 v1, 1, v8
	v_addc_co_u32_e32 v2, vcc, 0, v2, vcc
	v_cvt_f16_u16_sdwa v4, v6 dst_sel:DWORD dst_unused:UNUSED_PAD src0_sel:BYTE_0
	v_add_co_u32_e32 v1, vcc, v3, v1
	v_mul_f16_e32 v12, s7, v4
	v_cvt_f16_u16_sdwa v5, v7 dst_sel:DWORD dst_unused:UNUSED_PAD src0_sel:BYTE_0
	v_mul_f16_e32 v5, s4, v5
	v_mov_b32_e32 v6, 1
	s_movk_i32 s5, 0x7fff
	v_addc_co_u32_e32 v2, vcc, 0, v2, vcc
	v_mov_b32_e32 v7, 0x7fc0
	s_mov_b32 s0, 0x5040100
	s_waitcnt vmcnt(0)
	v_lshrrev_b32_e32 v3, 8, v0
	v_and_b32_sdwa v13, v0, v9 dst_sel:DWORD dst_unused:UNUSED_PAD src0_sel:WORD_1 src1_sel:DWORD
	v_and_b32_sdwa v9, v0, v9 dst_sel:DWORD dst_unused:UNUSED_PAD src0_sel:BYTE_3 src1_sel:DWORD
	v_and_b32_e32 v4, 15, v0
	v_and_b32_e32 v14, 15, v3
	v_cvt_f16_u16_e32 v9, v9
	v_cvt_f16_u16_e32 v13, v13
	v_lshrrev_b16_e32 v8, 4, v0
	v_cvt_f16_u16_e32 v4, v4
	v_lshrrev_b16_e32 v3, 4, v3
	v_cvt_f16_u16_e32 v14, v14
	v_pack_b32_f16 v9, v13, v9
	v_and_b32_e32 v8, 15, v8
	v_and_b32_e32 v3, 15, v3
	v_pack_b32_f16 v4, v4, v14
	v_pk_fma_f16 v9, v11, v9, v10 op_sel_hi:[0,1,0] neg_lo:[0,0,1] neg_hi:[0,0,1]
	v_cvt_f16_u16_e32 v8, v8
	v_cvt_f16_u16_e32 v3, v3
	v_pk_fma_f16 v4, v11, v4, v10 op_sel_hi:[0,1,0] neg_lo:[0,0,1] neg_hi:[0,0,1]
	v_cvt_f32_f16_e32 v10, v9
	v_pack_b32_f16 v3, v8, v3
	v_cvt_f32_f16_e32 v13, v4
	v_cvt_f32_f16_sdwa v11, v4 dst_sel:DWORD dst_unused:UNUSED_PAD src0_sel:WORD_1
	v_pk_fma_f16 v3, v12, v3, v5 op_sel_hi:[0,1,0] neg_lo:[0,0,1] neg_hi:[0,0,1]
	v_cvt_f32_f16_sdwa v8, v9 dst_sel:DWORD dst_unused:UNUSED_PAD src0_sel:WORD_1
	v_cvt_f32_f16_e32 v15, v3
	v_cvt_f32_f16_sdwa v14, v3 dst_sel:DWORD dst_unused:UNUSED_PAD src0_sel:WORD_1
	v_and_b32_sdwa v17, v10, v6 dst_sel:DWORD dst_unused:UNUSED_PAD src0_sel:WORD_1 src1_sel:DWORD
	v_and_b32_sdwa v19, v13, v6 dst_sel:DWORD dst_unused:UNUSED_PAD src0_sel:WORD_1 src1_sel:DWORD
	v_add3_u32 v10, v10, v17, s5
	v_and_b32_sdwa v18, v11, v6 dst_sel:DWORD dst_unused:UNUSED_PAD src0_sel:WORD_1 src1_sel:DWORD
	v_add3_u32 v13, v13, v19, s5
	v_lshrrev_b32_e32 v10, 16, v10
	v_cmp_o_f16_e32 vcc, v9, v9
	v_and_b32_sdwa v16, v8, v6 dst_sel:DWORD dst_unused:UNUSED_PAD src0_sel:WORD_1 src1_sel:DWORD
	v_add3_u32 v11, v11, v18, s5
	v_and_b32_sdwa v17, v15, v6 dst_sel:DWORD dst_unused:UNUSED_PAD src0_sel:WORD_1 src1_sel:DWORD
	v_lshrrev_b32_e32 v13, 16, v13
	v_cndmask_b32_e32 v10, v7, v10, vcc
	v_cmp_o_f16_e32 vcc, v4, v4
	v_add3_u32 v8, v8, v16, s5
	v_and_b32_sdwa v16, v14, v6 dst_sel:DWORD dst_unused:UNUSED_PAD src0_sel:WORD_1 src1_sel:DWORD
	v_lshrrev_b32_e32 v11, 16, v11
	v_add3_u32 v15, v15, v17, s5
	v_cndmask_b32_e32 v13, v7, v13, vcc
	v_cmp_o_f16_sdwa vcc, v4, v4 src0_sel:WORD_1 src1_sel:WORD_1
	v_add3_u32 v14, v14, v16, s5
	v_cndmask_b32_e32 v11, v7, v11, vcc
	v_lshrrev_b32_e32 v4, 16, v15
	v_cmp_o_f16_e32 vcc, v3, v3
	v_lshrrev_b32_e32 v14, 16, v14
	v_cndmask_b32_e32 v15, v7, v4, vcc
	v_cmp_o_f16_sdwa vcc, v3, v3 src0_sel:WORD_1 src1_sel:WORD_1
	v_lshrrev_b32_e32 v8, 16, v8
	v_cndmask_b32_e32 v14, v7, v14, vcc
	v_cmp_o_f16_sdwa vcc, v9, v9 src0_sel:WORD_1 src1_sel:WORD_1
	v_cndmask_b32_e32 v3, v7, v8, vcc
	v_perm_b32 v4, v3, v10, s0
	v_lshrrev_b32_e32 v3, 20, v0
	v_mov_b32_e32 v8, 4
	v_and_b32_e32 v3, 15, v3
	v_lshrrev_b16_sdwa v0, v8, v0 dst_sel:DWORD dst_unused:UNUSED_PAD src0_sel:DWORD src1_sel:BYTE_3
	v_cvt_f16_u16_e32 v0, v0
	v_cvt_f16_u16_e32 v3, v3
	v_pack_b32_f16 v0, v3, v0
	v_pk_fma_f16 v0, v12, v0, v5 op_sel_hi:[0,1,0] neg_lo:[0,0,1] neg_hi:[0,0,1]
	v_cvt_f32_f16_e32 v8, v0
	v_cvt_f32_f16_sdwa v5, v0 dst_sel:DWORD dst_unused:UNUSED_PAD src0_sel:WORD_1
	v_perm_b32 v3, v11, v13, s0
	global_store_dwordx2 v[1:2], v[3:4], off
	v_and_b32_sdwa v4, v8, v6 dst_sel:DWORD dst_unused:UNUSED_PAD src0_sel:WORD_1 src1_sel:DWORD
	v_and_b32_sdwa v3, v5, v6 dst_sel:DWORD dst_unused:UNUSED_PAD src0_sel:WORD_1 src1_sel:DWORD
	v_add3_u32 v4, v8, v4, s5
	v_cmp_o_f16_e32 vcc, v0, v0
	v_add3_u32 v3, v5, v3, s5
	v_cndmask_b32_sdwa v4, v7, v4, vcc dst_sel:DWORD dst_unused:UNUSED_PAD src0_sel:DWORD src1_sel:WORD_1
	v_cmp_o_f16_sdwa vcc, v0, v0 src0_sel:WORD_1 src1_sel:WORD_1
	v_cndmask_b32_sdwa v0, v7, v3, vcc dst_sel:DWORD dst_unused:UNUSED_PAD src0_sel:DWORD src1_sel:WORD_1
	v_perm_b32 v4, v0, v4, s0
	v_perm_b32 v3, v14, v15, s0
	global_store_dwordx2 v[1:2], v[3:4], off offset:64
	s_endpgm
	.section	.rodata,"a",@progbits
	.p2align	6, 0x0
	.amdhsa_kernel _ZL21dequantize_block_q4_KIN3c108BFloat16EEvPKvPT_
		.amdhsa_group_segment_fixed_size 0
		.amdhsa_private_segment_fixed_size 0
		.amdhsa_kernarg_size 16
		.amdhsa_user_sgpr_count 6
		.amdhsa_user_sgpr_private_segment_buffer 1
		.amdhsa_user_sgpr_dispatch_ptr 0
		.amdhsa_user_sgpr_queue_ptr 0
		.amdhsa_user_sgpr_kernarg_segment_ptr 1
		.amdhsa_user_sgpr_dispatch_id 0
		.amdhsa_user_sgpr_flat_scratch_init 0
		.amdhsa_user_sgpr_private_segment_size 0
		.amdhsa_uses_dynamic_stack 0
		.amdhsa_system_sgpr_private_segment_wavefront_offset 0
		.amdhsa_system_sgpr_workgroup_id_x 1
		.amdhsa_system_sgpr_workgroup_id_y 0
		.amdhsa_system_sgpr_workgroup_id_z 0
		.amdhsa_system_sgpr_workgroup_info 0
		.amdhsa_system_vgpr_workitem_id 0
		.amdhsa_next_free_vgpr 20
		.amdhsa_next_free_sgpr 8
		.amdhsa_reserve_vcc 1
		.amdhsa_reserve_flat_scratch 0
		.amdhsa_float_round_mode_32 0
		.amdhsa_float_round_mode_16_64 0
		.amdhsa_float_denorm_mode_32 3
		.amdhsa_float_denorm_mode_16_64 3
		.amdhsa_dx10_clamp 1
		.amdhsa_ieee_mode 1
		.amdhsa_fp16_overflow 0
		.amdhsa_exception_fp_ieee_invalid_op 0
		.amdhsa_exception_fp_denorm_src 0
		.amdhsa_exception_fp_ieee_div_zero 0
		.amdhsa_exception_fp_ieee_overflow 0
		.amdhsa_exception_fp_ieee_underflow 0
		.amdhsa_exception_fp_ieee_inexact 0
		.amdhsa_exception_int_div_zero 0
	.end_amdhsa_kernel
	.section	.text._ZL21dequantize_block_q4_KIN3c108BFloat16EEvPKvPT_,"axG",@progbits,_ZL21dequantize_block_q4_KIN3c108BFloat16EEvPKvPT_,comdat
.Lfunc_end45:
	.size	_ZL21dequantize_block_q4_KIN3c108BFloat16EEvPKvPT_, .Lfunc_end45-_ZL21dequantize_block_q4_KIN3c108BFloat16EEvPKvPT_
                                        ; -- End function
	.set _ZL21dequantize_block_q4_KIN3c108BFloat16EEvPKvPT_.num_vgpr, 20
	.set _ZL21dequantize_block_q4_KIN3c108BFloat16EEvPKvPT_.num_agpr, 0
	.set _ZL21dequantize_block_q4_KIN3c108BFloat16EEvPKvPT_.numbered_sgpr, 8
	.set _ZL21dequantize_block_q4_KIN3c108BFloat16EEvPKvPT_.num_named_barrier, 0
	.set _ZL21dequantize_block_q4_KIN3c108BFloat16EEvPKvPT_.private_seg_size, 0
	.set _ZL21dequantize_block_q4_KIN3c108BFloat16EEvPKvPT_.uses_vcc, 1
	.set _ZL21dequantize_block_q4_KIN3c108BFloat16EEvPKvPT_.uses_flat_scratch, 0
	.set _ZL21dequantize_block_q4_KIN3c108BFloat16EEvPKvPT_.has_dyn_sized_stack, 0
	.set _ZL21dequantize_block_q4_KIN3c108BFloat16EEvPKvPT_.has_recursion, 0
	.set _ZL21dequantize_block_q4_KIN3c108BFloat16EEvPKvPT_.has_indirect_call, 0
	.section	.AMDGPU.csdata,"",@progbits
; Kernel info:
; codeLenInByte = 1008
; TotalNumSgprs: 12
; NumVgprs: 20
; ScratchSize: 0
; MemoryBound: 0
; FloatMode: 240
; IeeeMode: 1
; LDSByteSize: 0 bytes/workgroup (compile time only)
; SGPRBlocks: 1
; VGPRBlocks: 4
; NumSGPRsForWavesPerEU: 12
; NumVGPRsForWavesPerEU: 20
; Occupancy: 10
; WaveLimiterHint : 0
; COMPUTE_PGM_RSRC2:SCRATCH_EN: 0
; COMPUTE_PGM_RSRC2:USER_SGPR: 6
; COMPUTE_PGM_RSRC2:TRAP_HANDLER: 0
; COMPUTE_PGM_RSRC2:TGID_X_EN: 1
; COMPUTE_PGM_RSRC2:TGID_Y_EN: 0
; COMPUTE_PGM_RSRC2:TGID_Z_EN: 0
; COMPUTE_PGM_RSRC2:TIDIG_COMP_CNT: 0
	.section	.text._ZL21dequantize_block_q5_KIN3c108BFloat16EEvPKvPT_,"axG",@progbits,_ZL21dequantize_block_q5_KIN3c108BFloat16EEvPKvPT_,comdat
	.globl	_ZL21dequantize_block_q5_KIN3c108BFloat16EEvPKvPT_ ; -- Begin function _ZL21dequantize_block_q5_KIN3c108BFloat16EEvPKvPT_
	.p2align	8
	.type	_ZL21dequantize_block_q5_KIN3c108BFloat16EEvPKvPT_,@function
_ZL21dequantize_block_q5_KIN3c108BFloat16EEvPKvPT_: ; @_ZL21dequantize_block_q5_KIN3c108BFloat16EEvPKvPT_
; %bb.0:
	s_load_dwordx2 s[0:1], s[4:5], 0x0
	s_mul_i32 s2, s6, 0xb0
	v_lshrrev_b32_e32 v4, 4, v0
	s_mul_hi_u32 s3, s6, 0xb0
	v_lshlrev_b32_e32 v3, 1, v4
	s_waitcnt lgkmcnt(0)
	s_add_u32 s2, s0, s2
	s_addc_u32 s3, s1, s3
	v_mov_b32_e32 v2, s3
	v_add_co_u32_e64 v1, s[0:1], s2, v3
	v_cmp_lt_u32_e32 vcc, 31, v0
	v_addc_co_u32_e64 v2, s[0:1], 0, v2, s[0:1]
                                        ; implicit-def: $vgpr6
                                        ; implicit-def: $vgpr5
	s_and_saveexec_b64 s[0:1], vcc
	s_xor_b64 s[0:1], exec, s[0:1]
	s_cbranch_execz .LBB46_2
; %bb.1:
	global_load_ubyte v5, v[1:2], off offset:8
	global_load_ubyte v6, v[1:2], off
	global_load_ubyte v7, v[1:2], off offset:4
	s_waitcnt vmcnt(2)
	v_and_b32_e32 v8, 15, v5
	s_waitcnt vmcnt(1)
	v_lshrrev_b16_e32 v6, 2, v6
	v_lshrrev_b16_e32 v9, 4, v5
	s_waitcnt vmcnt(0)
	v_lshrrev_b16_e32 v5, 2, v7
	v_and_b32_e32 v6, 48, v6
	v_and_b32_e32 v7, 48, v5
	v_or_b32_e32 v5, v6, v8
	v_or_b32_e32 v6, v7, v9
.LBB46_2:
	s_andn2_saveexec_b64 s[0:1], s[0:1]
	s_cbranch_execz .LBB46_4
; %bb.3:
	global_load_ubyte v5, v[1:2], off offset:4
	global_load_ubyte v6, v[1:2], off offset:8
	s_waitcnt vmcnt(1)
	v_and_b32_e32 v5, 63, v5
	s_waitcnt vmcnt(0)
	v_and_b32_e32 v6, 63, v6
.LBB46_4:
	s_or_b64 exec, exec, s[0:1]
	s_load_dwordx2 s[0:1], s[4:5], 0x8
	s_load_dword s7, s[2:3], 0x0
                                        ; implicit-def: $vgpr8
                                        ; implicit-def: $vgpr7
	s_and_saveexec_b64 s[4:5], vcc
	s_xor_b64 s[4:5], exec, s[4:5]
	s_cbranch_execz .LBB46_6
; %bb.5:
	global_load_ubyte v7, v[1:2], off offset:9
	global_load_ubyte v8, v[1:2], off offset:1
	;; [unrolled: 1-line block ×3, first 2 shown]
	s_waitcnt vmcnt(2)
	v_and_b32_e32 v1, 15, v7
	s_waitcnt vmcnt(1)
	v_lshrrev_b16_e32 v2, 2, v8
	v_lshrrev_b16_e32 v8, 4, v7
	s_waitcnt vmcnt(0)
	v_lshrrev_b16_e32 v7, 2, v9
	v_and_b32_e32 v2, 48, v2
	v_and_b32_e32 v9, 48, v7
	v_or_b32_e32 v7, v2, v1
	v_or_b32_e32 v8, v9, v8
                                        ; implicit-def: $vgpr1_vgpr2
.LBB46_6:
	s_andn2_saveexec_b64 s[4:5], s[4:5]
	s_cbranch_execz .LBB46_8
; %bb.7:
	global_load_ubyte v7, v[1:2], off offset:5
	global_load_ubyte v8, v[1:2], off offset:9
	s_waitcnt vmcnt(1)
	v_and_b32_e32 v7, 63, v7
	s_waitcnt vmcnt(0)
	v_and_b32_e32 v8, 63, v8
.LBB46_8:
	s_or_b64 exec, exec, s[4:5]
	v_lshlrev_b32_e32 v0, 1, v0
	v_and_b32_e32 v2, 30, v0
	v_lshlrev_b32_e32 v0, 5, v4
	v_mov_b32_e32 v1, s3
	v_add_co_u32_e32 v0, vcc, s2, v0
	v_addc_co_u32_e32 v1, vcc, 0, v1, vcc
	v_add_co_u32_e32 v0, vcc, v0, v2
	v_addc_co_u32_e32 v1, vcc, 0, v1, vcc
	global_load_ushort v9, v[0:1], off offset:48
	global_load_ushort v10, v2, s[2:3] offset:16
	s_mov_b32 s3, 0
	s_lshl_b32 s2, s6, 8
	s_waitcnt lgkmcnt(0)
	s_lshr_b32 s4, s7, 16
	s_lshl_b64 s[2:3], s[2:3], 1
	s_add_u32 s0, s0, s2
	v_cvt_f16_u16_sdwa v0, v6 dst_sel:DWORD dst_unused:UNUSED_PAD src0_sel:BYTE_0
	v_cvt_f16_u16_sdwa v1, v5 dst_sel:DWORD dst_unused:UNUSED_PAD src0_sel:BYTE_0
	v_lshlrev_b32_e32 v4, 7, v4
	s_addc_u32 s1, s1, s3
	v_cvt_f16_u16_sdwa v5, v7 dst_sel:DWORD dst_unused:UNUSED_PAD src0_sel:BYTE_0
	v_lshlrev_b32_e64 v7, v3, 1
	v_mul_f16_e32 v13, s4, v0
	v_mul_f16_e32 v14, s7, v1
	v_lshlrev_b32_e32 v0, 1, v2
	v_mov_b32_e32 v1, s1
	v_add_co_u32_e32 v2, vcc, s0, v4
	v_addc_co_u32_e32 v1, vcc, 0, v1, vcc
	v_lshlrev_b32_e64 v3, v3, 2
	v_cvt_f16_u16_sdwa v6, v8 dst_sel:DWORD dst_unused:UNUSED_PAD src0_sel:BYTE_0
	v_mov_b32_e32 v8, 15
	v_mul_f16_e32 v5, s7, v5
	v_mul_f16_e32 v6, s4, v6
	v_mov_b32_e32 v11, 1
	s_movk_i32 s5, 0x7fff
	v_mov_b32_e32 v12, 0x7fc0
	s_mov_b32 s6, 0x5040100
	s_waitcnt vmcnt(1)
	v_lshrrev_b16_e32 v16, 4, v9
	s_waitcnt vmcnt(0)
	v_and_b32_sdwa v15, v7, v10 dst_sel:DWORD dst_unused:UNUSED_PAD src0_sel:DWORD src1_sel:BYTE_1
	v_and_b32_sdwa v7, v7, v10 dst_sel:DWORD dst_unused:UNUSED_PAD src0_sel:DWORD src1_sel:BYTE_0
	v_cmp_eq_u32_e32 vcc, 0, v15
	v_and_b32_sdwa v17, v3, v10 dst_sel:DWORD dst_unused:UNUSED_PAD src0_sel:DWORD src1_sel:BYTE_1
	v_and_b32_sdwa v3, v3, v10 dst_sel:DWORD dst_unused:UNUSED_PAD src0_sel:DWORD src1_sel:BYTE_0
	v_cndmask_b32_e64 v10, 16, 0, vcc
	v_cmp_eq_u32_e32 vcc, 0, v7
	v_cndmask_b32_e64 v7, 16, 0, vcc
	v_cmp_eq_u32_e32 vcc, 0, v17
	v_and_b32_e32 v15, 15, v16
	v_cndmask_b32_e64 v16, 16, 0, vcc
	v_cmp_eq_u32_e32 vcc, 0, v3
	v_and_b32_sdwa v4, v9, v8 dst_sel:DWORD dst_unused:UNUSED_PAD src0_sel:BYTE_1 src1_sel:DWORD
	v_and_b32_e32 v8, 15, v9
	v_lshrrev_b16_e32 v9, 12, v9
	v_cndmask_b32_e64 v3, 16, 0, vcc
	v_or_b32_sdwa v4, v10, v4 dst_sel:DWORD dst_unused:UNUSED_PAD src0_sel:DWORD src1_sel:WORD_0
	v_or_b32_sdwa v7, v7, v8 dst_sel:DWORD dst_unused:UNUSED_PAD src0_sel:DWORD src1_sel:WORD_0
	v_or_b32_e32 v8, v16, v9
	v_or_b32_sdwa v3, v3, v15 dst_sel:DWORD dst_unused:UNUSED_PAD src0_sel:DWORD src1_sel:WORD_0
	v_cvt_f32_ubyte0_e32 v4, v4
	v_cvt_f32_ubyte0_e32 v7, v7
	;; [unrolled: 1-line block ×4, first 2 shown]
	v_cvt_f16_f32_e32 v4, v4
	v_cvt_f16_f32_e32 v7, v7
	;; [unrolled: 1-line block ×4, first 2 shown]
	v_add_co_u32_e32 v0, vcc, v2, v0
	v_pack_b32_f16 v2, v7, v4
	v_pack_b32_f16 v3, v3, v8
	v_pk_fma_f16 v2, v14, v2, v13 op_sel_hi:[0,1,0] neg_lo:[0,0,1] neg_hi:[0,0,1]
	v_pk_fma_f16 v3, v5, v3, v6 op_sel_hi:[0,1,0] neg_lo:[0,0,1] neg_hi:[0,0,1]
	v_cvt_f32_f16_sdwa v4, v2 dst_sel:DWORD dst_unused:UNUSED_PAD src0_sel:WORD_1
	v_cvt_f32_f16_e32 v5, v2
	v_cvt_f32_f16_sdwa v6, v3 dst_sel:DWORD dst_unused:UNUSED_PAD src0_sel:WORD_1
	v_cvt_f32_f16_e32 v7, v3
	v_addc_co_u32_e32 v1, vcc, 0, v1, vcc
	v_cmp_o_f16_e32 vcc, v3, v3
	v_cmp_o_f16_sdwa s[0:1], v3, v3 src0_sel:WORD_1 src1_sel:WORD_1
	v_and_b32_sdwa v3, v4, v11 dst_sel:DWORD dst_unused:UNUSED_PAD src0_sel:WORD_1 src1_sel:DWORD
	v_and_b32_sdwa v8, v5, v11 dst_sel:DWORD dst_unused:UNUSED_PAD src0_sel:WORD_1 src1_sel:DWORD
	;; [unrolled: 1-line block ×4, first 2 shown]
	v_add3_u32 v3, v4, v3, s5
	v_add3_u32 v4, v5, v8, s5
	;; [unrolled: 1-line block ×4, first 2 shown]
	v_lshrrev_b32_e32 v4, 16, v4
	v_cndmask_b32_sdwa v6, v12, v6, vcc dst_sel:DWORD dst_unused:UNUSED_PAD src0_sel:DWORD src1_sel:WORD_1
	v_cmp_o_f16_e32 vcc, v2, v2
	v_lshrrev_b32_e32 v3, 16, v3
	v_cndmask_b32_e32 v4, v12, v4, vcc
	v_cmp_o_f16_sdwa vcc, v2, v2 src0_sel:WORD_1 src1_sel:WORD_1
	v_cndmask_b32_e32 v2, v12, v3, vcc
	v_perm_b32 v2, v2, v4, s6
	s_mov_b64 vcc, s[0:1]
	global_store_dword v[0:1], v2, off
	v_cndmask_b32_sdwa v2, v12, v5, vcc dst_sel:DWORD dst_unused:UNUSED_PAD src0_sel:DWORD src1_sel:WORD_1
	v_perm_b32 v2, v2, v6, s6
	global_store_dword v[0:1], v2, off offset:64
	s_endpgm
	.section	.rodata,"a",@progbits
	.p2align	6, 0x0
	.amdhsa_kernel _ZL21dequantize_block_q5_KIN3c108BFloat16EEvPKvPT_
		.amdhsa_group_segment_fixed_size 0
		.amdhsa_private_segment_fixed_size 0
		.amdhsa_kernarg_size 16
		.amdhsa_user_sgpr_count 6
		.amdhsa_user_sgpr_private_segment_buffer 1
		.amdhsa_user_sgpr_dispatch_ptr 0
		.amdhsa_user_sgpr_queue_ptr 0
		.amdhsa_user_sgpr_kernarg_segment_ptr 1
		.amdhsa_user_sgpr_dispatch_id 0
		.amdhsa_user_sgpr_flat_scratch_init 0
		.amdhsa_user_sgpr_private_segment_size 0
		.amdhsa_uses_dynamic_stack 0
		.amdhsa_system_sgpr_private_segment_wavefront_offset 0
		.amdhsa_system_sgpr_workgroup_id_x 1
		.amdhsa_system_sgpr_workgroup_id_y 0
		.amdhsa_system_sgpr_workgroup_id_z 0
		.amdhsa_system_sgpr_workgroup_info 0
		.amdhsa_system_vgpr_workitem_id 0
		.amdhsa_next_free_vgpr 18
		.amdhsa_next_free_sgpr 8
		.amdhsa_reserve_vcc 1
		.amdhsa_reserve_flat_scratch 0
		.amdhsa_float_round_mode_32 0
		.amdhsa_float_round_mode_16_64 0
		.amdhsa_float_denorm_mode_32 3
		.amdhsa_float_denorm_mode_16_64 3
		.amdhsa_dx10_clamp 1
		.amdhsa_ieee_mode 1
		.amdhsa_fp16_overflow 0
		.amdhsa_exception_fp_ieee_invalid_op 0
		.amdhsa_exception_fp_denorm_src 0
		.amdhsa_exception_fp_ieee_div_zero 0
		.amdhsa_exception_fp_ieee_overflow 0
		.amdhsa_exception_fp_ieee_underflow 0
		.amdhsa_exception_fp_ieee_inexact 0
		.amdhsa_exception_int_div_zero 0
	.end_amdhsa_kernel
	.section	.text._ZL21dequantize_block_q5_KIN3c108BFloat16EEvPKvPT_,"axG",@progbits,_ZL21dequantize_block_q5_KIN3c108BFloat16EEvPKvPT_,comdat
.Lfunc_end46:
	.size	_ZL21dequantize_block_q5_KIN3c108BFloat16EEvPKvPT_, .Lfunc_end46-_ZL21dequantize_block_q5_KIN3c108BFloat16EEvPKvPT_
                                        ; -- End function
	.set _ZL21dequantize_block_q5_KIN3c108BFloat16EEvPKvPT_.num_vgpr, 18
	.set _ZL21dequantize_block_q5_KIN3c108BFloat16EEvPKvPT_.num_agpr, 0
	.set _ZL21dequantize_block_q5_KIN3c108BFloat16EEvPKvPT_.numbered_sgpr, 8
	.set _ZL21dequantize_block_q5_KIN3c108BFloat16EEvPKvPT_.num_named_barrier, 0
	.set _ZL21dequantize_block_q5_KIN3c108BFloat16EEvPKvPT_.private_seg_size, 0
	.set _ZL21dequantize_block_q5_KIN3c108BFloat16EEvPKvPT_.uses_vcc, 1
	.set _ZL21dequantize_block_q5_KIN3c108BFloat16EEvPKvPT_.uses_flat_scratch, 0
	.set _ZL21dequantize_block_q5_KIN3c108BFloat16EEvPKvPT_.has_dyn_sized_stack, 0
	.set _ZL21dequantize_block_q5_KIN3c108BFloat16EEvPKvPT_.has_recursion, 0
	.set _ZL21dequantize_block_q5_KIN3c108BFloat16EEvPKvPT_.has_indirect_call, 0
	.section	.AMDGPU.csdata,"",@progbits
; Kernel info:
; codeLenInByte = 916
; TotalNumSgprs: 12
; NumVgprs: 18
; ScratchSize: 0
; MemoryBound: 0
; FloatMode: 240
; IeeeMode: 1
; LDSByteSize: 0 bytes/workgroup (compile time only)
; SGPRBlocks: 1
; VGPRBlocks: 4
; NumSGPRsForWavesPerEU: 12
; NumVGPRsForWavesPerEU: 18
; Occupancy: 10
; WaveLimiterHint : 0
; COMPUTE_PGM_RSRC2:SCRATCH_EN: 0
; COMPUTE_PGM_RSRC2:USER_SGPR: 6
; COMPUTE_PGM_RSRC2:TRAP_HANDLER: 0
; COMPUTE_PGM_RSRC2:TGID_X_EN: 1
; COMPUTE_PGM_RSRC2:TGID_Y_EN: 0
; COMPUTE_PGM_RSRC2:TGID_Z_EN: 0
; COMPUTE_PGM_RSRC2:TIDIG_COMP_CNT: 0
	.section	.text._ZL21dequantize_block_q6_KIN3c108BFloat16EEvPKvPT_,"axG",@progbits,_ZL21dequantize_block_q6_KIN3c108BFloat16EEvPKvPT_,comdat
	.globl	_ZL21dequantize_block_q6_KIN3c108BFloat16EEvPKvPT_ ; -- Begin function _ZL21dequantize_block_q6_KIN3c108BFloat16EEvPKvPT_
	.p2align	8
	.type	_ZL21dequantize_block_q6_KIN3c108BFloat16EEvPKvPT_,@function
_ZL21dequantize_block_q6_KIN3c108BFloat16EEvPKvPT_: ; @_ZL21dequantize_block_q6_KIN3c108BFloat16EEvPKvPT_
; %bb.0:
	s_load_dwordx4 s[0:3], s[4:5], 0x0
	s_lshl_b32 s4, s6, 8
	s_mov_b32 s5, 0
	s_lshl_b64 s[4:5], s[4:5], 1
	v_lshrrev_b32_e32 v3, 5, v0
	s_waitcnt lgkmcnt(0)
	s_add_u32 s2, s2, s4
	s_addc_u32 s3, s3, s5
	s_mul_hi_u32 s4, s6, 0xd2
	s_mulk_i32 s6, 0xd2
	s_add_u32 s0, s0, s6
	s_addc_u32 s1, s1, s4
	v_lshlrev_b32_e32 v1, 6, v3
	v_mov_b32_e32 v2, s1
	v_add_co_u32_e32 v1, vcc, s0, v1
	v_and_b32_e32 v4, 31, v0
	v_addc_co_u32_e32 v2, vcc, 0, v2, vcc
	v_add_co_u32_e32 v1, vcc, v1, v4
	global_load_ubyte v5, v0, s[0:1] offset:128
	v_addc_co_u32_e32 v2, vcc, 0, v2, vcc
	global_load_ubyte v6, v[1:2], off
	global_load_ubyte v7, v[1:2], off offset:32
	v_bfe_u32 v0, v0, 4, 1
	v_lshl_or_b32 v0, v3, 3, v0
	global_load_sbyte v2, v0, s[0:1] offset:192
	global_load_sbyte v8, v0, s[0:1] offset:194
	;; [unrolled: 1-line block ×4, first 2 shown]
	v_mov_b32_e32 v0, 0
	global_load_ushort v11, v0, s[0:1] offset:208
	v_lshlrev_b32_e32 v0, 8, v3
	v_mov_b32_e32 v3, s3
	v_add_co_u32_e32 v0, vcc, s2, v0
	v_lshlrev_b32_e32 v1, 1, v4
	v_addc_co_u32_e32 v3, vcc, 0, v3, vcc
	v_add_co_u32_e32 v0, vcc, v0, v1
	v_addc_co_u32_e32 v1, vcc, 0, v3, vcc
	v_mov_b32_e32 v12, 32
	s_movk_i32 s0, 0x7fff
	v_mov_b32_e32 v13, 0x7fc0
	s_waitcnt vmcnt(7)
	v_lshlrev_b16_e32 v3, 4, v5
	v_lshlrev_b16_e32 v4, 2, v5
	v_and_b32_e32 v14, 48, v5
	v_lshrrev_b16_e32 v5, 2, v5
	v_and_b32_e32 v3, 48, v3
	v_and_b32_e32 v4, 48, v4
	;; [unrolled: 1-line block ×3, first 2 shown]
	s_waitcnt vmcnt(6)
	v_and_b32_e32 v15, 15, v6
	s_waitcnt vmcnt(5)
	v_and_b32_e32 v16, 15, v7
	v_lshrrev_b16_e32 v6, 4, v6
	v_lshrrev_b16_e32 v7, 4, v7
	v_or_b32_e32 v3, v15, v3
	v_or_b32_e32 v4, v16, v4
	;; [unrolled: 1-line block ×4, first 2 shown]
	v_sub_u32_sdwa v3, v3, v12 dst_sel:DWORD dst_unused:UNUSED_PAD src0_sel:WORD_0 src1_sel:DWORD
	v_sub_u32_sdwa v4, v4, v12 dst_sel:DWORD dst_unused:UNUSED_PAD src0_sel:WORD_0 src1_sel:DWORD
	;; [unrolled: 1-line block ×4, first 2 shown]
	s_waitcnt vmcnt(4)
	v_mul_i32_i24_e32 v2, v3, v2
	s_waitcnt vmcnt(3)
	v_mul_i32_i24_e32 v3, v4, v8
	;; [unrolled: 2-line block ×4, first 2 shown]
	v_cvt_f32_i32_e32 v2, v2
	v_cvt_f32_i32_e32 v3, v3
	;; [unrolled: 1-line block ×4, first 2 shown]
	v_cvt_f16_f32_e32 v2, v2
	v_cvt_f16_f32_e32 v3, v3
	;; [unrolled: 1-line block ×4, first 2 shown]
	s_waitcnt vmcnt(0)
	v_mul_f16_e32 v2, v11, v2
	v_mul_f16_e32 v3, v11, v3
	;; [unrolled: 1-line block ×4, first 2 shown]
	v_cvt_f32_f16_e32 v6, v2
	v_cvt_f32_f16_e32 v7, v3
	;; [unrolled: 1-line block ×4, first 2 shown]
	v_cmp_o_f16_e32 vcc, v5, v5
	v_bfe_u32 v5, v6, 16, 1
	v_bfe_u32 v10, v7, 16, 1
	;; [unrolled: 1-line block ×4, first 2 shown]
	v_add3_u32 v5, v6, v5, s0
	v_add3_u32 v6, v7, v10, s0
	;; [unrolled: 1-line block ×4, first 2 shown]
	v_lshrrev_b32_e32 v5, 16, v5
	v_cndmask_b32_sdwa v8, v13, v8, vcc dst_sel:DWORD dst_unused:UNUSED_PAD src0_sel:DWORD src1_sel:WORD_1
	v_cmp_o_f16_e32 vcc, v2, v2
	v_lshrrev_b32_e32 v6, 16, v6
	v_cndmask_b32_e32 v2, v13, v5, vcc
	v_cmp_o_f16_e32 vcc, v3, v3
	v_lshrrev_b32_e32 v7, 16, v7
	v_cndmask_b32_e32 v3, v13, v6, vcc
	v_cmp_o_f16_e32 vcc, v4, v4
	v_cndmask_b32_e32 v4, v13, v7, vcc
	global_store_short v[0:1], v2, off
	global_store_short v[0:1], v3, off offset:64
	global_store_short v[0:1], v4, off offset:128
	;; [unrolled: 1-line block ×3, first 2 shown]
	s_endpgm
	.section	.rodata,"a",@progbits
	.p2align	6, 0x0
	.amdhsa_kernel _ZL21dequantize_block_q6_KIN3c108BFloat16EEvPKvPT_
		.amdhsa_group_segment_fixed_size 0
		.amdhsa_private_segment_fixed_size 0
		.amdhsa_kernarg_size 16
		.amdhsa_user_sgpr_count 6
		.amdhsa_user_sgpr_private_segment_buffer 1
		.amdhsa_user_sgpr_dispatch_ptr 0
		.amdhsa_user_sgpr_queue_ptr 0
		.amdhsa_user_sgpr_kernarg_segment_ptr 1
		.amdhsa_user_sgpr_dispatch_id 0
		.amdhsa_user_sgpr_flat_scratch_init 0
		.amdhsa_user_sgpr_private_segment_size 0
		.amdhsa_uses_dynamic_stack 0
		.amdhsa_system_sgpr_private_segment_wavefront_offset 0
		.amdhsa_system_sgpr_workgroup_id_x 1
		.amdhsa_system_sgpr_workgroup_id_y 0
		.amdhsa_system_sgpr_workgroup_id_z 0
		.amdhsa_system_sgpr_workgroup_info 0
		.amdhsa_system_vgpr_workitem_id 0
		.amdhsa_next_free_vgpr 17
		.amdhsa_next_free_sgpr 7
		.amdhsa_reserve_vcc 1
		.amdhsa_reserve_flat_scratch 0
		.amdhsa_float_round_mode_32 0
		.amdhsa_float_round_mode_16_64 0
		.amdhsa_float_denorm_mode_32 3
		.amdhsa_float_denorm_mode_16_64 3
		.amdhsa_dx10_clamp 1
		.amdhsa_ieee_mode 1
		.amdhsa_fp16_overflow 0
		.amdhsa_exception_fp_ieee_invalid_op 0
		.amdhsa_exception_fp_denorm_src 0
		.amdhsa_exception_fp_ieee_div_zero 0
		.amdhsa_exception_fp_ieee_overflow 0
		.amdhsa_exception_fp_ieee_underflow 0
		.amdhsa_exception_fp_ieee_inexact 0
		.amdhsa_exception_int_div_zero 0
	.end_amdhsa_kernel
	.section	.text._ZL21dequantize_block_q6_KIN3c108BFloat16EEvPKvPT_,"axG",@progbits,_ZL21dequantize_block_q6_KIN3c108BFloat16EEvPKvPT_,comdat
.Lfunc_end47:
	.size	_ZL21dequantize_block_q6_KIN3c108BFloat16EEvPKvPT_, .Lfunc_end47-_ZL21dequantize_block_q6_KIN3c108BFloat16EEvPKvPT_
                                        ; -- End function
	.set _ZL21dequantize_block_q6_KIN3c108BFloat16EEvPKvPT_.num_vgpr, 17
	.set _ZL21dequantize_block_q6_KIN3c108BFloat16EEvPKvPT_.num_agpr, 0
	.set _ZL21dequantize_block_q6_KIN3c108BFloat16EEvPKvPT_.numbered_sgpr, 7
	.set _ZL21dequantize_block_q6_KIN3c108BFloat16EEvPKvPT_.num_named_barrier, 0
	.set _ZL21dequantize_block_q6_KIN3c108BFloat16EEvPKvPT_.private_seg_size, 0
	.set _ZL21dequantize_block_q6_KIN3c108BFloat16EEvPKvPT_.uses_vcc, 1
	.set _ZL21dequantize_block_q6_KIN3c108BFloat16EEvPKvPT_.uses_flat_scratch, 0
	.set _ZL21dequantize_block_q6_KIN3c108BFloat16EEvPKvPT_.has_dyn_sized_stack, 0
	.set _ZL21dequantize_block_q6_KIN3c108BFloat16EEvPKvPT_.has_recursion, 0
	.set _ZL21dequantize_block_q6_KIN3c108BFloat16EEvPKvPT_.has_indirect_call, 0
	.section	.AMDGPU.csdata,"",@progbits
; Kernel info:
; codeLenInByte = 564
; TotalNumSgprs: 11
; NumVgprs: 17
; ScratchSize: 0
; MemoryBound: 0
; FloatMode: 240
; IeeeMode: 1
; LDSByteSize: 0 bytes/workgroup (compile time only)
; SGPRBlocks: 1
; VGPRBlocks: 4
; NumSGPRsForWavesPerEU: 11
; NumVGPRsForWavesPerEU: 17
; Occupancy: 10
; WaveLimiterHint : 0
; COMPUTE_PGM_RSRC2:SCRATCH_EN: 0
; COMPUTE_PGM_RSRC2:USER_SGPR: 6
; COMPUTE_PGM_RSRC2:TRAP_HANDLER: 0
; COMPUTE_PGM_RSRC2:TGID_X_EN: 1
; COMPUTE_PGM_RSRC2:TGID_Y_EN: 0
; COMPUTE_PGM_RSRC2:TGID_Z_EN: 0
; COMPUTE_PGM_RSRC2:TIDIG_COMP_CNT: 0
	.section	.text._ZL24dequantize_block_iq2_xxsIN3c108BFloat16EEvPKvPT_,"axG",@progbits,_ZL24dequantize_block_iq2_xxsIN3c108BFloat16EEvPKvPT_,comdat
	.globl	_ZL24dequantize_block_iq2_xxsIN3c108BFloat16EEvPKvPT_ ; -- Begin function _ZL24dequantize_block_iq2_xxsIN3c108BFloat16EEvPKvPT_
	.p2align	8
	.type	_ZL24dequantize_block_iq2_xxsIN3c108BFloat16EEvPKvPT_,@function
_ZL24dequantize_block_iq2_xxsIN3c108BFloat16EEvPKvPT_: ; @_ZL24dequantize_block_iq2_xxsIN3c108BFloat16EEvPKvPT_
; %bb.0:
	s_load_dwordx4 s[0:3], s[4:5], 0x0
	s_lshl_b32 s4, s6, 8
	s_mov_b32 s5, 0
	s_lshl_b64 s[4:5], s[4:5], 1
	v_and_b32_e32 v2, 7, v0
	s_waitcnt lgkmcnt(0)
	s_add_u32 s2, s2, s4
	s_addc_u32 s3, s3, s5
	s_mul_hi_u32 s4, s6, 0x42
	s_mulk_i32 s6, 0x42
	s_add_u32 s0, s0, s6
	s_addc_u32 s1, s1, s4
	v_lshlrev_b32_e32 v6, 3, v2
	v_mov_b32_e32 v1, s1
	v_add_co_u32_e32 v3, vcc, s0, v6
	v_lshrrev_b32_e32 v5, 3, v0
	v_addc_co_u32_e32 v1, vcc, 0, v1, vcc
	v_add_co_u32_e32 v3, vcc, v3, v5
	v_addc_co_u32_e32 v4, vcc, 0, v1, vcc
	global_load_ubyte v3, v[3:4], off offset:2
	v_mov_b32_e32 v1, 0
	global_load_ushort v10, v1, s[0:1]
	global_load_dword v11, v6, s[0:1] offset:6
	s_getpc_b64 s[0:1]
	s_add_u32 s0, s0, _ZL11iq2xxs_grid@rel32@lo+4
	s_addc_u32 s1, s1, _ZL11iq2xxs_grid@rel32@hi+12
	v_lshlrev_b32_e32 v2, 6, v2
	v_and_b32_e32 v0, 0x3f8, v0
	v_mov_b32_e32 v8, s3
	v_add_co_u32_e32 v2, vcc, s2, v2
	v_lshlrev_b32_e32 v0, 1, v0
	v_addc_co_u32_e32 v9, vcc, 0, v8, vcc
	v_add_co_u32_e32 v8, vcc, v2, v0
	v_addc_co_u32_e32 v9, vcc, 0, v9, vcc
	s_movk_i32 s4, 0x7fff
	v_mov_b32_e32 v12, 1
	s_mov_b32 s5, 0x5040100
	s_waitcnt vmcnt(2)
	v_lshlrev_b32_e32 v3, 3, v3
	global_load_dwordx2 v[6:7], v3, s[0:1]
	v_mul_u32_u24_e32 v3, 7, v5
	s_getpc_b64 s[0:1]
	s_add_u32 s0, s0, _ZL12ksigns_iq2xs@rel32@lo+4
	s_addc_u32 s1, s1, _ZL12ksigns_iq2xs@rel32@hi+12
	s_waitcnt vmcnt(1)
	v_bfe_u32 v5, v11, v3, 7
	global_load_ubyte v4, v5, s[0:1]
	v_cvt_f32_f16_e32 v0, v10
	v_lshrrev_b32_e32 v2, 28, v11
	v_cvt_f32_ubyte0_e32 v2, v2
	v_add_f32_e32 v2, 0.5, v2
	v_mul_f32_e32 v0, v2, v0
	v_mul_f32_e32 v0, 0x3e800000, v0
	v_mov_b32_e32 v3, 0x7fc0
	s_waitcnt vmcnt(1)
	v_cvt_f32_ubyte3_e32 v2, v6
	v_cvt_f32_ubyte2_e32 v10, v6
	v_mul_f32_e32 v2, v0, v2
	v_cvt_f32_ubyte1_e32 v11, v6
	s_waitcnt vmcnt(0)
	v_and_b32_e32 v13, 8, v4
	v_and_b32_e32 v14, 4, v4
	v_cmp_eq_u16_e32 vcc, 0, v13
	v_and_b32_e32 v15, 2, v4
	v_mul_f32_e32 v10, v0, v10
	v_cndmask_b32_e64 v2, -v2, v2, vcc
	v_cmp_eq_u16_e32 vcc, 0, v14
	v_cvt_f32_ubyte0_e32 v6, v6
	v_and_b32_e32 v19, 1, v4
	v_mul_f32_e32 v11, v0, v11
	v_cndmask_b32_e64 v10, -v10, v10, vcc
	v_cmp_eq_u16_e32 vcc, 0, v15
	v_cvt_f32_ubyte0_e32 v16, v7
	v_cvt_f32_ubyte1_e32 v17, v7
	v_cvt_f32_ubyte2_e32 v18, v7
	v_cvt_f32_ubyte3_e32 v7, v7
	v_and_b32_e32 v13, 16, v4
	v_mul_f32_e32 v6, v0, v6
	v_cndmask_b32_e64 v11, -v11, v11, vcc
	v_cmp_eq_u16_e32 vcc, 0, v19
	v_mul_f32_e32 v16, v0, v16
	v_mul_f32_e32 v18, v0, v18
	;; [unrolled: 1-line block ×4, first 2 shown]
	v_and_b32_e32 v7, 32, v4
	v_cndmask_b32_e64 v6, -v6, v6, vcc
	v_cmp_eq_u16_e32 vcc, 0, v13
	v_cndmask_b32_e64 v13, -v16, v16, vcc
	v_cmp_eq_u16_e32 vcc, 0, v7
	v_cmp_lt_i16_sdwa s[0:1], sext(v4), v1 src0_sel:BYTE_0 src1_sel:DWORD
	v_cndmask_b32_e64 v7, -v17, v17, vcc
	v_cmp_gt_u32_e32 vcc, 64, v5
	v_cndmask_b32_e64 v0, v0, -v0, s[0:1]
	v_cndmask_b32_e64 v5, -v18, v18, vcc
	v_bfe_u32 v1, v6, 16, 1
	v_bfe_u32 v18, v0, 16, 1
	;; [unrolled: 1-line block ×3, first 2 shown]
	v_cmp_o_f32_e32 vcc, v0, v0
	v_add3_u32 v1, v6, v1, s4
	v_add3_u32 v0, v0, v18, s4
	v_bfe_u32 v14, v10, 16, 1
	v_add3_u32 v4, v11, v4, s4
	v_lshrrev_b32_e32 v1, 16, v1
	v_cndmask_b32_sdwa v18, v3, v0, vcc dst_sel:DWORD dst_unused:UNUSED_PAD src0_sel:DWORD src1_sel:WORD_1
	v_cmp_o_f32_e32 vcc, v6, v6
	v_bfe_u32 v15, v2, 16, 1
	v_add3_u32 v14, v10, v14, s4
	v_lshrrev_b32_e32 v4, 16, v4
	v_cndmask_b32_e32 v0, v3, v1, vcc
	v_cmp_o_f32_e32 vcc, v11, v11
	v_bfe_u32 v16, v13, 16, 1
	v_add3_u32 v15, v2, v15, s4
	v_lshrrev_b32_e32 v14, 16, v14
	v_cndmask_b32_e32 v4, v3, v4, vcc
	v_cmp_o_f32_e32 vcc, v10, v10
	v_and_b32_sdwa v17, v5, v12 dst_sel:DWORD dst_unused:UNUSED_PAD src0_sel:WORD_1 src1_sel:DWORD
	v_and_b32_sdwa v12, v7, v12 dst_sel:DWORD dst_unused:UNUSED_PAD src0_sel:WORD_1 src1_sel:DWORD
	v_add3_u32 v16, v13, v16, s4
	v_lshrrev_b32_e32 v15, 16, v15
	v_cndmask_b32_e32 v1, v3, v14, vcc
	v_cmp_o_f32_e32 vcc, v2, v2
	v_add3_u32 v12, v7, v12, s4
	v_lshrrev_b32_e32 v16, 16, v16
	v_cndmask_b32_e32 v2, v3, v15, vcc
	v_cmp_o_f32_e32 vcc, v13, v13
	;; [unrolled: 4-line block ×3, first 2 shown]
	v_lshrrev_b32_e32 v17, 16, v17
	v_cndmask_b32_e32 v7, v3, v12, vcc
	v_cmp_o_f32_e32 vcc, v5, v5
	v_cndmask_b32_e32 v3, v3, v17, vcc
	v_perm_b32 v1, v2, v1, s5
	v_perm_b32 v0, v4, v0, s5
	;; [unrolled: 1-line block ×4, first 2 shown]
	global_store_dwordx4 v[8:9], v[0:3], off
	s_endpgm
	.section	.rodata,"a",@progbits
	.p2align	6, 0x0
	.amdhsa_kernel _ZL24dequantize_block_iq2_xxsIN3c108BFloat16EEvPKvPT_
		.amdhsa_group_segment_fixed_size 0
		.amdhsa_private_segment_fixed_size 0
		.amdhsa_kernarg_size 16
		.amdhsa_user_sgpr_count 6
		.amdhsa_user_sgpr_private_segment_buffer 1
		.amdhsa_user_sgpr_dispatch_ptr 0
		.amdhsa_user_sgpr_queue_ptr 0
		.amdhsa_user_sgpr_kernarg_segment_ptr 1
		.amdhsa_user_sgpr_dispatch_id 0
		.amdhsa_user_sgpr_flat_scratch_init 0
		.amdhsa_user_sgpr_private_segment_size 0
		.amdhsa_uses_dynamic_stack 0
		.amdhsa_system_sgpr_private_segment_wavefront_offset 0
		.amdhsa_system_sgpr_workgroup_id_x 1
		.amdhsa_system_sgpr_workgroup_id_y 0
		.amdhsa_system_sgpr_workgroup_id_z 0
		.amdhsa_system_sgpr_workgroup_info 0
		.amdhsa_system_vgpr_workitem_id 0
		.amdhsa_next_free_vgpr 20
		.amdhsa_next_free_sgpr 7
		.amdhsa_reserve_vcc 1
		.amdhsa_reserve_flat_scratch 0
		.amdhsa_float_round_mode_32 0
		.amdhsa_float_round_mode_16_64 0
		.amdhsa_float_denorm_mode_32 3
		.amdhsa_float_denorm_mode_16_64 3
		.amdhsa_dx10_clamp 1
		.amdhsa_ieee_mode 1
		.amdhsa_fp16_overflow 0
		.amdhsa_exception_fp_ieee_invalid_op 0
		.amdhsa_exception_fp_denorm_src 0
		.amdhsa_exception_fp_ieee_div_zero 0
		.amdhsa_exception_fp_ieee_overflow 0
		.amdhsa_exception_fp_ieee_underflow 0
		.amdhsa_exception_fp_ieee_inexact 0
		.amdhsa_exception_int_div_zero 0
	.end_amdhsa_kernel
	.section	.text._ZL24dequantize_block_iq2_xxsIN3c108BFloat16EEvPKvPT_,"axG",@progbits,_ZL24dequantize_block_iq2_xxsIN3c108BFloat16EEvPKvPT_,comdat
.Lfunc_end48:
	.size	_ZL24dequantize_block_iq2_xxsIN3c108BFloat16EEvPKvPT_, .Lfunc_end48-_ZL24dequantize_block_iq2_xxsIN3c108BFloat16EEvPKvPT_
                                        ; -- End function
	.set _ZL24dequantize_block_iq2_xxsIN3c108BFloat16EEvPKvPT_.num_vgpr, 20
	.set _ZL24dequantize_block_iq2_xxsIN3c108BFloat16EEvPKvPT_.num_agpr, 0
	.set _ZL24dequantize_block_iq2_xxsIN3c108BFloat16EEvPKvPT_.numbered_sgpr, 7
	.set _ZL24dequantize_block_iq2_xxsIN3c108BFloat16EEvPKvPT_.num_named_barrier, 0
	.set _ZL24dequantize_block_iq2_xxsIN3c108BFloat16EEvPKvPT_.private_seg_size, 0
	.set _ZL24dequantize_block_iq2_xxsIN3c108BFloat16EEvPKvPT_.uses_vcc, 1
	.set _ZL24dequantize_block_iq2_xxsIN3c108BFloat16EEvPKvPT_.uses_flat_scratch, 0
	.set _ZL24dequantize_block_iq2_xxsIN3c108BFloat16EEvPKvPT_.has_dyn_sized_stack, 0
	.set _ZL24dequantize_block_iq2_xxsIN3c108BFloat16EEvPKvPT_.has_recursion, 0
	.set _ZL24dequantize_block_iq2_xxsIN3c108BFloat16EEvPKvPT_.has_indirect_call, 0
	.section	.AMDGPU.csdata,"",@progbits
; Kernel info:
; codeLenInByte = 744
; TotalNumSgprs: 11
; NumVgprs: 20
; ScratchSize: 0
; MemoryBound: 0
; FloatMode: 240
; IeeeMode: 1
; LDSByteSize: 0 bytes/workgroup (compile time only)
; SGPRBlocks: 1
; VGPRBlocks: 4
; NumSGPRsForWavesPerEU: 11
; NumVGPRsForWavesPerEU: 20
; Occupancy: 10
; WaveLimiterHint : 0
; COMPUTE_PGM_RSRC2:SCRATCH_EN: 0
; COMPUTE_PGM_RSRC2:USER_SGPR: 6
; COMPUTE_PGM_RSRC2:TRAP_HANDLER: 0
; COMPUTE_PGM_RSRC2:TGID_X_EN: 1
; COMPUTE_PGM_RSRC2:TGID_Y_EN: 0
; COMPUTE_PGM_RSRC2:TGID_Z_EN: 0
; COMPUTE_PGM_RSRC2:TIDIG_COMP_CNT: 0
	.section	.text._ZL23dequantize_block_iq2_xsIN3c108BFloat16EEvPKvPT_,"axG",@progbits,_ZL23dequantize_block_iq2_xsIN3c108BFloat16EEvPKvPT_,comdat
	.globl	_ZL23dequantize_block_iq2_xsIN3c108BFloat16EEvPKvPT_ ; -- Begin function _ZL23dequantize_block_iq2_xsIN3c108BFloat16EEvPKvPT_
	.p2align	8
	.type	_ZL23dequantize_block_iq2_xsIN3c108BFloat16EEvPKvPT_,@function
_ZL23dequantize_block_iq2_xsIN3c108BFloat16EEvPKvPT_: ; @_ZL23dequantize_block_iq2_xsIN3c108BFloat16EEvPKvPT_
; %bb.0:
	s_load_dwordx4 s[0:3], s[4:5], 0x0
	s_lshl_b32 s4, s6, 8
	s_mov_b32 s5, 0
	s_lshl_b64 s[4:5], s[4:5], 1
	v_and_b32_e32 v3, 7, v0
	s_waitcnt lgkmcnt(0)
	s_add_u32 s7, s2, s4
	s_addc_u32 s8, s3, s5
	s_mul_hi_u32 s2, s6, 0x4a
	s_mulk_i32 s6, 0x4a
	s_add_u32 s0, s0, s6
	s_addc_u32 s1, s1, s2
	v_lshlrev_b32_e32 v1, 3, v3
	v_mov_b32_e32 v2, s1
	v_add_co_u32_e32 v1, vcc, s0, v1
	v_lshrrev_b32_e32 v8, 2, v0
	v_addc_co_u32_e32 v2, vcc, 0, v2, vcc
	v_and_b32_e32 v4, 0xfe, v8
	v_add_co_u32_e32 v1, vcc, v1, v4
	v_addc_co_u32_e32 v2, vcc, 0, v2, vcc
	global_load_ushort v2, v[1:2], off offset:2
	v_mov_b32_e32 v1, 0
	v_mov_b32_e32 v4, 3
	s_getpc_b64 s[2:3]
	s_add_u32 s2, s2, _ZL10iq2xs_grid@rel32@lo+4
	s_addc_u32 s3, s3, _ZL10iq2xs_grid@rel32@hi+12
	global_load_ushort v10, v1, s[0:1]
	global_load_ubyte v11, v3, s[0:1] offset:66
	s_getpc_b64 s[4:5]
	s_add_u32 s4, s4, _ZL12ksigns_iq2xs@rel32@lo+4
	s_addc_u32 s5, s5, _ZL12ksigns_iq2xs@rel32@hi+12
	v_mov_b32_e32 v5, s5
	v_lshlrev_b32_e32 v3, 6, v3
	v_and_b32_e32 v0, 0x3f8, v0
	v_and_b32_e32 v13, 0xfc, v8
	v_mov_b32_e32 v8, s8
	v_lshlrev_b32_e32 v0, 1, v0
	v_mov_b32_e32 v12, 1
	s_waitcnt vmcnt(2)
	v_and_b32_e32 v6, 0x1ff, v2
	v_lshrrev_b16_e32 v9, 9, v2
	v_lshlrev_b32_sdwa v4, v4, v6 dst_sel:DWORD dst_unused:UNUSED_PAD src0_sel:DWORD src1_sel:WORD_0
	global_load_dwordx2 v[6:7], v4, s[2:3]
	v_add_co_u32_e32 v4, vcc, s4, v9
	v_addc_co_u32_e32 v5, vcc, 0, v5, vcc
	global_load_ubyte v5, v[4:5], off
	v_add_co_u32_e32 v3, vcc, s7, v3
	v_addc_co_u32_e32 v9, vcc, 0, v8, vcc
	v_add_co_u32_e32 v8, vcc, v3, v0
	s_waitcnt vmcnt(3)
	v_cvt_f32_f16_e32 v0, v10
	s_waitcnt vmcnt(2)
	v_bfe_u32 v3, v11, v13, 4
	v_cvt_f32_ubyte0_e32 v3, v3
	v_add_f32_e32 v3, 0.5, v3
	v_mul_f32_e32 v0, v3, v0
	v_addc_co_u32_e32 v9, vcc, 0, v9, vcc
	v_mul_f32_e32 v0, 0x3e800000, v0
	s_movk_i32 s2, 0x7fff
	v_mov_b32_e32 v4, 0x7fc0
	s_mov_b32 s3, 0x5040100
	s_waitcnt vmcnt(1)
	v_cvt_f32_ubyte3_e32 v3, v6
	v_cvt_f32_ubyte2_e32 v10, v6
	v_mul_f32_e32 v3, v0, v3
	v_cvt_f32_ubyte1_e32 v11, v6
	v_mul_f32_e32 v10, v0, v10
	s_waitcnt vmcnt(0)
	v_and_b32_e32 v13, 8, v5
	v_and_b32_e32 v14, 4, v5
	v_cmp_eq_u16_e32 vcc, 0, v13
	v_and_b32_e32 v15, 2, v5
	v_cndmask_b32_e64 v3, -v3, v3, vcc
	v_cmp_eq_u16_e32 vcc, 0, v14
	v_cvt_f32_ubyte0_e32 v6, v6
	v_and_b32_e32 v19, 1, v5
	v_mul_f32_e32 v11, v0, v11
	v_cndmask_b32_e64 v10, -v10, v10, vcc
	v_cmp_eq_u16_e32 vcc, 0, v15
	v_cvt_f32_ubyte0_e32 v16, v7
	v_cvt_f32_ubyte1_e32 v17, v7
	v_cvt_f32_ubyte2_e32 v18, v7
	v_cvt_f32_ubyte3_e32 v7, v7
	v_and_b32_e32 v13, 16, v5
	v_mul_f32_e32 v6, v0, v6
	v_cndmask_b32_e64 v11, -v11, v11, vcc
	v_cmp_eq_u16_e32 vcc, 0, v19
	v_mul_f32_e32 v16, v0, v16
	v_mul_f32_e32 v17, v0, v17
	;; [unrolled: 1-line block ×4, first 2 shown]
	v_and_b32_e32 v7, 32, v5
	v_cndmask_b32_e64 v6, -v6, v6, vcc
	v_cmp_eq_u16_e32 vcc, 0, v13
	v_cndmask_b32_e64 v13, -v16, v16, vcc
	v_cmp_eq_u16_e32 vcc, 0, v7
	v_cmp_lt_i16_sdwa s[0:1], sext(v5), v1 src0_sel:BYTE_0 src1_sel:DWORD
	v_cndmask_b32_e64 v7, -v17, v17, vcc
	v_cmp_gt_i16_e32 vcc, 0, v2
	v_cndmask_b32_e64 v0, v0, -v0, s[0:1]
	v_cndmask_b32_e64 v2, v18, -v18, vcc
	v_bfe_u32 v1, v6, 16, 1
	v_bfe_u32 v18, v0, 16, 1
	;; [unrolled: 1-line block ×3, first 2 shown]
	v_cmp_o_f32_e32 vcc, v0, v0
	v_add3_u32 v1, v6, v1, s2
	v_add3_u32 v0, v0, v18, s2
	v_bfe_u32 v14, v10, 16, 1
	v_add3_u32 v5, v11, v5, s2
	v_lshrrev_b32_e32 v1, 16, v1
	v_cndmask_b32_sdwa v18, v4, v0, vcc dst_sel:DWORD dst_unused:UNUSED_PAD src0_sel:DWORD src1_sel:WORD_1
	v_cmp_o_f32_e32 vcc, v6, v6
	v_bfe_u32 v15, v3, 16, 1
	v_add3_u32 v14, v10, v14, s2
	v_lshrrev_b32_e32 v5, 16, v5
	v_cndmask_b32_e32 v0, v4, v1, vcc
	v_cmp_o_f32_e32 vcc, v11, v11
	v_bfe_u32 v16, v13, 16, 1
	v_add3_u32 v15, v3, v15, s2
	v_lshrrev_b32_e32 v14, 16, v14
	v_cndmask_b32_e32 v5, v4, v5, vcc
	v_cmp_o_f32_e32 vcc, v10, v10
	v_and_b32_sdwa v17, v2, v12 dst_sel:DWORD dst_unused:UNUSED_PAD src0_sel:WORD_1 src1_sel:DWORD
	v_and_b32_sdwa v12, v7, v12 dst_sel:DWORD dst_unused:UNUSED_PAD src0_sel:WORD_1 src1_sel:DWORD
	v_add3_u32 v16, v13, v16, s2
	v_lshrrev_b32_e32 v15, 16, v15
	v_cndmask_b32_e32 v1, v4, v14, vcc
	v_cmp_o_f32_e32 vcc, v3, v3
	v_add3_u32 v12, v7, v12, s2
	v_lshrrev_b32_e32 v16, 16, v16
	v_cndmask_b32_e32 v3, v4, v15, vcc
	v_cmp_o_f32_e32 vcc, v13, v13
	;; [unrolled: 4-line block ×3, first 2 shown]
	v_lshrrev_b32_e32 v17, 16, v17
	v_cndmask_b32_e32 v7, v4, v12, vcc
	v_cmp_o_f32_e32 vcc, v2, v2
	v_cndmask_b32_e32 v2, v4, v17, vcc
	v_perm_b32 v1, v3, v1, s3
	v_perm_b32 v0, v5, v0, s3
	;; [unrolled: 1-line block ×4, first 2 shown]
	global_store_dwordx4 v[8:9], v[0:3], off
	s_endpgm
	.section	.rodata,"a",@progbits
	.p2align	6, 0x0
	.amdhsa_kernel _ZL23dequantize_block_iq2_xsIN3c108BFloat16EEvPKvPT_
		.amdhsa_group_segment_fixed_size 0
		.amdhsa_private_segment_fixed_size 0
		.amdhsa_kernarg_size 16
		.amdhsa_user_sgpr_count 6
		.amdhsa_user_sgpr_private_segment_buffer 1
		.amdhsa_user_sgpr_dispatch_ptr 0
		.amdhsa_user_sgpr_queue_ptr 0
		.amdhsa_user_sgpr_kernarg_segment_ptr 1
		.amdhsa_user_sgpr_dispatch_id 0
		.amdhsa_user_sgpr_flat_scratch_init 0
		.amdhsa_user_sgpr_private_segment_size 0
		.amdhsa_uses_dynamic_stack 0
		.amdhsa_system_sgpr_private_segment_wavefront_offset 0
		.amdhsa_system_sgpr_workgroup_id_x 1
		.amdhsa_system_sgpr_workgroup_id_y 0
		.amdhsa_system_sgpr_workgroup_id_z 0
		.amdhsa_system_sgpr_workgroup_info 0
		.amdhsa_system_vgpr_workitem_id 0
		.amdhsa_next_free_vgpr 20
		.amdhsa_next_free_sgpr 9
		.amdhsa_reserve_vcc 1
		.amdhsa_reserve_flat_scratch 0
		.amdhsa_float_round_mode_32 0
		.amdhsa_float_round_mode_16_64 0
		.amdhsa_float_denorm_mode_32 3
		.amdhsa_float_denorm_mode_16_64 3
		.amdhsa_dx10_clamp 1
		.amdhsa_ieee_mode 1
		.amdhsa_fp16_overflow 0
		.amdhsa_exception_fp_ieee_invalid_op 0
		.amdhsa_exception_fp_denorm_src 0
		.amdhsa_exception_fp_ieee_div_zero 0
		.amdhsa_exception_fp_ieee_overflow 0
		.amdhsa_exception_fp_ieee_underflow 0
		.amdhsa_exception_fp_ieee_inexact 0
		.amdhsa_exception_int_div_zero 0
	.end_amdhsa_kernel
	.section	.text._ZL23dequantize_block_iq2_xsIN3c108BFloat16EEvPKvPT_,"axG",@progbits,_ZL23dequantize_block_iq2_xsIN3c108BFloat16EEvPKvPT_,comdat
.Lfunc_end49:
	.size	_ZL23dequantize_block_iq2_xsIN3c108BFloat16EEvPKvPT_, .Lfunc_end49-_ZL23dequantize_block_iq2_xsIN3c108BFloat16EEvPKvPT_
                                        ; -- End function
	.set _ZL23dequantize_block_iq2_xsIN3c108BFloat16EEvPKvPT_.num_vgpr, 20
	.set _ZL23dequantize_block_iq2_xsIN3c108BFloat16EEvPKvPT_.num_agpr, 0
	.set _ZL23dequantize_block_iq2_xsIN3c108BFloat16EEvPKvPT_.numbered_sgpr, 9
	.set _ZL23dequantize_block_iq2_xsIN3c108BFloat16EEvPKvPT_.num_named_barrier, 0
	.set _ZL23dequantize_block_iq2_xsIN3c108BFloat16EEvPKvPT_.private_seg_size, 0
	.set _ZL23dequantize_block_iq2_xsIN3c108BFloat16EEvPKvPT_.uses_vcc, 1
	.set _ZL23dequantize_block_iq2_xsIN3c108BFloat16EEvPKvPT_.uses_flat_scratch, 0
	.set _ZL23dequantize_block_iq2_xsIN3c108BFloat16EEvPKvPT_.has_dyn_sized_stack, 0
	.set _ZL23dequantize_block_iq2_xsIN3c108BFloat16EEvPKvPT_.has_recursion, 0
	.set _ZL23dequantize_block_iq2_xsIN3c108BFloat16EEvPKvPT_.has_indirect_call, 0
	.section	.AMDGPU.csdata,"",@progbits
; Kernel info:
; codeLenInByte = 788
; TotalNumSgprs: 13
; NumVgprs: 20
; ScratchSize: 0
; MemoryBound: 0
; FloatMode: 240
; IeeeMode: 1
; LDSByteSize: 0 bytes/workgroup (compile time only)
; SGPRBlocks: 1
; VGPRBlocks: 4
; NumSGPRsForWavesPerEU: 13
; NumVGPRsForWavesPerEU: 20
; Occupancy: 10
; WaveLimiterHint : 0
; COMPUTE_PGM_RSRC2:SCRATCH_EN: 0
; COMPUTE_PGM_RSRC2:USER_SGPR: 6
; COMPUTE_PGM_RSRC2:TRAP_HANDLER: 0
; COMPUTE_PGM_RSRC2:TGID_X_EN: 1
; COMPUTE_PGM_RSRC2:TGID_Y_EN: 0
; COMPUTE_PGM_RSRC2:TGID_Z_EN: 0
; COMPUTE_PGM_RSRC2:TIDIG_COMP_CNT: 0
	.section	.text._ZL24dequantize_block_iq3_xxsIN3c108BFloat16EEvPKvPT_,"axG",@progbits,_ZL24dequantize_block_iq3_xxsIN3c108BFloat16EEvPKvPT_,comdat
	.globl	_ZL24dequantize_block_iq3_xxsIN3c108BFloat16EEvPKvPT_ ; -- Begin function _ZL24dequantize_block_iq3_xxsIN3c108BFloat16EEvPKvPT_
	.p2align	8
	.type	_ZL24dequantize_block_iq3_xxsIN3c108BFloat16EEvPKvPT_,@function
_ZL24dequantize_block_iq3_xxsIN3c108BFloat16EEvPKvPT_: ; @_ZL24dequantize_block_iq3_xxsIN3c108BFloat16EEvPKvPT_
; %bb.0:
	s_load_dwordx4 s[0:3], s[4:5], 0x0
	s_lshl_b32 s4, s6, 8
	s_mov_b32 s5, 0
	s_lshl_b64 s[4:5], s[4:5], 1
	v_and_b32_e32 v2, 7, v0
	s_waitcnt lgkmcnt(0)
	s_add_u32 s4, s2, s4
	s_addc_u32 s5, s3, s5
	s_mul_hi_u32 s2, s6, 0x62
	s_mulk_i32 s6, 0x62
	s_add_u32 s0, s0, s6
	s_addc_u32 s1, s1, s2
	v_lshlrev_b32_e32 v3, 3, v2
	v_lshrrev_b32_e32 v5, 3, v0
	v_mov_b32_e32 v4, s1
	v_add_co_u32_e32 v3, vcc, s0, v3
	v_addc_co_u32_e32 v4, vcc, 0, v4, vcc
	v_lshlrev_b32_e32 v7, 1, v5
	v_add_co_u32_e32 v3, vcc, v3, v7
	v_addc_co_u32_e32 v4, vcc, 0, v4, vcc
	v_mov_b32_e32 v1, 0
	v_lshlrev_b32_e32 v6, 2, v2
	global_load_ushort v7, v[3:4], off offset:2
	global_load_ushort v8, v1, s[0:1]
	global_load_dword v9, v6, s[0:1] offset:66
	v_mov_b32_e32 v3, 2
	s_getpc_b64 s[0:1]
	s_add_u32 s0, s0, _ZL11iq3xxs_grid@rel32@lo+4
	s_addc_u32 s1, s1, _ZL11iq3xxs_grid@rel32@hi+12
	v_mul_u32_u24_e32 v4, 7, v5
	s_getpc_b64 s[2:3]
	s_add_u32 s2, s2, _ZL12ksigns_iq2xs@rel32@lo+4
	s_addc_u32 s3, s3, _ZL12ksigns_iq2xs@rel32@hi+12
	v_lshlrev_b32_e32 v2, 6, v2
	v_and_b32_e32 v0, 0x3f8, v0
	v_add_co_u32_e32 v2, vcc, s4, v2
	v_lshlrev_b32_e32 v0, 1, v0
	v_mov_b32_e32 v12, 1
	s_waitcnt vmcnt(2)
	v_lshlrev_b32_sdwa v6, v3, v7 dst_sel:DWORD dst_unused:UNUSED_PAD src0_sel:DWORD src1_sel:BYTE_1
	v_lshlrev_b32_sdwa v3, v3, v7 dst_sel:DWORD dst_unused:UNUSED_PAD src0_sel:DWORD src1_sel:BYTE_0
	s_waitcnt vmcnt(0)
	v_bfe_u32 v5, v9, v4, 7
	global_load_dword v10, v6, s[0:1]
	global_load_ubyte v4, v5, s[2:3]
	global_load_dword v11, v3, s[0:1]
	v_mov_b32_e32 v6, s5
	v_addc_co_u32_e32 v7, vcc, 0, v6, vcc
	v_add_co_u32_e32 v6, vcc, v2, v0
	v_cvt_f32_f16_e32 v0, v8
	v_lshrrev_b32_e32 v2, 28, v9
	v_cvt_f32_ubyte0_e32 v2, v2
	v_add_f32_e32 v2, 0.5, v2
	v_mul_f32_e32 v0, v2, v0
	v_addc_co_u32_e32 v7, vcc, 0, v7, vcc
	v_mul_f32_e32 v0, 0.5, v0
	s_movk_i32 s2, 0x7fff
	v_mov_b32_e32 v3, 0x7fc0
	s_mov_b32 s3, 0x5040100
	s_waitcnt vmcnt(2)
	v_cvt_f32_ubyte0_e32 v2, v10
	s_waitcnt vmcnt(1)
	v_and_b32_e32 v8, 16, v4
	v_and_b32_e32 v9, 32, v4
	v_cvt_f32_ubyte1_e32 v13, v10
	v_mul_f32_e32 v2, v0, v2
	v_cmp_eq_u16_e32 vcc, 0, v8
	v_cvt_f32_ubyte2_e32 v14, v10
	v_mul_f32_e32 v13, v0, v13
	v_cndmask_b32_e64 v2, -v2, v2, vcc
	v_cmp_eq_u16_e32 vcc, 0, v9
	s_waitcnt vmcnt(0)
	v_cvt_f32_ubyte3_e32 v15, v11
	v_and_b32_e32 v18, 8, v4
	v_mul_f32_e32 v14, v0, v14
	v_cndmask_b32_e64 v9, -v13, v13, vcc
	v_cmp_gt_u32_e32 vcc, 64, v5
	v_cvt_f32_ubyte2_e32 v16, v11
	v_cvt_f32_ubyte1_e32 v17, v11
	v_cvt_f32_ubyte0_e32 v11, v11
	v_and_b32_e32 v19, 4, v4
	v_cvt_f32_ubyte3_e32 v10, v10
	v_mul_f32_e32 v15, v0, v15
	v_cndmask_b32_e64 v5, -v14, v14, vcc
	v_cmp_eq_u16_e32 vcc, 0, v18
	v_and_b32_e32 v8, 2, v4
	v_mul_f32_e32 v11, v0, v11
	v_mul_f32_e32 v17, v0, v17
	;; [unrolled: 1-line block ×4, first 2 shown]
	v_cndmask_b32_e64 v13, -v15, v15, vcc
	v_cmp_eq_u16_e32 vcc, 0, v19
	v_cmp_lt_i16_sdwa s[0:1], sext(v4), v1 src0_sel:BYTE_0 src1_sel:DWORD
	v_and_b32_e32 v10, 1, v4
	v_cndmask_b32_e64 v14, -v16, v16, vcc
	v_cmp_eq_u16_e32 vcc, 0, v8
	v_cndmask_b32_e64 v0, v0, -v0, s[0:1]
	v_cndmask_b32_e64 v8, -v17, v17, vcc
	v_cmp_eq_u16_e32 vcc, 0, v10
	v_bfe_u32 v1, v2, 16, 1
	v_bfe_u32 v18, v0, 16, 1
	v_cndmask_b32_e64 v10, -v11, v11, vcc
	v_and_b32_sdwa v11, v9, v12 dst_sel:DWORD dst_unused:UNUSED_PAD src0_sel:WORD_1 src1_sel:DWORD
	v_cmp_o_f32_e32 vcc, v0, v0
	v_add3_u32 v1, v2, v1, s2
	v_add3_u32 v0, v0, v18, s2
	v_and_b32_sdwa v4, v5, v12 dst_sel:DWORD dst_unused:UNUSED_PAD src0_sel:WORD_1 src1_sel:DWORD
	v_add3_u32 v11, v9, v11, s2
	v_lshrrev_b32_e32 v1, 16, v1
	v_cndmask_b32_sdwa v18, v3, v0, vcc dst_sel:DWORD dst_unused:UNUSED_PAD src0_sel:DWORD src1_sel:WORD_1
	v_cmp_o_f32_e32 vcc, v2, v2
	v_bfe_u32 v12, v10, 16, 1
	v_add3_u32 v4, v5, v4, s2
	v_lshrrev_b32_e32 v11, 16, v11
	v_cndmask_b32_e32 v2, v3, v1, vcc
	v_cmp_o_f32_e32 vcc, v9, v9
	v_bfe_u32 v15, v8, 16, 1
	v_add3_u32 v12, v10, v12, s2
	v_lshrrev_b32_e32 v4, 16, v4
	v_cndmask_b32_e32 v9, v3, v11, vcc
	;; [unrolled: 5-line block ×4, first 2 shown]
	v_cmp_o_f32_e32 vcc, v8, v8
	v_add3_u32 v17, v13, v17, s2
	v_lshrrev_b32_e32 v16, 16, v16
	v_cndmask_b32_e32 v5, v3, v15, vcc
	v_cmp_o_f32_e32 vcc, v14, v14
	v_lshrrev_b32_e32 v17, 16, v17
	v_cndmask_b32_e32 v1, v3, v16, vcc
	v_cmp_o_f32_e32 vcc, v13, v13
	v_cndmask_b32_e32 v3, v3, v17, vcc
	v_perm_b32 v1, v3, v1, s3
	v_perm_b32 v0, v5, v0, s3
	;; [unrolled: 1-line block ×4, first 2 shown]
	global_store_dwordx4 v[6:7], v[0:3], off
	s_endpgm
	.section	.rodata,"a",@progbits
	.p2align	6, 0x0
	.amdhsa_kernel _ZL24dequantize_block_iq3_xxsIN3c108BFloat16EEvPKvPT_
		.amdhsa_group_segment_fixed_size 0
		.amdhsa_private_segment_fixed_size 0
		.amdhsa_kernarg_size 16
		.amdhsa_user_sgpr_count 6
		.amdhsa_user_sgpr_private_segment_buffer 1
		.amdhsa_user_sgpr_dispatch_ptr 0
		.amdhsa_user_sgpr_queue_ptr 0
		.amdhsa_user_sgpr_kernarg_segment_ptr 1
		.amdhsa_user_sgpr_dispatch_id 0
		.amdhsa_user_sgpr_flat_scratch_init 0
		.amdhsa_user_sgpr_private_segment_size 0
		.amdhsa_uses_dynamic_stack 0
		.amdhsa_system_sgpr_private_segment_wavefront_offset 0
		.amdhsa_system_sgpr_workgroup_id_x 1
		.amdhsa_system_sgpr_workgroup_id_y 0
		.amdhsa_system_sgpr_workgroup_id_z 0
		.amdhsa_system_sgpr_workgroup_info 0
		.amdhsa_system_vgpr_workitem_id 0
		.amdhsa_next_free_vgpr 20
		.amdhsa_next_free_sgpr 7
		.amdhsa_reserve_vcc 1
		.amdhsa_reserve_flat_scratch 0
		.amdhsa_float_round_mode_32 0
		.amdhsa_float_round_mode_16_64 0
		.amdhsa_float_denorm_mode_32 3
		.amdhsa_float_denorm_mode_16_64 3
		.amdhsa_dx10_clamp 1
		.amdhsa_ieee_mode 1
		.amdhsa_fp16_overflow 0
		.amdhsa_exception_fp_ieee_invalid_op 0
		.amdhsa_exception_fp_denorm_src 0
		.amdhsa_exception_fp_ieee_div_zero 0
		.amdhsa_exception_fp_ieee_overflow 0
		.amdhsa_exception_fp_ieee_underflow 0
		.amdhsa_exception_fp_ieee_inexact 0
		.amdhsa_exception_int_div_zero 0
	.end_amdhsa_kernel
	.section	.text._ZL24dequantize_block_iq3_xxsIN3c108BFloat16EEvPKvPT_,"axG",@progbits,_ZL24dequantize_block_iq3_xxsIN3c108BFloat16EEvPKvPT_,comdat
.Lfunc_end50:
	.size	_ZL24dequantize_block_iq3_xxsIN3c108BFloat16EEvPKvPT_, .Lfunc_end50-_ZL24dequantize_block_iq3_xxsIN3c108BFloat16EEvPKvPT_
                                        ; -- End function
	.set _ZL24dequantize_block_iq3_xxsIN3c108BFloat16EEvPKvPT_.num_vgpr, 20
	.set _ZL24dequantize_block_iq3_xxsIN3c108BFloat16EEvPKvPT_.num_agpr, 0
	.set _ZL24dequantize_block_iq3_xxsIN3c108BFloat16EEvPKvPT_.numbered_sgpr, 7
	.set _ZL24dequantize_block_iq3_xxsIN3c108BFloat16EEvPKvPT_.num_named_barrier, 0
	.set _ZL24dequantize_block_iq3_xxsIN3c108BFloat16EEvPKvPT_.private_seg_size, 0
	.set _ZL24dequantize_block_iq3_xxsIN3c108BFloat16EEvPKvPT_.uses_vcc, 1
	.set _ZL24dequantize_block_iq3_xxsIN3c108BFloat16EEvPKvPT_.uses_flat_scratch, 0
	.set _ZL24dequantize_block_iq3_xxsIN3c108BFloat16EEvPKvPT_.has_dyn_sized_stack, 0
	.set _ZL24dequantize_block_iq3_xxsIN3c108BFloat16EEvPKvPT_.has_recursion, 0
	.set _ZL24dequantize_block_iq3_xxsIN3c108BFloat16EEvPKvPT_.has_indirect_call, 0
	.section	.AMDGPU.csdata,"",@progbits
; Kernel info:
; codeLenInByte = 776
; TotalNumSgprs: 11
; NumVgprs: 20
; ScratchSize: 0
; MemoryBound: 0
; FloatMode: 240
; IeeeMode: 1
; LDSByteSize: 0 bytes/workgroup (compile time only)
; SGPRBlocks: 1
; VGPRBlocks: 4
; NumSGPRsForWavesPerEU: 11
; NumVGPRsForWavesPerEU: 20
; Occupancy: 10
; WaveLimiterHint : 0
; COMPUTE_PGM_RSRC2:SCRATCH_EN: 0
; COMPUTE_PGM_RSRC2:USER_SGPR: 6
; COMPUTE_PGM_RSRC2:TRAP_HANDLER: 0
; COMPUTE_PGM_RSRC2:TGID_X_EN: 1
; COMPUTE_PGM_RSRC2:TGID_Y_EN: 0
; COMPUTE_PGM_RSRC2:TGID_Z_EN: 0
; COMPUTE_PGM_RSRC2:TIDIG_COMP_CNT: 0
	.section	.text._ZL22dequantize_block_iq1_sIN3c108BFloat16EEvPKvPT_,"axG",@progbits,_ZL22dequantize_block_iq1_sIN3c108BFloat16EEvPKvPT_,comdat
	.globl	_ZL22dequantize_block_iq1_sIN3c108BFloat16EEvPKvPT_ ; -- Begin function _ZL22dequantize_block_iq1_sIN3c108BFloat16EEvPKvPT_
	.p2align	8
	.type	_ZL22dequantize_block_iq1_sIN3c108BFloat16EEvPKvPT_,@function
_ZL22dequantize_block_iq1_sIN3c108BFloat16EEvPKvPT_: ; @_ZL22dequantize_block_iq1_sIN3c108BFloat16EEvPKvPT_
; %bb.0:
	s_load_dwordx4 s[0:3], s[4:5], 0x0
	s_mov_b32 s7, 0
	s_lshl_b64 s[4:5], s[6:7], 9
	v_and_b32_e32 v2, 7, v0
	v_lshlrev_b32_e32 v3, 1, v2
	s_waitcnt lgkmcnt(0)
	s_add_u32 s2, s2, s4
	s_addc_u32 s3, s3, s5
	s_mul_i32 s5, s6, 50
	s_mul_hi_u32 s4, s6, 50
	s_add_u32 s0, s0, s5
	s_addc_u32 s1, s1, s4
	v_mov_b32_e32 v4, s1
	v_add_co_u32_e32 v5, vcc, s0, v3
	v_addc_co_u32_e32 v4, vcc, 0, v4, vcc
	global_load_ushort v6, v3, s[0:1] offset:34
	v_add_co_u32_e32 v3, vcc, v5, v3
	v_lshrrev_b32_e32 v1, 3, v0
	v_addc_co_u32_e32 v4, vcc, 0, v4, vcc
	v_add_co_u32_e32 v3, vcc, v3, v1
	v_addc_co_u32_e32 v4, vcc, 0, v4, vcc
	global_load_ubyte v3, v[3:4], off offset:2
	v_mov_b32_e32 v4, 0
	v_mul_u32_u24_e32 v1, 3, v1
	global_load_ushort v7, v4, s[0:1]
	s_movk_i32 s4, 0x700
	s_getpc_b64 s[0:1]
	s_add_u32 s0, s0, _ZL13iq1s_grid_gpu@rel32@lo+4
	s_addc_u32 s1, s1, _ZL13iq1s_grid_gpu@rel32@hi+12
	v_lshlrev_b32_e32 v2, 6, v2
	v_and_b32_e32 v0, 0x3f8, v0
	v_mov_b32_e32 v4, s3
	v_add_co_u32_e32 v2, vcc, s2, v2
	v_lshlrev_b32_e32 v0, 1, v0
	v_addc_co_u32_e32 v5, vcc, 0, v4, vcc
	v_add_co_u32_e32 v4, vcc, v2, v0
	v_addc_co_u32_e32 v5, vcc, 0, v5, vcc
	v_mov_b32_e32 v8, 0xbf900000
	v_mov_b32_e32 v9, 0xbf600000
	;; [unrolled: 1-line block ×3, first 2 shown]
	s_mov_b32 s5, 0x5040100
	s_waitcnt vmcnt(2)
	v_lshrrev_b32_sdwa v1, v1, v6 dst_sel:DWORD dst_unused:UNUSED_PAD src0_sel:DWORD src1_sel:WORD_0
	v_lshlrev_b32_e32 v1, 8, v1
	v_cmp_lt_i16_e32 vcc, -1, v6
	v_lshrrev_b16_e32 v6, 11, v6
	v_and_b32_e32 v6, 14, v6
	v_or_b32_e32 v6, 1, v6
	v_cvt_f32_ubyte0_e32 v6, v6
	v_cndmask_b32_e32 v0, v8, v9, vcc
	s_waitcnt vmcnt(1)
	v_and_or_b32 v1, v1, s4, v3
	v_lshlrev_b32_e32 v1, 3, v1
	global_load_dword v3, v1, s[0:1]
	s_waitcnt vmcnt(1)
	v_cvt_f32_f16_e32 v2, v7
	s_movk_i32 s4, 0x7fff
	v_mov_b32_e32 v1, 0x7fc0
	v_mul_f32_e32 v2, v2, v6
	s_waitcnt vmcnt(0)
	v_and_b32_e32 v6, 0xf0f0f0f, v3
	v_and_b32_e32 v7, 15, v3
	v_bfe_u32 v8, v3, 8, 4
	v_bfe_u32 v9, v3, 16, 4
	;; [unrolled: 1-line block ×4, first 2 shown]
	v_lshrrev_b32_e32 v13, 28, v3
	v_bfe_u32 v3, v3, 20, 4
	v_cvt_f32_ubyte0_e32 v7, v7
	v_cvt_f32_ubyte0_e32 v8, v8
	;; [unrolled: 1-line block ×3, first 2 shown]
	v_cvt_f32_ubyte3_e32 v6, v6
	v_cvt_f32_ubyte0_e32 v11, v11
	v_cvt_f32_ubyte0_e32 v12, v12
	v_cvt_f32_ubyte0_e32 v3, v3
	v_cvt_f32_ubyte0_e32 v13, v13
	v_add_f32_e32 v8, v0, v8
	v_add_f32_e32 v7, v0, v7
	;; [unrolled: 1-line block ×8, first 2 shown]
	v_mul_f32_e32 v3, v2, v7
	v_mul_f32_e32 v7, v2, v8
	;; [unrolled: 1-line block ×8, first 2 shown]
	v_and_b32_sdwa v12, v7, v10 dst_sel:DWORD dst_unused:UNUSED_PAD src0_sel:WORD_1 src1_sel:DWORD
	v_and_b32_sdwa v13, v3, v10 dst_sel:DWORD dst_unused:UNUSED_PAD src0_sel:WORD_1 src1_sel:DWORD
	;; [unrolled: 1-line block ×8, first 2 shown]
	v_cmp_o_f32_e32 vcc, v0, v0
	v_add3_u32 v13, v3, v13, s4
	v_add3_u32 v0, v0, v10, s4
	;; [unrolled: 1-line block ×3, first 2 shown]
	v_lshrrev_b32_e32 v10, 16, v13
	v_cndmask_b32_sdwa v0, v1, v0, vcc dst_sel:DWORD dst_unused:UNUSED_PAD src0_sel:DWORD src1_sel:WORD_1
	v_cmp_o_f32_e32 vcc, v3, v3
	v_add3_u32 v15, v8, v15, s4
	v_lshrrev_b32_e32 v12, 16, v12
	v_cndmask_b32_e32 v10, v1, v10, vcc
	v_cmp_o_f32_e32 vcc, v7, v7
	v_add3_u32 v14, v6, v14, s4
	v_lshrrev_b32_e32 v13, 16, v15
	v_cndmask_b32_e32 v7, v1, v12, vcc
	;; [unrolled: 4-line block ×4, first 2 shown]
	v_cmp_o_f32_e32 vcc, v9, v9
	v_cmp_o_f32_e64 s[0:1], v2, v2
	v_lshrrev_b32_e32 v16, 16, v16
	v_cndmask_b32_e32 v9, v1, v15, vcc
	v_cmp_o_f32_e32 vcc, v11, v11
	v_add3_u32 v2, v2, v18, s4
	v_cndmask_b32_e32 v11, v1, v16, vcc
	s_mov_b64 vcc, s[0:1]
	v_cndmask_b32_sdwa v1, v1, v2, vcc dst_sel:DWORD dst_unused:UNUSED_PAD src0_sel:DWORD src1_sel:WORD_1
	v_perm_b32 v3, v1, v0, s5
	v_perm_b32 v2, v11, v9, s5
	;; [unrolled: 1-line block ×4, first 2 shown]
	global_store_dwordx4 v[4:5], v[0:3], off
	s_endpgm
	.section	.rodata,"a",@progbits
	.p2align	6, 0x0
	.amdhsa_kernel _ZL22dequantize_block_iq1_sIN3c108BFloat16EEvPKvPT_
		.amdhsa_group_segment_fixed_size 0
		.amdhsa_private_segment_fixed_size 0
		.amdhsa_kernarg_size 16
		.amdhsa_user_sgpr_count 6
		.amdhsa_user_sgpr_private_segment_buffer 1
		.amdhsa_user_sgpr_dispatch_ptr 0
		.amdhsa_user_sgpr_queue_ptr 0
		.amdhsa_user_sgpr_kernarg_segment_ptr 1
		.amdhsa_user_sgpr_dispatch_id 0
		.amdhsa_user_sgpr_flat_scratch_init 0
		.amdhsa_user_sgpr_private_segment_size 0
		.amdhsa_uses_dynamic_stack 0
		.amdhsa_system_sgpr_private_segment_wavefront_offset 0
		.amdhsa_system_sgpr_workgroup_id_x 1
		.amdhsa_system_sgpr_workgroup_id_y 0
		.amdhsa_system_sgpr_workgroup_id_z 0
		.amdhsa_system_sgpr_workgroup_info 0
		.amdhsa_system_vgpr_workitem_id 0
		.amdhsa_next_free_vgpr 19
		.amdhsa_next_free_sgpr 8
		.amdhsa_reserve_vcc 1
		.amdhsa_reserve_flat_scratch 0
		.amdhsa_float_round_mode_32 0
		.amdhsa_float_round_mode_16_64 0
		.amdhsa_float_denorm_mode_32 3
		.amdhsa_float_denorm_mode_16_64 3
		.amdhsa_dx10_clamp 1
		.amdhsa_ieee_mode 1
		.amdhsa_fp16_overflow 0
		.amdhsa_exception_fp_ieee_invalid_op 0
		.amdhsa_exception_fp_denorm_src 0
		.amdhsa_exception_fp_ieee_div_zero 0
		.amdhsa_exception_fp_ieee_overflow 0
		.amdhsa_exception_fp_ieee_underflow 0
		.amdhsa_exception_fp_ieee_inexact 0
		.amdhsa_exception_int_div_zero 0
	.end_amdhsa_kernel
	.section	.text._ZL22dequantize_block_iq1_sIN3c108BFloat16EEvPKvPT_,"axG",@progbits,_ZL22dequantize_block_iq1_sIN3c108BFloat16EEvPKvPT_,comdat
.Lfunc_end51:
	.size	_ZL22dequantize_block_iq1_sIN3c108BFloat16EEvPKvPT_, .Lfunc_end51-_ZL22dequantize_block_iq1_sIN3c108BFloat16EEvPKvPT_
                                        ; -- End function
	.set _ZL22dequantize_block_iq1_sIN3c108BFloat16EEvPKvPT_.num_vgpr, 19
	.set _ZL22dequantize_block_iq1_sIN3c108BFloat16EEvPKvPT_.num_agpr, 0
	.set _ZL22dequantize_block_iq1_sIN3c108BFloat16EEvPKvPT_.numbered_sgpr, 8
	.set _ZL22dequantize_block_iq1_sIN3c108BFloat16EEvPKvPT_.num_named_barrier, 0
	.set _ZL22dequantize_block_iq1_sIN3c108BFloat16EEvPKvPT_.private_seg_size, 0
	.set _ZL22dequantize_block_iq1_sIN3c108BFloat16EEvPKvPT_.uses_vcc, 1
	.set _ZL22dequantize_block_iq1_sIN3c108BFloat16EEvPKvPT_.uses_flat_scratch, 0
	.set _ZL22dequantize_block_iq1_sIN3c108BFloat16EEvPKvPT_.has_dyn_sized_stack, 0
	.set _ZL22dequantize_block_iq1_sIN3c108BFloat16EEvPKvPT_.has_recursion, 0
	.set _ZL22dequantize_block_iq1_sIN3c108BFloat16EEvPKvPT_.has_indirect_call, 0
	.section	.AMDGPU.csdata,"",@progbits
; Kernel info:
; codeLenInByte = 724
; TotalNumSgprs: 12
; NumVgprs: 19
; ScratchSize: 0
; MemoryBound: 0
; FloatMode: 240
; IeeeMode: 1
; LDSByteSize: 0 bytes/workgroup (compile time only)
; SGPRBlocks: 1
; VGPRBlocks: 4
; NumSGPRsForWavesPerEU: 12
; NumVGPRsForWavesPerEU: 19
; Occupancy: 10
; WaveLimiterHint : 0
; COMPUTE_PGM_RSRC2:SCRATCH_EN: 0
; COMPUTE_PGM_RSRC2:USER_SGPR: 6
; COMPUTE_PGM_RSRC2:TRAP_HANDLER: 0
; COMPUTE_PGM_RSRC2:TGID_X_EN: 1
; COMPUTE_PGM_RSRC2:TGID_Y_EN: 0
; COMPUTE_PGM_RSRC2:TGID_Z_EN: 0
; COMPUTE_PGM_RSRC2:TIDIG_COMP_CNT: 0
	.section	.text._ZL23dequantize_block_iq4_nlIN3c108BFloat16EEvPKvPT_,"axG",@progbits,_ZL23dequantize_block_iq4_nlIN3c108BFloat16EEvPKvPT_,comdat
	.globl	_ZL23dequantize_block_iq4_nlIN3c108BFloat16EEvPKvPT_ ; -- Begin function _ZL23dequantize_block_iq4_nlIN3c108BFloat16EEvPKvPT_
	.p2align	8
	.type	_ZL23dequantize_block_iq4_nlIN3c108BFloat16EEvPKvPT_,@function
_ZL23dequantize_block_iq4_nlIN3c108BFloat16EEvPKvPT_: ; @_ZL23dequantize_block_iq4_nlIN3c108BFloat16EEvPKvPT_
; %bb.0:
	s_load_dwordx4 s[0:3], s[4:5], 0x0
	s_lshl_b32 s4, s6, 3
	s_mul_i32 s5, s6, 0x90
	s_mul_hi_u32 s4, s4, 18
	v_and_b32_e32 v1, 7, v0
	s_waitcnt lgkmcnt(0)
	s_add_u32 s0, s0, s5
	s_addc_u32 s1, s1, s4
	v_mad_u64_u32 v[3:4], s[0:1], v1, 18, s[0:1]
	v_lshrrev_b32_e32 v0, 1, v0
	v_and_b32_e32 v0, 0x1fc, v0
	v_add_co_u32_e32 v5, vcc, v3, v0
	v_addc_co_u32_e32 v6, vcc, 0, v4, vcc
	global_load_dword v7, v[5:6], off offset:2
	global_load_ushort v2, v[3:4], off
	s_mov_b32 s1, 0
	s_lshl_b32 s0, s6, 8
	s_lshl_b64 s[0:1], s[0:1], 1
	s_add_u32 s2, s2, s0
	v_mov_b32_e32 v3, 4
	s_addc_u32 s3, s3, s1
	s_getpc_b64 s[0:1]
	s_add_u32 s0, s0, _ZL13kvalues_iq4nl@rel32@lo+4
	s_addc_u32 s1, s1, _ZL13kvalues_iq4nl@rel32@hi+12
	v_mov_b32_e32 v8, s1
	v_lshlrev_b32_e32 v1, 6, v1
	v_lshlrev_b32_e32 v0, 1, v0
	s_movk_i32 s4, 0x7fff
	s_mov_b32 s5, 0x5040100
	s_waitcnt vmcnt(1)
	v_and_b32_e32 v5, 15, v7
	v_lshrrev_b16_e32 v6, 4, v7
	v_lshrrev_b16_sdwa v3, v3, v7 dst_sel:DWORD dst_unused:UNUSED_PAD src0_sel:DWORD src1_sel:BYTE_3
	v_lshrrev_b32_e32 v4, 8, v7
	v_bfe_u32 v9, v7, 8, 4
	v_bfe_u32 v10, v7, 16, 4
	;; [unrolled: 1-line block ×4, first 2 shown]
	global_load_sbyte v7, v5, s[0:1]
	v_and_b32_e32 v5, 15, v6
	v_add_co_u32_e32 v3, vcc, s0, v3
	v_lshrrev_b16_e32 v6, 4, v4
	v_addc_co_u32_e32 v4, vcc, 0, v8, vcc
	v_and_b32_e32 v5, 0xffff, v5
	v_and_b32_e32 v13, 15, v6
	v_add_co_u32_e32 v5, vcc, s0, v5
	v_addc_co_u32_e32 v6, vcc, 0, v8, vcc
	v_and_b32_e32 v13, 0xffff, v13
	global_load_sbyte v14, v[5:6], off
	global_load_sbyte v15, v9, s[0:1]
	v_add_co_u32_e32 v5, vcc, s0, v13
	v_addc_co_u32_e32 v6, vcc, 0, v8, vcc
	global_load_sbyte v8, v[5:6], off
	global_load_sbyte v9, v12, s[0:1]
	global_load_sbyte v13, v10, s[0:1]
	;; [unrolled: 1-line block ×3, first 2 shown]
	global_load_sbyte v17, v[3:4], off
	v_mov_b32_e32 v5, s3
	v_add_co_u32_e32 v1, vcc, s2, v1
	v_addc_co_u32_e32 v5, vcc, 0, v5, vcc
	s_waitcnt vmcnt(8)
	v_cvt_f32_f16_e32 v2, v2
	v_add_co_u32_e32 v0, vcc, v1, v0
	v_addc_co_u32_e32 v1, vcc, 0, v5, vcc
	v_mov_b32_e32 v3, 1
	v_mov_b32_e32 v4, 0x7fc0
	s_waitcnt vmcnt(7)
	v_cvt_f32_i32_e32 v6, v7
	v_mul_f32_e32 v6, v2, v6
	v_cmp_o_f32_e32 vcc, v6, v6
	s_waitcnt vmcnt(6)
	v_cvt_f32_i32_e32 v7, v14
	s_waitcnt vmcnt(5)
	v_cvt_f32_i32_e32 v5, v15
	;; [unrolled: 2-line block ×7, first 2 shown]
	v_and_b32_sdwa v13, v6, v3 dst_sel:DWORD dst_unused:UNUSED_PAD src0_sel:WORD_1 src1_sel:DWORD
	v_add3_u32 v13, v6, v13, s4
	v_mul_f32_e32 v5, v2, v5
	v_lshrrev_b32_e32 v13, 16, v13
	v_mul_f32_e32 v7, v2, v7
	v_and_b32_sdwa v14, v5, v3 dst_sel:DWORD dst_unused:UNUSED_PAD src0_sel:WORD_1 src1_sel:DWORD
	v_mul_f32_e32 v8, v2, v8
	v_mul_f32_e32 v10, v2, v10
	;; [unrolled: 1-line block ×5, first 2 shown]
	v_cndmask_b32_e32 v6, v4, v13, vcc
	v_and_b32_sdwa v13, v7, v3 dst_sel:DWORD dst_unused:UNUSED_PAD src0_sel:WORD_1 src1_sel:DWORD
	v_add3_u32 v11, v5, v14, s4
	v_and_b32_sdwa v14, v8, v3 dst_sel:DWORD dst_unused:UNUSED_PAD src0_sel:WORD_1 src1_sel:DWORD
	v_and_b32_sdwa v15, v9, v3 dst_sel:DWORD dst_unused:UNUSED_PAD src0_sel:WORD_1 src1_sel:DWORD
	;; [unrolled: 1-line block ×5, first 2 shown]
	v_cmp_o_f32_e32 vcc, v2, v2
	v_add3_u32 v14, v8, v14, s4
	v_add3_u32 v2, v2, v3, s4
	v_add3_u32 v13, v7, v13, s4
	v_lshrrev_b32_e32 v11, 16, v11
	v_add3_u32 v16, v10, v16, s4
	v_cmp_o_f32_e64 s[2:3], v5, v5
	v_lshrrev_b32_e32 v5, 16, v14
	v_cndmask_b32_sdwa v14, v4, v2, vcc dst_sel:DWORD dst_unused:UNUSED_PAD src0_sel:DWORD src1_sel:WORD_1
	v_cmp_o_f32_e32 vcc, v8, v8
	v_lshrrev_b32_e32 v13, 16, v13
	v_add3_u32 v15, v9, v15, s4
	v_cndmask_b32_e64 v3, v4, v11, s[2:3]
	v_cmp_o_f32_e64 s[2:3], v7, v7
	v_lshrrev_b32_e32 v11, 16, v16
	v_cndmask_b32_e32 v8, v4, v5, vcc
	v_cmp_o_f32_e32 vcc, v10, v10
	v_cmp_o_f32_e64 s[0:1], v12, v12
	v_cndmask_b32_e64 v7, v4, v13, s[2:3]
	v_lshrrev_b32_e32 v13, 16, v15
	v_cndmask_b32_e32 v5, v4, v11, vcc
	v_cmp_o_f32_e32 vcc, v9, v9
	v_add3_u32 v12, v12, v17, s4
	v_cndmask_b32_e32 v9, v4, v13, vcc
	s_mov_b64 vcc, s[0:1]
	v_perm_b32 v2, v3, v6, s5
	v_cndmask_b32_sdwa v4, v4, v12, vcc dst_sel:DWORD dst_unused:UNUSED_PAD src0_sel:DWORD src1_sel:WORD_1
	v_perm_b32 v3, v9, v5, s5
	v_perm_b32 v5, v4, v14, s5
	;; [unrolled: 1-line block ×3, first 2 shown]
	global_store_dwordx2 v[0:1], v[2:3], off
	global_store_dwordx2 v[0:1], v[4:5], off offset:32
	s_endpgm
	.section	.rodata,"a",@progbits
	.p2align	6, 0x0
	.amdhsa_kernel _ZL23dequantize_block_iq4_nlIN3c108BFloat16EEvPKvPT_
		.amdhsa_group_segment_fixed_size 0
		.amdhsa_private_segment_fixed_size 0
		.amdhsa_kernarg_size 16
		.amdhsa_user_sgpr_count 6
		.amdhsa_user_sgpr_private_segment_buffer 1
		.amdhsa_user_sgpr_dispatch_ptr 0
		.amdhsa_user_sgpr_queue_ptr 0
		.amdhsa_user_sgpr_kernarg_segment_ptr 1
		.amdhsa_user_sgpr_dispatch_id 0
		.amdhsa_user_sgpr_flat_scratch_init 0
		.amdhsa_user_sgpr_private_segment_size 0
		.amdhsa_uses_dynamic_stack 0
		.amdhsa_system_sgpr_private_segment_wavefront_offset 0
		.amdhsa_system_sgpr_workgroup_id_x 1
		.amdhsa_system_sgpr_workgroup_id_y 0
		.amdhsa_system_sgpr_workgroup_id_z 0
		.amdhsa_system_sgpr_workgroup_info 0
		.amdhsa_system_vgpr_workitem_id 0
		.amdhsa_next_free_vgpr 18
		.amdhsa_next_free_sgpr 7
		.amdhsa_reserve_vcc 1
		.amdhsa_reserve_flat_scratch 0
		.amdhsa_float_round_mode_32 0
		.amdhsa_float_round_mode_16_64 0
		.amdhsa_float_denorm_mode_32 3
		.amdhsa_float_denorm_mode_16_64 3
		.amdhsa_dx10_clamp 1
		.amdhsa_ieee_mode 1
		.amdhsa_fp16_overflow 0
		.amdhsa_exception_fp_ieee_invalid_op 0
		.amdhsa_exception_fp_denorm_src 0
		.amdhsa_exception_fp_ieee_div_zero 0
		.amdhsa_exception_fp_ieee_overflow 0
		.amdhsa_exception_fp_ieee_underflow 0
		.amdhsa_exception_fp_ieee_inexact 0
		.amdhsa_exception_int_div_zero 0
	.end_amdhsa_kernel
	.section	.text._ZL23dequantize_block_iq4_nlIN3c108BFloat16EEvPKvPT_,"axG",@progbits,_ZL23dequantize_block_iq4_nlIN3c108BFloat16EEvPKvPT_,comdat
.Lfunc_end52:
	.size	_ZL23dequantize_block_iq4_nlIN3c108BFloat16EEvPKvPT_, .Lfunc_end52-_ZL23dequantize_block_iq4_nlIN3c108BFloat16EEvPKvPT_
                                        ; -- End function
	.set _ZL23dequantize_block_iq4_nlIN3c108BFloat16EEvPKvPT_.num_vgpr, 18
	.set _ZL23dequantize_block_iq4_nlIN3c108BFloat16EEvPKvPT_.num_agpr, 0
	.set _ZL23dequantize_block_iq4_nlIN3c108BFloat16EEvPKvPT_.numbered_sgpr, 7
	.set _ZL23dequantize_block_iq4_nlIN3c108BFloat16EEvPKvPT_.num_named_barrier, 0
	.set _ZL23dequantize_block_iq4_nlIN3c108BFloat16EEvPKvPT_.private_seg_size, 0
	.set _ZL23dequantize_block_iq4_nlIN3c108BFloat16EEvPKvPT_.uses_vcc, 1
	.set _ZL23dequantize_block_iq4_nlIN3c108BFloat16EEvPKvPT_.uses_flat_scratch, 0
	.set _ZL23dequantize_block_iq4_nlIN3c108BFloat16EEvPKvPT_.has_dyn_sized_stack, 0
	.set _ZL23dequantize_block_iq4_nlIN3c108BFloat16EEvPKvPT_.has_recursion, 0
	.set _ZL23dequantize_block_iq4_nlIN3c108BFloat16EEvPKvPT_.has_indirect_call, 0
	.section	.AMDGPU.csdata,"",@progbits
; Kernel info:
; codeLenInByte = 760
; TotalNumSgprs: 11
; NumVgprs: 18
; ScratchSize: 0
; MemoryBound: 0
; FloatMode: 240
; IeeeMode: 1
; LDSByteSize: 0 bytes/workgroup (compile time only)
; SGPRBlocks: 1
; VGPRBlocks: 4
; NumSGPRsForWavesPerEU: 11
; NumVGPRsForWavesPerEU: 18
; Occupancy: 10
; WaveLimiterHint : 0
; COMPUTE_PGM_RSRC2:SCRATCH_EN: 0
; COMPUTE_PGM_RSRC2:USER_SGPR: 6
; COMPUTE_PGM_RSRC2:TRAP_HANDLER: 0
; COMPUTE_PGM_RSRC2:TGID_X_EN: 1
; COMPUTE_PGM_RSRC2:TGID_Y_EN: 0
; COMPUTE_PGM_RSRC2:TGID_Z_EN: 0
; COMPUTE_PGM_RSRC2:TIDIG_COMP_CNT: 0
	.section	.text._ZL22dequantize_block_iq3_sIN3c108BFloat16EEvPKvPT_,"axG",@progbits,_ZL22dequantize_block_iq3_sIN3c108BFloat16EEvPKvPT_,comdat
	.globl	_ZL22dequantize_block_iq3_sIN3c108BFloat16EEvPKvPT_ ; -- Begin function _ZL22dequantize_block_iq3_sIN3c108BFloat16EEvPKvPT_
	.p2align	8
	.type	_ZL22dequantize_block_iq3_sIN3c108BFloat16EEvPKvPT_,@function
_ZL22dequantize_block_iq3_sIN3c108BFloat16EEvPKvPT_: ; @_ZL22dequantize_block_iq3_sIN3c108BFloat16EEvPKvPT_
; %bb.0:
	s_load_dwordx4 s[0:3], s[4:5], 0x0
	s_lshl_b32 s4, s6, 8
	s_mov_b32 s5, 0
	s_lshl_b64 s[4:5], s[4:5], 1
	v_and_b32_e32 v1, 7, v0
	s_waitcnt lgkmcnt(0)
	s_add_u32 s2, s2, s4
	s_addc_u32 s3, s3, s5
	s_mul_hi_u32 s4, s6, 0x6e
	s_mulk_i32 s6, 0x6e
	s_add_u32 s0, s0, s6
	s_addc_u32 s1, s1, s4
	v_lshlrev_b32_e32 v3, 3, v1
	v_lshrrev_b32_e32 v2, 3, v0
	v_mov_b32_e32 v4, s1
	v_add_co_u32_e32 v3, vcc, s0, v3
	v_addc_co_u32_e32 v4, vcc, 0, v4, vcc
	v_lshlrev_b32_e32 v5, 1, v2
	v_add_co_u32_e32 v3, vcc, v3, v5
	v_addc_co_u32_e32 v4, vcc, 0, v4, vcc
	v_bfe_u32 v6, v0, 1, 2
	v_lshl_add_u32 v7, v1, 2, v2
	global_load_ushort v8, v[3:4], off offset:2
	global_load_ubyte v9, v6, s[0:1] offset:106
	global_load_ubyte v2, v7, s[0:1] offset:74
	;; [unrolled: 1-line block ×3, first 2 shown]
	v_mov_b32_e32 v3, 0
	global_load_ushort v7, v3, s[0:1]
	v_sub_u32_e32 v4, 8, v5
	v_sub_u32_e32 v5, 7, v5
	s_movk_i32 s4, 0x100
	s_getpc_b64 s[0:1]
	s_add_u32 s0, s0, _ZL10iq3xs_grid@rel32@lo+4
	s_addc_u32 s1, s1, _ZL10iq3xs_grid@rel32@hi+12
	v_lshlrev_b32_e32 v1, 6, v1
	v_add_co_u32_e32 v1, vcc, s2, v1
	v_mov_b32_e32 v11, 1
	s_mov_b32 s5, 0x5040100
	s_waitcnt vmcnt(4)
	v_and_b32_e32 v6, 0xff, v8
	v_lshrrev_b16_e32 v8, 8, v8
	s_waitcnt vmcnt(2)
	v_and_b32_e32 v13, 8, v2
	s_waitcnt vmcnt(1)
	v_lshlrev_b32_e32 v5, v5, v10
	v_and_or_b32 v5, v5, s4, v8
	v_lshlrev_b32_e32 v4, v4, v10
	v_lshlrev_b32_e32 v5, 2, v5
	global_load_dword v8, v5, s[0:1]
	v_and_or_b32 v4, v4, s4, v6
	v_lshlrev_b32_e32 v4, 2, v4
	global_load_dword v10, v4, s[0:1]
	v_and_b32_e32 v5, 0x3f8, v0
	v_mov_b32_e32 v6, s3
	v_lshlrev_b32_e32 v0, 2, v0
	v_lshlrev_b32_e32 v5, 1, v5
	v_addc_co_u32_e32 v6, vcc, 0, v6, vcc
	v_and_b32_e32 v0, 4, v0
	v_add_co_u32_e32 v5, vcc, v1, v5
	s_waitcnt vmcnt(2)
	v_cvt_f32_f16_e32 v1, v7
	v_bfe_u32 v0, v9, v0, 4
	v_cvt_f32_ubyte0_e32 v0, v0
	v_add_f32_e32 v0, 0.5, v0
	v_mul_f32_e32 v0, v0, v1
	v_addc_co_u32_e32 v6, vcc, 0, v6, vcc
	v_and_b32_e32 v7, 16, v2
	v_mul_f32_e32 v0, 0.5, v0
	v_and_b32_e32 v9, 32, v2
	v_cmp_eq_u16_e32 vcc, 0, v7
	v_and_b32_e32 v14, 4, v2
	v_and_b32_e32 v15, 2, v2
	;; [unrolled: 1-line block ×3, first 2 shown]
	v_cmp_lt_i16_sdwa s[0:1], sext(v2), v3 src0_sel:BYTE_0 src1_sel:DWORD
	s_movk_i32 s4, 0x7fff
	v_mov_b32_e32 v4, 0x7fc0
	s_waitcnt vmcnt(1)
	v_cvt_f32_ubyte0_e32 v1, v8
	v_cvt_f32_ubyte1_e32 v16, v8
	v_mul_f32_e32 v1, v0, v1
	s_waitcnt vmcnt(0)
	v_cvt_f32_ubyte3_e32 v18, v10
	v_mul_f32_e32 v16, v0, v16
	v_cndmask_b32_e64 v1, -v1, v1, vcc
	v_cmp_eq_u16_e32 vcc, 0, v9
	v_cvt_f32_ubyte2_e32 v19, v10
	v_mul_f32_e32 v18, v0, v18
	v_cndmask_b32_e64 v9, -v16, v16, vcc
	v_cmp_eq_u16_e32 vcc, 0, v13
	v_cvt_f32_ubyte2_e32 v17, v8
	v_cvt_f32_ubyte1_e32 v7, v10
	v_cvt_f32_ubyte0_e32 v10, v10
	v_cvt_f32_ubyte3_e32 v8, v8
	v_mul_f32_e32 v19, v0, v19
	v_cndmask_b32_e64 v13, -v18, v18, vcc
	v_cmp_eq_u16_e32 vcc, 0, v14
	v_mul_f32_e32 v17, v0, v17
	v_mul_f32_e32 v10, v0, v10
	;; [unrolled: 1-line block ×4, first 2 shown]
	v_and_b32_e32 v8, 1, v2
	v_cndmask_b32_e64 v14, -v19, v19, vcc
	v_cmp_eq_u16_e32 vcc, 0, v15
	v_cndmask_b32_e64 v7, -v7, v7, vcc
	v_cmp_eq_u16_e32 vcc, 0, v8
	;; [unrolled: 2-line block ×3, first 2 shown]
	v_cndmask_b32_e64 v10, -v17, v17, vcc
	v_cndmask_b32_e64 v0, v0, -v0, s[0:1]
	v_bfe_u32 v2, v1, 16, 1
	v_and_b32_sdwa v18, v0, v11 dst_sel:DWORD dst_unused:UNUSED_PAD src0_sel:WORD_1 src1_sel:DWORD
	v_and_b32_sdwa v11, v10, v11 dst_sel:DWORD dst_unused:UNUSED_PAD src0_sel:WORD_1 src1_sel:DWORD
	v_bfe_u32 v3, v9, 16, 1
	v_cmp_o_f32_e32 vcc, v10, v10
	v_add3_u32 v2, v1, v2, s4
	v_add3_u32 v10, v10, v11, s4
	v_bfe_u32 v12, v8, 16, 1
	v_add3_u32 v3, v9, v3, s4
	v_lshrrev_b32_e32 v2, 16, v2
	v_cndmask_b32_sdwa v10, v4, v10, vcc dst_sel:DWORD dst_unused:UNUSED_PAD src0_sel:DWORD src1_sel:WORD_1
	v_cmp_o_f32_e32 vcc, v1, v1
	v_bfe_u32 v15, v7, 16, 1
	v_add3_u32 v12, v8, v12, s4
	v_lshrrev_b32_e32 v3, 16, v3
	v_cndmask_b32_e32 v1, v4, v2, vcc
	v_cmp_o_f32_e32 vcc, v9, v9
	v_bfe_u32 v16, v14, 16, 1
	v_add3_u32 v15, v7, v15, s4
	v_lshrrev_b32_e32 v11, 16, v12
	v_cndmask_b32_e32 v2, v4, v3, vcc
	v_cmp_o_f32_e32 vcc, v8, v8
	v_bfe_u32 v17, v13, 16, 1
	v_add3_u32 v16, v14, v16, s4
	v_lshrrev_b32_e32 v12, 16, v15
	v_cndmask_b32_e32 v8, v4, v11, vcc
	v_cmp_o_f32_e32 vcc, v7, v7
	v_add3_u32 v17, v13, v17, s4
	v_lshrrev_b32_e32 v15, 16, v16
	v_cndmask_b32_e32 v7, v4, v12, vcc
	v_cmp_o_f32_e32 vcc, v14, v14
	v_cmp_o_f32_e64 s[0:1], v0, v0
	v_lshrrev_b32_e32 v16, 16, v17
	v_cndmask_b32_e32 v9, v4, v15, vcc
	v_cmp_o_f32_e32 vcc, v13, v13
	v_add3_u32 v0, v0, v18, s4
	v_cndmask_b32_e32 v11, v4, v16, vcc
	s_mov_b64 vcc, s[0:1]
	v_cndmask_b32_sdwa v0, v4, v0, vcc dst_sel:DWORD dst_unused:UNUSED_PAD src0_sel:DWORD src1_sel:WORD_1
	v_perm_b32 v3, v0, v10, s5
	v_perm_b32 v2, v2, v1, s5
	;; [unrolled: 1-line block ×4, first 2 shown]
	global_store_dwordx4 v[5:6], v[0:3], off
	s_endpgm
	.section	.rodata,"a",@progbits
	.p2align	6, 0x0
	.amdhsa_kernel _ZL22dequantize_block_iq3_sIN3c108BFloat16EEvPKvPT_
		.amdhsa_group_segment_fixed_size 0
		.amdhsa_private_segment_fixed_size 0
		.amdhsa_kernarg_size 16
		.amdhsa_user_sgpr_count 6
		.amdhsa_user_sgpr_private_segment_buffer 1
		.amdhsa_user_sgpr_dispatch_ptr 0
		.amdhsa_user_sgpr_queue_ptr 0
		.amdhsa_user_sgpr_kernarg_segment_ptr 1
		.amdhsa_user_sgpr_dispatch_id 0
		.amdhsa_user_sgpr_flat_scratch_init 0
		.amdhsa_user_sgpr_private_segment_size 0
		.amdhsa_uses_dynamic_stack 0
		.amdhsa_system_sgpr_private_segment_wavefront_offset 0
		.amdhsa_system_sgpr_workgroup_id_x 1
		.amdhsa_system_sgpr_workgroup_id_y 0
		.amdhsa_system_sgpr_workgroup_id_z 0
		.amdhsa_system_sgpr_workgroup_info 0
		.amdhsa_system_vgpr_workitem_id 0
		.amdhsa_next_free_vgpr 20
		.amdhsa_next_free_sgpr 7
		.amdhsa_reserve_vcc 1
		.amdhsa_reserve_flat_scratch 0
		.amdhsa_float_round_mode_32 0
		.amdhsa_float_round_mode_16_64 0
		.amdhsa_float_denorm_mode_32 3
		.amdhsa_float_denorm_mode_16_64 3
		.amdhsa_dx10_clamp 1
		.amdhsa_ieee_mode 1
		.amdhsa_fp16_overflow 0
		.amdhsa_exception_fp_ieee_invalid_op 0
		.amdhsa_exception_fp_denorm_src 0
		.amdhsa_exception_fp_ieee_div_zero 0
		.amdhsa_exception_fp_ieee_overflow 0
		.amdhsa_exception_fp_ieee_underflow 0
		.amdhsa_exception_fp_ieee_inexact 0
		.amdhsa_exception_int_div_zero 0
	.end_amdhsa_kernel
	.section	.text._ZL22dequantize_block_iq3_sIN3c108BFloat16EEvPKvPT_,"axG",@progbits,_ZL22dequantize_block_iq3_sIN3c108BFloat16EEvPKvPT_,comdat
.Lfunc_end53:
	.size	_ZL22dequantize_block_iq3_sIN3c108BFloat16EEvPKvPT_, .Lfunc_end53-_ZL22dequantize_block_iq3_sIN3c108BFloat16EEvPKvPT_
                                        ; -- End function
	.set _ZL22dequantize_block_iq3_sIN3c108BFloat16EEvPKvPT_.num_vgpr, 20
	.set _ZL22dequantize_block_iq3_sIN3c108BFloat16EEvPKvPT_.num_agpr, 0
	.set _ZL22dequantize_block_iq3_sIN3c108BFloat16EEvPKvPT_.numbered_sgpr, 7
	.set _ZL22dequantize_block_iq3_sIN3c108BFloat16EEvPKvPT_.num_named_barrier, 0
	.set _ZL22dequantize_block_iq3_sIN3c108BFloat16EEvPKvPT_.private_seg_size, 0
	.set _ZL22dequantize_block_iq3_sIN3c108BFloat16EEvPKvPT_.uses_vcc, 1
	.set _ZL22dequantize_block_iq3_sIN3c108BFloat16EEvPKvPT_.uses_flat_scratch, 0
	.set _ZL22dequantize_block_iq3_sIN3c108BFloat16EEvPKvPT_.has_dyn_sized_stack, 0
	.set _ZL22dequantize_block_iq3_sIN3c108BFloat16EEvPKvPT_.has_recursion, 0
	.set _ZL22dequantize_block_iq3_sIN3c108BFloat16EEvPKvPT_.has_indirect_call, 0
	.section	.AMDGPU.csdata,"",@progbits
; Kernel info:
; codeLenInByte = 828
; TotalNumSgprs: 11
; NumVgprs: 20
; ScratchSize: 0
; MemoryBound: 0
; FloatMode: 240
; IeeeMode: 1
; LDSByteSize: 0 bytes/workgroup (compile time only)
; SGPRBlocks: 1
; VGPRBlocks: 4
; NumSGPRsForWavesPerEU: 11
; NumVGPRsForWavesPerEU: 20
; Occupancy: 10
; WaveLimiterHint : 0
; COMPUTE_PGM_RSRC2:SCRATCH_EN: 0
; COMPUTE_PGM_RSRC2:USER_SGPR: 6
; COMPUTE_PGM_RSRC2:TRAP_HANDLER: 0
; COMPUTE_PGM_RSRC2:TGID_X_EN: 1
; COMPUTE_PGM_RSRC2:TGID_Y_EN: 0
; COMPUTE_PGM_RSRC2:TGID_Z_EN: 0
; COMPUTE_PGM_RSRC2:TIDIG_COMP_CNT: 0
	.section	.text._ZL22dequantize_block_iq2_sIN3c108BFloat16EEvPKvPT_,"axG",@progbits,_ZL22dequantize_block_iq2_sIN3c108BFloat16EEvPKvPT_,comdat
	.globl	_ZL22dequantize_block_iq2_sIN3c108BFloat16EEvPKvPT_ ; -- Begin function _ZL22dequantize_block_iq2_sIN3c108BFloat16EEvPKvPT_
	.p2align	8
	.type	_ZL22dequantize_block_iq2_sIN3c108BFloat16EEvPKvPT_,@function
_ZL22dequantize_block_iq2_sIN3c108BFloat16EEvPKvPT_: ; @_ZL22dequantize_block_iq2_sIN3c108BFloat16EEvPKvPT_
; %bb.0:
	s_load_dwordx4 s[0:3], s[4:5], 0x0
	s_lshl_b32 s4, s6, 8
	s_mov_b32 s5, 0
	s_lshl_b64 s[4:5], s[4:5], 1
	v_lshrrev_b32_e32 v4, 3, v0
	s_waitcnt lgkmcnt(0)
	s_add_u32 s2, s2, s4
	s_addc_u32 s3, s3, s5
	s_mul_hi_u32 s4, s6, 0x52
	s_mulk_i32 s6, 0x52
	s_add_u32 s0, s0, s6
	v_and_b32_e32 v3, 7, v0
	s_addc_u32 s1, s1, s4
	v_lshl_add_u32 v5, v3, 2, v4
	global_load_ubyte v6, v3, s[0:1] offset:66
	global_load_ubyte v7, v5, s[0:1] offset:2
	v_mov_b32_e32 v1, 0
	v_lshlrev_b32_e32 v4, 1, v4
	global_load_ushort v9, v1, s[0:1]
	global_load_ubyte v2, v5, s[0:1] offset:34
	global_load_ubyte v10, v3, s[0:1] offset:74
	v_sub_u32_e32 v4, 8, v4
	s_movk_i32 s4, 0x300
	s_getpc_b64 s[0:1]
	s_add_u32 s0, s0, _ZL9iq2s_grid@rel32@lo+4
	s_addc_u32 s1, s1, _ZL9iq2s_grid@rel32@hi+12
	v_lshlrev_b32_e32 v3, 6, v3
	v_mov_b32_e32 v8, s3
	v_add_co_u32_e32 v3, vcc, s2, v3
	v_addc_co_u32_e32 v8, vcc, 0, v8, vcc
	v_mov_b32_e32 v11, 1
	s_mov_b32 s5, 0x5040100
	s_waitcnt vmcnt(4)
	v_lshlrev_b32_e32 v4, v4, v6
	s_waitcnt vmcnt(3)
	v_and_or_b32 v4, v4, s4, v7
	v_lshlrev_b32_e32 v4, 3, v4
	global_load_dwordx2 v[5:6], v4, s[0:1]
	v_and_b32_e32 v7, 0x3f8, v0
	v_lshrrev_b32_e32 v0, 2, v0
	v_lshlrev_b32_e32 v7, 1, v7
	v_and_b32_e32 v0, 0xfc, v0
	v_add_co_u32_e32 v7, vcc, v3, v7
	s_waitcnt vmcnt(3)
	v_cvt_f32_f16_e32 v3, v9
	s_waitcnt vmcnt(1)
	v_bfe_u32 v0, v10, v0, 4
	v_cvt_f32_ubyte0_e32 v0, v0
	v_add_f32_e32 v0, 0.5, v0
	v_mul_f32_e32 v0, v0, v3
	v_addc_co_u32_e32 v8, vcc, 0, v8, vcc
	v_and_b32_e32 v9, 8, v2
	v_mul_f32_e32 v0, 0x3e800000, v0
	v_and_b32_e32 v10, 4, v2
	v_cmp_eq_u16_e32 vcc, 0, v9
	v_and_b32_e32 v12, 2, v2
	v_and_b32_e32 v13, 1, v2
	;; [unrolled: 1-line block ×4, first 2 shown]
	v_cmp_lt_i16_sdwa s[0:1], sext(v2), v1 src0_sel:BYTE_0 src1_sel:DWORD
	s_movk_i32 s4, 0x7fff
	v_mov_b32_e32 v4, 0x7fc0
	s_waitcnt vmcnt(0)
	v_cvt_f32_ubyte3_e32 v3, v5
	v_cvt_f32_ubyte2_e32 v14, v5
	v_mul_f32_e32 v3, v0, v3
	v_cvt_f32_ubyte1_e32 v15, v5
	v_mul_f32_e32 v14, v0, v14
	v_cndmask_b32_e64 v3, -v3, v3, vcc
	v_cmp_eq_u16_e32 vcc, 0, v10
	v_cvt_f32_ubyte0_e32 v5, v5
	v_mul_f32_e32 v15, v0, v15
	v_cndmask_b32_e64 v10, -v14, v14, vcc
	v_cmp_eq_u16_e32 vcc, 0, v12
	v_cvt_f32_ubyte0_e32 v16, v6
	v_mul_f32_e32 v5, v0, v5
	v_cndmask_b32_e64 v12, -v15, v15, vcc
	v_cmp_eq_u16_e32 vcc, 0, v13
	v_cvt_f32_ubyte1_e32 v17, v6
	v_cvt_f32_ubyte2_e32 v18, v6
	v_cvt_f32_ubyte3_e32 v6, v6
	v_mul_f32_e32 v16, v0, v16
	v_cndmask_b32_e64 v5, -v5, v5, vcc
	v_cmp_eq_u16_e32 vcc, 0, v19
	v_mul_f32_e32 v17, v0, v17
	v_mul_f32_e32 v18, v0, v18
	;; [unrolled: 1-line block ×3, first 2 shown]
	v_and_b32_e32 v6, 64, v2
	v_cndmask_b32_e64 v13, -v16, v16, vcc
	v_cmp_eq_u16_e32 vcc, 0, v9
	v_cndmask_b32_e64 v9, -v17, v17, vcc
	v_cmp_eq_u16_e32 vcc, 0, v6
	v_cndmask_b32_e64 v6, -v18, v18, vcc
	v_cndmask_b32_e64 v0, v0, -v0, s[0:1]
	v_bfe_u32 v1, v5, 16, 1
	v_and_b32_sdwa v18, v0, v11 dst_sel:DWORD dst_unused:UNUSED_PAD src0_sel:WORD_1 src1_sel:DWORD
	v_and_b32_sdwa v11, v6, v11 dst_sel:DWORD dst_unused:UNUSED_PAD src0_sel:WORD_1 src1_sel:DWORD
	v_bfe_u32 v2, v12, 16, 1
	v_cmp_o_f32_e32 vcc, v6, v6
	v_add3_u32 v1, v5, v1, s4
	v_add3_u32 v6, v6, v11, s4
	v_bfe_u32 v14, v10, 16, 1
	v_add3_u32 v2, v12, v2, s4
	v_lshrrev_b32_e32 v1, 16, v1
	v_cndmask_b32_sdwa v6, v4, v6, vcc dst_sel:DWORD dst_unused:UNUSED_PAD src0_sel:DWORD src1_sel:WORD_1
	v_cmp_o_f32_e32 vcc, v5, v5
	v_bfe_u32 v15, v3, 16, 1
	v_add3_u32 v14, v10, v14, s4
	v_lshrrev_b32_e32 v2, 16, v2
	v_cndmask_b32_e32 v5, v4, v1, vcc
	v_cmp_o_f32_e32 vcc, v12, v12
	v_bfe_u32 v16, v13, 16, 1
	v_add3_u32 v15, v3, v15, s4
	v_lshrrev_b32_e32 v11, 16, v14
	v_cndmask_b32_e32 v12, v4, v2, vcc
	;; [unrolled: 5-line block ×3, first 2 shown]
	v_cmp_o_f32_e32 vcc, v3, v3
	v_add3_u32 v17, v9, v17, s4
	v_lshrrev_b32_e32 v15, 16, v16
	v_cndmask_b32_e32 v10, v4, v14, vcc
	v_cmp_o_f32_e32 vcc, v13, v13
	v_cmp_o_f32_e64 s[0:1], v0, v0
	v_lshrrev_b32_e32 v16, 16, v17
	v_cndmask_b32_e32 v2, v4, v15, vcc
	v_cmp_o_f32_e32 vcc, v9, v9
	v_add3_u32 v0, v0, v18, s4
	v_cndmask_b32_e32 v9, v4, v16, vcc
	s_mov_b64 vcc, s[0:1]
	v_cndmask_b32_sdwa v0, v4, v0, vcc dst_sel:DWORD dst_unused:UNUSED_PAD src0_sel:DWORD src1_sel:WORD_1
	v_perm_b32 v3, v0, v6, s5
	v_perm_b32 v2, v9, v2, s5
	;; [unrolled: 1-line block ×4, first 2 shown]
	global_store_dwordx4 v[7:8], v[0:3], off
	s_endpgm
	.section	.rodata,"a",@progbits
	.p2align	6, 0x0
	.amdhsa_kernel _ZL22dequantize_block_iq2_sIN3c108BFloat16EEvPKvPT_
		.amdhsa_group_segment_fixed_size 0
		.amdhsa_private_segment_fixed_size 0
		.amdhsa_kernarg_size 16
		.amdhsa_user_sgpr_count 6
		.amdhsa_user_sgpr_private_segment_buffer 1
		.amdhsa_user_sgpr_dispatch_ptr 0
		.amdhsa_user_sgpr_queue_ptr 0
		.amdhsa_user_sgpr_kernarg_segment_ptr 1
		.amdhsa_user_sgpr_dispatch_id 0
		.amdhsa_user_sgpr_flat_scratch_init 0
		.amdhsa_user_sgpr_private_segment_size 0
		.amdhsa_uses_dynamic_stack 0
		.amdhsa_system_sgpr_private_segment_wavefront_offset 0
		.amdhsa_system_sgpr_workgroup_id_x 1
		.amdhsa_system_sgpr_workgroup_id_y 0
		.amdhsa_system_sgpr_workgroup_id_z 0
		.amdhsa_system_sgpr_workgroup_info 0
		.amdhsa_system_vgpr_workitem_id 0
		.amdhsa_next_free_vgpr 20
		.amdhsa_next_free_sgpr 7
		.amdhsa_reserve_vcc 1
		.amdhsa_reserve_flat_scratch 0
		.amdhsa_float_round_mode_32 0
		.amdhsa_float_round_mode_16_64 0
		.amdhsa_float_denorm_mode_32 3
		.amdhsa_float_denorm_mode_16_64 3
		.amdhsa_dx10_clamp 1
		.amdhsa_ieee_mode 1
		.amdhsa_fp16_overflow 0
		.amdhsa_exception_fp_ieee_invalid_op 0
		.amdhsa_exception_fp_denorm_src 0
		.amdhsa_exception_fp_ieee_div_zero 0
		.amdhsa_exception_fp_ieee_overflow 0
		.amdhsa_exception_fp_ieee_underflow 0
		.amdhsa_exception_fp_ieee_inexact 0
		.amdhsa_exception_int_div_zero 0
	.end_amdhsa_kernel
	.section	.text._ZL22dequantize_block_iq2_sIN3c108BFloat16EEvPKvPT_,"axG",@progbits,_ZL22dequantize_block_iq2_sIN3c108BFloat16EEvPKvPT_,comdat
.Lfunc_end54:
	.size	_ZL22dequantize_block_iq2_sIN3c108BFloat16EEvPKvPT_, .Lfunc_end54-_ZL22dequantize_block_iq2_sIN3c108BFloat16EEvPKvPT_
                                        ; -- End function
	.set _ZL22dequantize_block_iq2_sIN3c108BFloat16EEvPKvPT_.num_vgpr, 20
	.set _ZL22dequantize_block_iq2_sIN3c108BFloat16EEvPKvPT_.num_agpr, 0
	.set _ZL22dequantize_block_iq2_sIN3c108BFloat16EEvPKvPT_.numbered_sgpr, 7
	.set _ZL22dequantize_block_iq2_sIN3c108BFloat16EEvPKvPT_.num_named_barrier, 0
	.set _ZL22dequantize_block_iq2_sIN3c108BFloat16EEvPKvPT_.private_seg_size, 0
	.set _ZL22dequantize_block_iq2_sIN3c108BFloat16EEvPKvPT_.uses_vcc, 1
	.set _ZL22dequantize_block_iq2_sIN3c108BFloat16EEvPKvPT_.uses_flat_scratch, 0
	.set _ZL22dequantize_block_iq2_sIN3c108BFloat16EEvPKvPT_.has_dyn_sized_stack, 0
	.set _ZL22dequantize_block_iq2_sIN3c108BFloat16EEvPKvPT_.has_recursion, 0
	.set _ZL22dequantize_block_iq2_sIN3c108BFloat16EEvPKvPT_.has_indirect_call, 0
	.section	.AMDGPU.csdata,"",@progbits
; Kernel info:
; codeLenInByte = 760
; TotalNumSgprs: 11
; NumVgprs: 20
; ScratchSize: 0
; MemoryBound: 0
; FloatMode: 240
; IeeeMode: 1
; LDSByteSize: 0 bytes/workgroup (compile time only)
; SGPRBlocks: 1
; VGPRBlocks: 4
; NumSGPRsForWavesPerEU: 11
; NumVGPRsForWavesPerEU: 20
; Occupancy: 10
; WaveLimiterHint : 0
; COMPUTE_PGM_RSRC2:SCRATCH_EN: 0
; COMPUTE_PGM_RSRC2:USER_SGPR: 6
; COMPUTE_PGM_RSRC2:TRAP_HANDLER: 0
; COMPUTE_PGM_RSRC2:TGID_X_EN: 1
; COMPUTE_PGM_RSRC2:TGID_Y_EN: 0
; COMPUTE_PGM_RSRC2:TGID_Z_EN: 0
; COMPUTE_PGM_RSRC2:TIDIG_COMP_CNT: 0
	.section	.text._ZL23dequantize_block_iq4_xsIN3c108BFloat16EEvPKvPT_,"axG",@progbits,_ZL23dequantize_block_iq4_xsIN3c108BFloat16EEvPKvPT_,comdat
	.globl	_ZL23dequantize_block_iq4_xsIN3c108BFloat16EEvPKvPT_ ; -- Begin function _ZL23dequantize_block_iq4_xsIN3c108BFloat16EEvPKvPT_
	.p2align	8
	.type	_ZL23dequantize_block_iq4_xsIN3c108BFloat16EEvPKvPT_,@function
_ZL23dequantize_block_iq4_xsIN3c108BFloat16EEvPKvPT_: ; @_ZL23dequantize_block_iq4_xsIN3c108BFloat16EEvPKvPT_
; %bb.0:
	s_load_dwordx4 s[0:3], s[4:5], 0x0
	s_lshl_b32 s4, s6, 8
	s_mov_b32 s5, 0
	s_lshl_b64 s[4:5], s[4:5], 1
	v_and_b32_e32 v1, 7, v0
	s_waitcnt lgkmcnt(0)
	s_add_u32 s2, s2, s4
	s_addc_u32 s3, s3, s5
	s_mul_hi_u32 s4, s6, 0x88
	s_mulk_i32 s6, 0x88
	s_add_u32 s0, s0, s6
	s_addc_u32 s1, s1, s4
	v_lshlrev_b32_e32 v3, 4, v1
	v_lshrrev_b32_e32 v2, 1, v0
	v_mov_b32_e32 v4, s1
	v_add_co_u32_e32 v3, vcc, s0, v3
	v_and_b32_e32 v2, 0x1fc, v2
	v_addc_co_u32_e32 v4, vcc, 0, v4, vcc
	v_add_co_u32_e32 v3, vcc, v3, v2
	v_addc_co_u32_e32 v4, vcc, 0, v4, vcc
	global_load_dword v5, v[3:4], off offset:8
	v_mov_b32_e32 v6, 0
	v_bfe_u32 v7, v0, 1, 2
	global_load_dword v3, v6, s[0:1]
	global_load_ubyte v4, v7, s[0:1] offset:4
	v_mov_b32_e32 v6, 4
	s_getpc_b64 s[0:1]
	s_add_u32 s0, s0, _ZL13kvalues_iq4nl@rel32@lo+4
	s_addc_u32 s1, s1, _ZL13kvalues_iq4nl@rel32@hi+12
	v_mov_b32_e32 v9, s1
	v_lshlrev_b32_e32 v0, 2, v0
	v_and_b32_e32 v0, 4, v0
	v_lshlrev_b32_e32 v2, 1, v2
	s_movk_i32 s4, 0x7fff
	s_mov_b32 s5, 0x5040100
	s_waitcnt vmcnt(2)
	v_lshrrev_b32_e32 v7, 8, v5
	v_and_b32_e32 v10, 15, v5
	v_lshrrev_b16_e32 v8, 4, v5
	v_bfe_u32 v11, v5, 8, 4
	v_bfe_u32 v12, v5, 16, 4
	;; [unrolled: 1-line block ×4, first 2 shown]
	v_lshrrev_b16_sdwa v5, v6, v5 dst_sel:DWORD dst_unused:UNUSED_PAD src0_sel:DWORD src1_sel:BYTE_3
	v_and_b32_e32 v8, 15, v8
	v_add_co_u32_e32 v5, vcc, s0, v5
	v_lshrrev_b16_e32 v7, 4, v7
	v_addc_co_u32_e32 v6, vcc, 0, v9, vcc
	v_and_b32_e32 v8, 0xffff, v8
	v_and_b32_e32 v15, 15, v7
	v_add_co_u32_e32 v7, vcc, s0, v8
	v_addc_co_u32_e32 v8, vcc, 0, v9, vcc
	v_and_b32_e32 v15, 0xffff, v15
	global_load_sbyte v16, v10, s[0:1]
	global_load_sbyte v17, v[7:8], off
	global_load_sbyte v18, v11, s[0:1]
	v_add_co_u32_e32 v7, vcc, s0, v15
	v_addc_co_u32_e32 v8, vcc, 0, v9, vcc
	global_load_sbyte v9, v[7:8], off
	global_load_sbyte v10, v14, s[0:1]
	global_load_sbyte v11, v12, s[0:1]
	;; [unrolled: 1-line block ×3, first 2 shown]
	global_load_sbyte v19, v[5:6], off
	v_lshlrev_b32_e32 v7, 6, v1
	v_lshlrev_b32_e32 v1, 1, v1
	s_waitcnt vmcnt(9)
	v_lshrrev_b32_sdwa v1, v1, v3 dst_sel:DWORD dst_unused:UNUSED_PAD src0_sel:DWORD src1_sel:WORD_1
	s_waitcnt vmcnt(8)
	v_bfe_u32 v0, v4, v0, 4
	v_lshlrev_b32_e32 v1, 4, v1
	v_and_or_b32 v0, v1, 48, v0
	v_mov_b32_e32 v8, s3
	v_add_co_u32_e32 v7, vcc, s2, v7
	v_subrev_u32_e32 v0, 32, v0
	v_addc_co_u32_e32 v8, vcc, 0, v8, vcc
	v_cvt_f32_f16_e32 v12, v3
	v_cvt_f32_i32_e32 v3, v0
	v_add_co_u32_e32 v0, vcc, v7, v2
	v_addc_co_u32_e32 v1, vcc, 0, v8, vcc
	v_mul_f32_e32 v3, v12, v3
	v_mov_b32_e32 v5, 1
	v_mov_b32_e32 v6, 0x7fc0
	s_waitcnt vmcnt(7)
	v_cvt_f32_i32_e32 v2, v16
	s_waitcnt vmcnt(6)
	v_cvt_f32_i32_e32 v7, v17
	;; [unrolled: 2-line block ×8, first 2 shown]
	v_mul_f32_e32 v2, v3, v2
	v_and_b32_sdwa v13, v2, v5 dst_sel:DWORD dst_unused:UNUSED_PAD src0_sel:WORD_1 src1_sel:DWORD
	v_add3_u32 v13, v2, v13, s4
	v_mul_f32_e32 v4, v3, v4
	v_lshrrev_b32_e32 v13, 16, v13
	v_mul_f32_e32 v7, v3, v7
	v_and_b32_sdwa v14, v4, v5 dst_sel:DWORD dst_unused:UNUSED_PAD src0_sel:WORD_1 src1_sel:DWORD
	v_cmp_o_f32_e32 vcc, v2, v2
	v_mul_f32_e32 v8, v3, v8
	v_mul_f32_e32 v10, v3, v10
	;; [unrolled: 1-line block ×5, first 2 shown]
	v_cndmask_b32_e32 v2, v6, v13, vcc
	v_and_b32_sdwa v13, v7, v5 dst_sel:DWORD dst_unused:UNUSED_PAD src0_sel:WORD_1 src1_sel:DWORD
	v_add3_u32 v11, v4, v14, s4
	v_and_b32_sdwa v14, v8, v5 dst_sel:DWORD dst_unused:UNUSED_PAD src0_sel:WORD_1 src1_sel:DWORD
	v_and_b32_sdwa v15, v9, v5 dst_sel:DWORD dst_unused:UNUSED_PAD src0_sel:WORD_1 src1_sel:DWORD
	;; [unrolled: 1-line block ×5, first 2 shown]
	v_cmp_o_f32_e32 vcc, v3, v3
	v_add3_u32 v14, v8, v14, s4
	v_add3_u32 v3, v3, v5, s4
	;; [unrolled: 1-line block ×3, first 2 shown]
	v_lshrrev_b32_e32 v11, 16, v11
	v_add3_u32 v16, v10, v16, s4
	v_cmp_o_f32_e64 s[2:3], v4, v4
	v_lshrrev_b32_e32 v5, 16, v14
	v_cndmask_b32_sdwa v14, v6, v3, vcc dst_sel:DWORD dst_unused:UNUSED_PAD src0_sel:DWORD src1_sel:WORD_1
	v_cmp_o_f32_e32 vcc, v8, v8
	v_lshrrev_b32_e32 v13, 16, v13
	v_add3_u32 v15, v9, v15, s4
	v_cndmask_b32_e64 v4, v6, v11, s[2:3]
	v_cmp_o_f32_e64 s[2:3], v7, v7
	v_lshrrev_b32_e32 v11, 16, v16
	v_cndmask_b32_e32 v8, v6, v5, vcc
	v_cmp_o_f32_e32 vcc, v10, v10
	v_cmp_o_f32_e64 s[0:1], v12, v12
	v_cndmask_b32_e64 v7, v6, v13, s[2:3]
	v_lshrrev_b32_e32 v13, 16, v15
	v_cndmask_b32_e32 v3, v6, v11, vcc
	v_cmp_o_f32_e32 vcc, v9, v9
	v_add3_u32 v12, v12, v17, s4
	v_cndmask_b32_e32 v5, v6, v13, vcc
	s_mov_b64 vcc, s[0:1]
	v_perm_b32 v2, v4, v2, s5
	v_cndmask_b32_sdwa v4, v6, v12, vcc dst_sel:DWORD dst_unused:UNUSED_PAD src0_sel:DWORD src1_sel:WORD_1
	v_perm_b32 v3, v5, v3, s5
	v_perm_b32 v5, v4, v14, s5
	;; [unrolled: 1-line block ×3, first 2 shown]
	global_store_dwordx2 v[0:1], v[2:3], off
	global_store_dwordx2 v[0:1], v[4:5], off offset:32
	s_endpgm
	.section	.rodata,"a",@progbits
	.p2align	6, 0x0
	.amdhsa_kernel _ZL23dequantize_block_iq4_xsIN3c108BFloat16EEvPKvPT_
		.amdhsa_group_segment_fixed_size 0
		.amdhsa_private_segment_fixed_size 0
		.amdhsa_kernarg_size 16
		.amdhsa_user_sgpr_count 6
		.amdhsa_user_sgpr_private_segment_buffer 1
		.amdhsa_user_sgpr_dispatch_ptr 0
		.amdhsa_user_sgpr_queue_ptr 0
		.amdhsa_user_sgpr_kernarg_segment_ptr 1
		.amdhsa_user_sgpr_dispatch_id 0
		.amdhsa_user_sgpr_flat_scratch_init 0
		.amdhsa_user_sgpr_private_segment_size 0
		.amdhsa_uses_dynamic_stack 0
		.amdhsa_system_sgpr_private_segment_wavefront_offset 0
		.amdhsa_system_sgpr_workgroup_id_x 1
		.amdhsa_system_sgpr_workgroup_id_y 0
		.amdhsa_system_sgpr_workgroup_id_z 0
		.amdhsa_system_sgpr_workgroup_info 0
		.amdhsa_system_vgpr_workitem_id 0
		.amdhsa_next_free_vgpr 20
		.amdhsa_next_free_sgpr 7
		.amdhsa_reserve_vcc 1
		.amdhsa_reserve_flat_scratch 0
		.amdhsa_float_round_mode_32 0
		.amdhsa_float_round_mode_16_64 0
		.amdhsa_float_denorm_mode_32 3
		.amdhsa_float_denorm_mode_16_64 3
		.amdhsa_dx10_clamp 1
		.amdhsa_ieee_mode 1
		.amdhsa_fp16_overflow 0
		.amdhsa_exception_fp_ieee_invalid_op 0
		.amdhsa_exception_fp_denorm_src 0
		.amdhsa_exception_fp_ieee_div_zero 0
		.amdhsa_exception_fp_ieee_overflow 0
		.amdhsa_exception_fp_ieee_underflow 0
		.amdhsa_exception_fp_ieee_inexact 0
		.amdhsa_exception_int_div_zero 0
	.end_amdhsa_kernel
	.section	.text._ZL23dequantize_block_iq4_xsIN3c108BFloat16EEvPKvPT_,"axG",@progbits,_ZL23dequantize_block_iq4_xsIN3c108BFloat16EEvPKvPT_,comdat
.Lfunc_end55:
	.size	_ZL23dequantize_block_iq4_xsIN3c108BFloat16EEvPKvPT_, .Lfunc_end55-_ZL23dequantize_block_iq4_xsIN3c108BFloat16EEvPKvPT_
                                        ; -- End function
	.set _ZL23dequantize_block_iq4_xsIN3c108BFloat16EEvPKvPT_.num_vgpr, 20
	.set _ZL23dequantize_block_iq4_xsIN3c108BFloat16EEvPKvPT_.num_agpr, 0
	.set _ZL23dequantize_block_iq4_xsIN3c108BFloat16EEvPKvPT_.numbered_sgpr, 7
	.set _ZL23dequantize_block_iq4_xsIN3c108BFloat16EEvPKvPT_.num_named_barrier, 0
	.set _ZL23dequantize_block_iq4_xsIN3c108BFloat16EEvPKvPT_.private_seg_size, 0
	.set _ZL23dequantize_block_iq4_xsIN3c108BFloat16EEvPKvPT_.uses_vcc, 1
	.set _ZL23dequantize_block_iq4_xsIN3c108BFloat16EEvPKvPT_.uses_flat_scratch, 0
	.set _ZL23dequantize_block_iq4_xsIN3c108BFloat16EEvPKvPT_.has_dyn_sized_stack, 0
	.set _ZL23dequantize_block_iq4_xsIN3c108BFloat16EEvPKvPT_.has_recursion, 0
	.set _ZL23dequantize_block_iq4_xsIN3c108BFloat16EEvPKvPT_.has_indirect_call, 0
	.section	.AMDGPU.csdata,"",@progbits
; Kernel info:
; codeLenInByte = 840
; TotalNumSgprs: 11
; NumVgprs: 20
; ScratchSize: 0
; MemoryBound: 0
; FloatMode: 240
; IeeeMode: 1
; LDSByteSize: 0 bytes/workgroup (compile time only)
; SGPRBlocks: 1
; VGPRBlocks: 4
; NumSGPRsForWavesPerEU: 11
; NumVGPRsForWavesPerEU: 20
; Occupancy: 10
; WaveLimiterHint : 0
; COMPUTE_PGM_RSRC2:SCRATCH_EN: 0
; COMPUTE_PGM_RSRC2:USER_SGPR: 6
; COMPUTE_PGM_RSRC2:TRAP_HANDLER: 0
; COMPUTE_PGM_RSRC2:TGID_X_EN: 1
; COMPUTE_PGM_RSRC2:TGID_Y_EN: 0
; COMPUTE_PGM_RSRC2:TGID_Z_EN: 0
; COMPUTE_PGM_RSRC2:TIDIG_COMP_CNT: 0
	.section	.text._ZL22dequantize_block_iq1_mIN3c108BFloat16EEvPKvPT_,"axG",@progbits,_ZL22dequantize_block_iq1_mIN3c108BFloat16EEvPKvPT_,comdat
	.globl	_ZL22dequantize_block_iq1_mIN3c108BFloat16EEvPKvPT_ ; -- Begin function _ZL22dequantize_block_iq1_mIN3c108BFloat16EEvPKvPT_
	.p2align	8
	.type	_ZL22dequantize_block_iq1_mIN3c108BFloat16EEvPKvPT_,@function
_ZL22dequantize_block_iq1_mIN3c108BFloat16EEvPKvPT_: ; @_ZL22dequantize_block_iq1_mIN3c108BFloat16EEvPKvPT_
; %bb.0:
	s_load_dwordx4 s[0:3], s[4:5], 0x0
	s_mov_b32 s7, 0
	s_lshl_b64 s[4:5], s[6:7], 9
	v_and_b32_e32 v1, 7, v0
	v_lshlrev_b32_e32 v4, 2, v1
	s_waitcnt lgkmcnt(0)
	s_add_u32 s2, s2, s4
	s_addc_u32 s3, s3, s5
	s_mul_i32 s5, s6, 56
	s_mul_hi_u32 s4, s6, 56
	s_add_u32 s0, s0, s5
	s_addc_u32 s1, s1, s4
	v_mov_b32_e32 v5, s1
	v_add_co_u32_e32 v4, vcc, s0, v4
	v_lshrrev_b32_e32 v2, 3, v0
	v_addc_co_u32_e32 v5, vcc, 0, v5, vcc
	v_add_co_u32_e32 v4, vcc, v4, v2
	v_lshlrev_b32_e32 v7, 1, v1
	v_lshrrev_b32_e32 v8, 4, v0
	v_addc_co_u32_e32 v5, vcc, 0, v5, vcc
	v_add_u32_e32 v3, v7, v8
	global_load_ubyte v2, v[4:5], off
	global_load_ubyte v9, v3, s[0:1] offset:32
	v_mov_b32_e32 v4, 0
	global_load_dwordx2 v[5:6], v4, s[0:1] offset:48
	v_add_u16_e32 v4, v7, v8
	v_lshrrev_b16_e32 v4, 1, v4
	v_and_b32_e32 v4, 62, v4
	v_mov_b32_e32 v8, s1
	v_add_co_u32_e32 v7, vcc, s0, v4
	v_lshrrev_b32_e32 v4, 1, v0
	v_addc_co_u32_e32 v8, vcc, 0, v8, vcc
	v_and_b32_e32 v4, 4, v4
	global_load_ushort v10, v[7:8], off offset:48
	s_movk_i32 s4, 0x700
	s_getpc_b64 s[0:1]
	s_add_u32 s0, s0, _ZL13iq1s_grid_gpu@rel32@lo+4
	s_addc_u32 s1, s1, _ZL13iq1s_grid_gpu@rel32@hi+12
	v_lshlrev_b32_e32 v1, 6, v1
	v_and_b32_e32 v0, 0x3f8, v0
	v_mov_b32_e32 v7, s3
	v_add_co_u32_e32 v1, vcc, s2, v1
	v_lshlrev_b32_e32 v0, 1, v0
	v_addc_co_u32_e32 v8, vcc, 0, v7, vcc
	v_add_co_u32_e32 v7, vcc, v1, v0
	v_and_b32_e32 v3, 3, v3
	v_mul_u32_u24_e32 v3, 3, v3
	v_addc_co_u32_e32 v8, vcc, 0, v8, vcc
	v_mov_b32_e32 v12, 0xbf900000
	v_mov_b32_e32 v13, 0xbf600000
	s_mov_b32 s5, 0x5040100
	s_waitcnt vmcnt(2)
	v_lshrrev_b32_e32 v9, v4, v9
	v_lshlrev_b32_e32 v4, 8, v9
	v_and_or_b32 v2, v4, s4, v2
	v_lshlrev_b32_e32 v2, 3, v2
	global_load_dword v11, v2, s[0:1]
	s_mov_b32 s0, 0x8000c
	s_movk_i32 s1, 0xf0
	s_waitcnt vmcnt(2)
	v_pk_lshrrev_b16 v0, s0, v5
	v_pk_lshrrev_b16 v1, 4, v6
	v_and_b32_sdwa v5, v0, s1 dst_sel:DWORD dst_unused:UNUSED_PAD src0_sel:WORD_1 src1_sel:DWORD
	v_and_b32_e32 v1, 0xf0000f00, v1
	v_or_b32_e32 v0, v5, v0
	v_or_b32_e32 v0, v0, v1
	v_or_b32_sdwa v0, v0, v1 dst_sel:DWORD dst_unused:UNUSED_PAD src0_sel:DWORD src1_sel:WORD_1
	s_waitcnt vmcnt(1)
	v_lshrrev_b32_e32 v3, v3, v10
	v_cvt_f32_f16_e32 v0, v0
	v_lshlrev_b32_e32 v3, 1, v3
	v_and_or_b32 v1, v3, 14, 1
	v_and_b32_e32 v3, 8, v9
	v_cvt_f32_ubyte0_e32 v1, v1
	v_cmp_eq_u32_e32 vcc, 0, v3
	v_cndmask_b32_e32 v3, v12, v13, vcc
	v_mul_f32_e32 v0, v0, v1
	v_mov_b32_e32 v4, 1
	s_movk_i32 s4, 0x7fff
	v_mov_b32_e32 v2, 0x7fc0
	s_waitcnt vmcnt(0)
	v_and_b32_e32 v1, 0xf0f0f0f, v11
	v_and_b32_e32 v5, 15, v11
	v_bfe_u32 v6, v11, 8, 4
	v_bfe_u32 v9, v11, 16, 4
	;; [unrolled: 1-line block ×4, first 2 shown]
	v_lshrrev_b32_e32 v13, 28, v11
	v_bfe_u32 v11, v11, 20, 4
	v_cvt_f32_ubyte0_e32 v5, v5
	v_cvt_f32_ubyte0_e32 v6, v6
	;; [unrolled: 1-line block ×3, first 2 shown]
	v_cvt_f32_ubyte3_e32 v1, v1
	v_cvt_f32_ubyte0_e32 v10, v10
	v_cvt_f32_ubyte0_e32 v12, v12
	;; [unrolled: 1-line block ×4, first 2 shown]
	v_add_f32_e32 v6, v3, v6
	v_add_f32_e32 v5, v3, v5
	;; [unrolled: 1-line block ×8, first 2 shown]
	v_mul_f32_e32 v5, v0, v5
	v_mul_f32_e32 v6, v0, v6
	;; [unrolled: 1-line block ×8, first 2 shown]
	v_and_b32_sdwa v12, v6, v4 dst_sel:DWORD dst_unused:UNUSED_PAD src0_sel:WORD_1 src1_sel:DWORD
	v_and_b32_sdwa v13, v5, v4 dst_sel:DWORD dst_unused:UNUSED_PAD src0_sel:WORD_1 src1_sel:DWORD
	;; [unrolled: 1-line block ×8, first 2 shown]
	v_cmp_o_f32_e32 vcc, v3, v3
	v_add3_u32 v13, v5, v13, s4
	v_add3_u32 v3, v3, v4, s4
	;; [unrolled: 1-line block ×3, first 2 shown]
	v_lshrrev_b32_e32 v4, 16, v13
	v_cndmask_b32_sdwa v3, v2, v3, vcc dst_sel:DWORD dst_unused:UNUSED_PAD src0_sel:DWORD src1_sel:WORD_1
	v_cmp_o_f32_e32 vcc, v5, v5
	v_add3_u32 v15, v9, v15, s4
	v_lshrrev_b32_e32 v12, 16, v12
	v_cndmask_b32_e32 v4, v2, v4, vcc
	v_cmp_o_f32_e32 vcc, v6, v6
	v_add3_u32 v14, v1, v14, s4
	v_lshrrev_b32_e32 v13, 16, v15
	v_cndmask_b32_e32 v5, v2, v12, vcc
	;; [unrolled: 4-line block ×4, first 2 shown]
	v_cmp_o_f32_e32 vcc, v10, v10
	v_cmp_o_f32_e64 s[0:1], v0, v0
	v_lshrrev_b32_e32 v16, 16, v16
	v_cndmask_b32_e32 v9, v2, v15, vcc
	v_cmp_o_f32_e32 vcc, v11, v11
	v_add3_u32 v0, v0, v18, s4
	v_cndmask_b32_e32 v10, v2, v16, vcc
	s_mov_b64 vcc, s[0:1]
	v_cndmask_b32_sdwa v0, v2, v0, vcc dst_sel:DWORD dst_unused:UNUSED_PAD src0_sel:DWORD src1_sel:WORD_1
	v_perm_b32 v3, v0, v3, s5
	v_perm_b32 v2, v10, v9, s5
	v_perm_b32 v1, v1, v6, s5
	v_perm_b32 v0, v5, v4, s5
	global_store_dwordx4 v[7:8], v[0:3], off
	s_endpgm
	.section	.rodata,"a",@progbits
	.p2align	6, 0x0
	.amdhsa_kernel _ZL22dequantize_block_iq1_mIN3c108BFloat16EEvPKvPT_
		.amdhsa_group_segment_fixed_size 0
		.amdhsa_private_segment_fixed_size 0
		.amdhsa_kernarg_size 16
		.amdhsa_user_sgpr_count 6
		.amdhsa_user_sgpr_private_segment_buffer 1
		.amdhsa_user_sgpr_dispatch_ptr 0
		.amdhsa_user_sgpr_queue_ptr 0
		.amdhsa_user_sgpr_kernarg_segment_ptr 1
		.amdhsa_user_sgpr_dispatch_id 0
		.amdhsa_user_sgpr_flat_scratch_init 0
		.amdhsa_user_sgpr_private_segment_size 0
		.amdhsa_uses_dynamic_stack 0
		.amdhsa_system_sgpr_private_segment_wavefront_offset 0
		.amdhsa_system_sgpr_workgroup_id_x 1
		.amdhsa_system_sgpr_workgroup_id_y 0
		.amdhsa_system_sgpr_workgroup_id_z 0
		.amdhsa_system_sgpr_workgroup_info 0
		.amdhsa_system_vgpr_workitem_id 0
		.amdhsa_next_free_vgpr 19
		.amdhsa_next_free_sgpr 8
		.amdhsa_reserve_vcc 1
		.amdhsa_reserve_flat_scratch 0
		.amdhsa_float_round_mode_32 0
		.amdhsa_float_round_mode_16_64 0
		.amdhsa_float_denorm_mode_32 3
		.amdhsa_float_denorm_mode_16_64 3
		.amdhsa_dx10_clamp 1
		.amdhsa_ieee_mode 1
		.amdhsa_fp16_overflow 0
		.amdhsa_exception_fp_ieee_invalid_op 0
		.amdhsa_exception_fp_denorm_src 0
		.amdhsa_exception_fp_ieee_div_zero 0
		.amdhsa_exception_fp_ieee_overflow 0
		.amdhsa_exception_fp_ieee_underflow 0
		.amdhsa_exception_fp_ieee_inexact 0
		.amdhsa_exception_int_div_zero 0
	.end_amdhsa_kernel
	.section	.text._ZL22dequantize_block_iq1_mIN3c108BFloat16EEvPKvPT_,"axG",@progbits,_ZL22dequantize_block_iq1_mIN3c108BFloat16EEvPKvPT_,comdat
.Lfunc_end56:
	.size	_ZL22dequantize_block_iq1_mIN3c108BFloat16EEvPKvPT_, .Lfunc_end56-_ZL22dequantize_block_iq1_mIN3c108BFloat16EEvPKvPT_
                                        ; -- End function
	.set _ZL22dequantize_block_iq1_mIN3c108BFloat16EEvPKvPT_.num_vgpr, 19
	.set _ZL22dequantize_block_iq1_mIN3c108BFloat16EEvPKvPT_.num_agpr, 0
	.set _ZL22dequantize_block_iq1_mIN3c108BFloat16EEvPKvPT_.numbered_sgpr, 8
	.set _ZL22dequantize_block_iq1_mIN3c108BFloat16EEvPKvPT_.num_named_barrier, 0
	.set _ZL22dequantize_block_iq1_mIN3c108BFloat16EEvPKvPT_.private_seg_size, 0
	.set _ZL22dequantize_block_iq1_mIN3c108BFloat16EEvPKvPT_.uses_vcc, 1
	.set _ZL22dequantize_block_iq1_mIN3c108BFloat16EEvPKvPT_.uses_flat_scratch, 0
	.set _ZL22dequantize_block_iq1_mIN3c108BFloat16EEvPKvPT_.has_dyn_sized_stack, 0
	.set _ZL22dequantize_block_iq1_mIN3c108BFloat16EEvPKvPT_.has_recursion, 0
	.set _ZL22dequantize_block_iq1_mIN3c108BFloat16EEvPKvPT_.has_indirect_call, 0
	.section	.AMDGPU.csdata,"",@progbits
; Kernel info:
; codeLenInByte = 836
; TotalNumSgprs: 12
; NumVgprs: 19
; ScratchSize: 0
; MemoryBound: 0
; FloatMode: 240
; IeeeMode: 1
; LDSByteSize: 0 bytes/workgroup (compile time only)
; SGPRBlocks: 1
; VGPRBlocks: 4
; NumSGPRsForWavesPerEU: 12
; NumVGPRsForWavesPerEU: 19
; Occupancy: 10
; WaveLimiterHint : 0
; COMPUTE_PGM_RSRC2:SCRATCH_EN: 0
; COMPUTE_PGM_RSRC2:USER_SGPR: 6
; COMPUTE_PGM_RSRC2:TRAP_HANDLER: 0
; COMPUTE_PGM_RSRC2:TGID_X_EN: 1
; COMPUTE_PGM_RSRC2:TGID_Y_EN: 0
; COMPUTE_PGM_RSRC2:TGID_Z_EN: 0
; COMPUTE_PGM_RSRC2:TIDIG_COMP_CNT: 0
	.section	.text._ZL13quantize_q8_1IfEvPKT_Pvii,"axG",@progbits,_ZL13quantize_q8_1IfEvPKT_Pvii,comdat
	.globl	_ZL13quantize_q8_1IfEvPKT_Pvii  ; -- Begin function _ZL13quantize_q8_1IfEvPKT_Pvii
	.p2align	8
	.type	_ZL13quantize_q8_1IfEvPKT_Pvii,@function
_ZL13quantize_q8_1IfEvPKT_Pvii:         ; @_ZL13quantize_q8_1IfEvPKT_Pvii
; %bb.0:
	s_load_dword s2, s[4:5], 0x24
	s_load_dwordx2 s[0:1], s[4:5], 0x10
	s_add_u32 s8, s4, 24
	s_addc_u32 s9, s5, 0
	s_waitcnt lgkmcnt(0)
	s_and_b32 s2, s2, 0xffff
	s_mul_i32 s6, s6, s2
	v_add_u32_e32 v0, s6, v0
	v_cmp_gt_u32_e32 vcc, s1, v0
	s_and_saveexec_b64 s[2:3], vcc
	s_cbranch_execz .LBB57_7
; %bb.1:
	s_load_dword s6, s[8:9], 0xc
	s_load_dwordx2 s[2:3], s[4:5], 0x8
	v_cmp_gt_u32_e32 vcc, s0, v0
	v_mov_b32_e32 v2, 0
	v_mov_b32_e32 v3, 0
	s_waitcnt lgkmcnt(0)
	s_lshr_b32 s6, s6, 16
	s_mul_i32 s7, s7, s6
	v_add_u32_e32 v1, s7, v1
	s_and_saveexec_b64 s[6:7], vcc
	s_cbranch_execz .LBB57_3
; %bb.2:
	v_mad_u64_u32 v[3:4], s[8:9], v1, s0, v[0:1]
	s_load_dwordx2 s[4:5], s[4:5], 0x0
	v_mov_b32_e32 v4, 0
	v_lshlrev_b64 v[3:4], 2, v[3:4]
	s_waitcnt lgkmcnt(0)
	v_mov_b32_e32 v5, s5
	v_add_co_u32_e32 v3, vcc, s4, v3
	v_addc_co_u32_e32 v4, vcc, v5, v4, vcc
	global_load_dword v3, v[3:4], off
.LBB57_3:
	s_or_b64 exec, exec, s[6:7]
	v_mbcnt_lo_u32_b32 v5, -1, 0
	v_mbcnt_hi_u32_b32 v5, -1, v5
	v_and_b32_e32 v6, 0x60, v5
	v_add_u32_e32 v6, 32, v6
	v_xor_b32_e32 v7, 16, v5
	v_cmp_lt_i32_e32 vcc, v7, v6
	v_cndmask_b32_e32 v7, v5, v7, vcc
	s_waitcnt vmcnt(0)
	v_and_b32_e32 v4, 0x7fffffff, v3
	v_lshlrev_b32_e32 v7, 2, v7
	ds_bpermute_b32 v4, v7, v4
	v_max_f32_e64 v8, |v3|, |v3|
	s_mov_b32 s6, 0x42fe0000
	ds_bpermute_b32 v7, v7, v3
	s_brev_b32 s0, -2
	s_waitcnt lgkmcnt(1)
	v_max_f32_e32 v4, v4, v4
	v_max_f32_e32 v4, v8, v4
	v_xor_b32_e32 v8, 8, v5
	v_cmp_lt_i32_e32 vcc, v8, v6
	v_cndmask_b32_e32 v8, v5, v8, vcc
	v_lshlrev_b32_e32 v8, 2, v8
	ds_bpermute_b32 v9, v8, v4
	s_waitcnt lgkmcnt(1)
	v_add_f32_e32 v7, v3, v7
	ds_bpermute_b32 v8, v8, v7
	s_waitcnt lgkmcnt(1)
	v_max_f32_e32 v9, v9, v9
	v_max_f32_e32 v4, v4, v9
	v_xor_b32_e32 v9, 4, v5
	v_cmp_lt_i32_e32 vcc, v9, v6
	v_cndmask_b32_e32 v9, v5, v9, vcc
	v_lshlrev_b32_e32 v9, 2, v9
	ds_bpermute_b32 v10, v9, v4
	s_waitcnt lgkmcnt(1)
	v_add_f32_e32 v7, v7, v8
	s_waitcnt lgkmcnt(0)
	v_max_f32_e32 v10, v10, v10
	v_max_f32_e32 v4, v4, v10
	v_xor_b32_e32 v10, 2, v5
	v_cmp_lt_i32_e32 vcc, v10, v6
	v_cndmask_b32_e32 v10, v5, v10, vcc
	v_lshlrev_b32_e32 v10, 2, v10
	ds_bpermute_b32 v11, v10, v4
	s_waitcnt lgkmcnt(0)
	v_max_f32_e32 v11, v11, v11
	v_max_f32_e32 v4, v4, v11
	v_xor_b32_e32 v11, 1, v5
	v_cmp_lt_i32_e32 vcc, v11, v6
	v_cndmask_b32_e32 v5, v5, v11, vcc
	v_lshlrev_b32_e32 v5, 2, v5
	ds_bpermute_b32 v6, v5, v4
	s_waitcnt lgkmcnt(0)
	v_max_f32_e32 v6, v6, v6
	v_max_f32_e32 v11, v4, v6
	v_div_scale_f32 v4, s[4:5], s6, s6, v11
	v_div_scale_f32 v6, vcc, v11, s6, v11
	v_rcp_f32_e32 v12, v4
	v_fma_f32 v8, -v4, v12, 1.0
	v_fmac_f32_e32 v12, v8, v12
	v_mul_f32_e32 v8, v6, v12
	v_fma_f32 v13, -v4, v8, v6
	v_fmac_f32_e32 v8, v13, v12
	v_fma_f32 v4, -v4, v8, v6
	v_div_fmas_f32 v6, v4, v12, v8
	ds_bpermute_b32 v4, v9, v7
	v_cmp_neq_f32_e32 vcc, 0, v11
	s_waitcnt lgkmcnt(0)
	v_add_f32_e32 v4, v7, v4
	ds_bpermute_b32 v7, v10, v4
	s_waitcnt lgkmcnt(0)
	v_add_f32_e32 v4, v4, v7
	ds_bpermute_b32 v5, v5, v4
	v_div_fixup_f32 v6, v6, s6, v11
	s_and_saveexec_b64 s[4:5], vcc
	s_cbranch_execz .LBB57_5
; %bb.4:
	v_div_scale_f32 v2, s[6:7], v6, v6, v3
	v_div_scale_f32 v7, vcc, v3, v6, v3
	v_rcp_f32_e32 v8, v2
	v_fma_f32 v9, -v2, v8, 1.0
	v_fmac_f32_e32 v8, v9, v8
	v_mul_f32_e32 v9, v7, v8
	v_fma_f32 v10, -v2, v9, v7
	v_fmac_f32_e32 v9, v10, v8
	v_fma_f32 v2, -v2, v9, v7
	v_div_fmas_f32 v2, v2, v8, v9
	v_div_fixup_f32 v2, v2, v6, v3
	v_trunc_f32_e32 v3, v2
	v_sub_f32_e32 v7, v2, v3
	v_cmp_ge_f32_e64 s[6:7], |v7|, 0.5
	v_cndmask_b32_e64 v7, 0, 1.0, s[6:7]
	v_bfi_b32 v2, s0, v7, v2
	v_add_f32_e32 v2, v3, v2
	v_cvt_i32_f32_e32 v2, v2
.LBB57_5:
	s_or_b64 exec, exec, s[4:5]
	v_mad_u64_u32 v[7:8], s[0:1], v1, s1, v[0:1]
	v_ashrrev_i32_e32 v0, 31, v7
	v_lshrrev_b32_e32 v0, 27, v0
	v_add_u32_e32 v0, v7, v0
	v_ashrrev_i32_e32 v1, 5, v0
	v_and_b32_e32 v3, 0xffffffe0, v0
	v_mad_i64_i32 v[0:1], s[0:1], v1, 36, s[2:3]
	v_sub_u32_e32 v3, v7, v3
	v_ashrrev_i32_e32 v8, 31, v3
	v_add_co_u32_e32 v7, vcc, v0, v3
	v_addc_co_u32_e32 v8, vcc, v1, v8, vcc
	v_cmp_gt_i32_e32 vcc, 1, v3
	global_store_byte v[7:8], v2, off offset:4
	s_and_b64 exec, exec, vcc
	s_cbranch_execz .LBB57_7
; %bb.6:
	s_waitcnt lgkmcnt(0)
	v_add_f32_e32 v2, v4, v5
	v_cvt_f16_f32_e32 v2, v2
	v_cvt_f16_f32_e32 v3, v6
	v_pack_b32_f16 v2, v3, v2
	global_store_dword v[0:1], v2, off
.LBB57_7:
	s_endpgm
	.section	.rodata,"a",@progbits
	.p2align	6, 0x0
	.amdhsa_kernel _ZL13quantize_q8_1IfEvPKT_Pvii
		.amdhsa_group_segment_fixed_size 0
		.amdhsa_private_segment_fixed_size 0
		.amdhsa_kernarg_size 280
		.amdhsa_user_sgpr_count 6
		.amdhsa_user_sgpr_private_segment_buffer 1
		.amdhsa_user_sgpr_dispatch_ptr 0
		.amdhsa_user_sgpr_queue_ptr 0
		.amdhsa_user_sgpr_kernarg_segment_ptr 1
		.amdhsa_user_sgpr_dispatch_id 0
		.amdhsa_user_sgpr_flat_scratch_init 0
		.amdhsa_user_sgpr_private_segment_size 0
		.amdhsa_uses_dynamic_stack 0
		.amdhsa_system_sgpr_private_segment_wavefront_offset 0
		.amdhsa_system_sgpr_workgroup_id_x 1
		.amdhsa_system_sgpr_workgroup_id_y 1
		.amdhsa_system_sgpr_workgroup_id_z 0
		.amdhsa_system_sgpr_workgroup_info 0
		.amdhsa_system_vgpr_workitem_id 1
		.amdhsa_next_free_vgpr 14
		.amdhsa_next_free_sgpr 10
		.amdhsa_reserve_vcc 1
		.amdhsa_reserve_flat_scratch 0
		.amdhsa_float_round_mode_32 0
		.amdhsa_float_round_mode_16_64 0
		.amdhsa_float_denorm_mode_32 3
		.amdhsa_float_denorm_mode_16_64 3
		.amdhsa_dx10_clamp 1
		.amdhsa_ieee_mode 1
		.amdhsa_fp16_overflow 0
		.amdhsa_exception_fp_ieee_invalid_op 0
		.amdhsa_exception_fp_denorm_src 0
		.amdhsa_exception_fp_ieee_div_zero 0
		.amdhsa_exception_fp_ieee_overflow 0
		.amdhsa_exception_fp_ieee_underflow 0
		.amdhsa_exception_fp_ieee_inexact 0
		.amdhsa_exception_int_div_zero 0
	.end_amdhsa_kernel
	.section	.text._ZL13quantize_q8_1IfEvPKT_Pvii,"axG",@progbits,_ZL13quantize_q8_1IfEvPKT_Pvii,comdat
.Lfunc_end57:
	.size	_ZL13quantize_q8_1IfEvPKT_Pvii, .Lfunc_end57-_ZL13quantize_q8_1IfEvPKT_Pvii
                                        ; -- End function
	.set _ZL13quantize_q8_1IfEvPKT_Pvii.num_vgpr, 14
	.set _ZL13quantize_q8_1IfEvPKT_Pvii.num_agpr, 0
	.set _ZL13quantize_q8_1IfEvPKT_Pvii.numbered_sgpr, 10
	.set _ZL13quantize_q8_1IfEvPKT_Pvii.num_named_barrier, 0
	.set _ZL13quantize_q8_1IfEvPKT_Pvii.private_seg_size, 0
	.set _ZL13quantize_q8_1IfEvPKT_Pvii.uses_vcc, 1
	.set _ZL13quantize_q8_1IfEvPKT_Pvii.uses_flat_scratch, 0
	.set _ZL13quantize_q8_1IfEvPKT_Pvii.has_dyn_sized_stack, 0
	.set _ZL13quantize_q8_1IfEvPKT_Pvii.has_recursion, 0
	.set _ZL13quantize_q8_1IfEvPKT_Pvii.has_indirect_call, 0
	.section	.AMDGPU.csdata,"",@progbits
; Kernel info:
; codeLenInByte = 788
; TotalNumSgprs: 14
; NumVgprs: 14
; ScratchSize: 0
; MemoryBound: 0
; FloatMode: 240
; IeeeMode: 1
; LDSByteSize: 0 bytes/workgroup (compile time only)
; SGPRBlocks: 1
; VGPRBlocks: 3
; NumSGPRsForWavesPerEU: 14
; NumVGPRsForWavesPerEU: 14
; Occupancy: 10
; WaveLimiterHint : 0
; COMPUTE_PGM_RSRC2:SCRATCH_EN: 0
; COMPUTE_PGM_RSRC2:USER_SGPR: 6
; COMPUTE_PGM_RSRC2:TRAP_HANDLER: 0
; COMPUTE_PGM_RSRC2:TGID_X_EN: 1
; COMPUTE_PGM_RSRC2:TGID_Y_EN: 1
; COMPUTE_PGM_RSRC2:TGID_Z_EN: 0
; COMPUTE_PGM_RSRC2:TIDIG_COMP_CNT: 1
	.section	.text._ZL13mul_mat_vec_qIfLi32ELi4E10block_q4_0Li2EXadL_ZL17vec_dot_q4_0_q8_1PKvPK10block_q8_1RKiEEEvS2_S2_PT_iii,"axG",@progbits,_ZL13mul_mat_vec_qIfLi32ELi4E10block_q4_0Li2EXadL_ZL17vec_dot_q4_0_q8_1PKvPK10block_q8_1RKiEEEvS2_S2_PT_iii,comdat
	.globl	_ZL13mul_mat_vec_qIfLi32ELi4E10block_q4_0Li2EXadL_ZL17vec_dot_q4_0_q8_1PKvPK10block_q8_1RKiEEEvS2_S2_PT_iii ; -- Begin function _ZL13mul_mat_vec_qIfLi32ELi4E10block_q4_0Li2EXadL_ZL17vec_dot_q4_0_q8_1PKvPK10block_q8_1RKiEEEvS2_S2_PT_iii
	.p2align	8
	.type	_ZL13mul_mat_vec_qIfLi32ELi4E10block_q4_0Li2EXadL_ZL17vec_dot_q4_0_q8_1PKvPK10block_q8_1RKiEEEvS2_S2_PT_iii,@function
_ZL13mul_mat_vec_qIfLi32ELi4E10block_q4_0Li2EXadL_ZL17vec_dot_q4_0_q8_1PKvPK10block_q8_1RKiEEEvS2_S2_PT_iii: ; @_ZL13mul_mat_vec_qIfLi32ELi4E10block_q4_0Li2EXadL_ZL17vec_dot_q4_0_q8_1PKvPK10block_q8_1RKiEEEvS2_S2_PT_iii
; %bb.0:
	s_load_dword s8, s[4:5], 0x34
	s_load_dwordx4 s[0:3], s[4:5], 0x18
	s_waitcnt lgkmcnt(0)
	s_lshr_b32 s3, s8, 16
	s_mul_i32 s6, s6, s3
	v_add_u32_e32 v1, s6, v1
	s_cmp_lt_u32 s7, s2
	v_cmp_gt_u32_e32 vcc, s1, v1
	s_cselect_b64 s[2:3], -1, 0
	s_and_b64 s[2:3], s[2:3], vcc
	s_and_saveexec_b64 s[8:9], s[2:3]
	s_cbranch_execz .LBB58_7
; %bb.1:
	s_load_dwordx2 s[2:3], s[4:5], 0x10
	s_ashr_i32 s6, s0, 31
	s_lshr_b32 s6, s6, 27
	s_add_i32 s6, s0, s6
	s_ashr_i32 s6, s6, 5
	v_lshrrev_b32_e32 v3, 1, v0
	v_cmp_gt_u32_e32 vcc, s6, v3
	v_mov_b32_e32 v2, 0
	s_and_saveexec_b64 s[12:13], vcc
	s_cbranch_execz .LBB58_5
; %bb.2:
	s_addk_i32 s0, 0x1ff
	s_load_dwordx4 s[8:11], s[4:5], 0x0
	s_ashr_i32 s4, s0, 31
	s_lshr_b32 s4, s4, 23
	s_add_i32 s0, s0, s4
	v_mul_lo_u32 v4, v1, s6
	s_ashr_i32 s0, s0, 9
	s_mul_i32 s0, s7, s0
	v_lshlrev_b32_e32 v2, 3, v0
	s_lshl_b32 s0, s0, 4
	v_and_b32_e32 v5, 8, v2
	v_mov_b32_e32 v2, 0
	s_mov_b64 s[4:5], 0
.LBB58_3:                               ; =>This Inner Loop Header: Depth=1
	v_add_u32_e32 v6, v4, v3
	s_waitcnt lgkmcnt(0)
	v_mad_i64_i32 v[6:7], s[14:15], v6, 18, s[8:9]
	v_add_u32_e32 v8, s0, v3
	v_mad_i64_i32 v[8:9], s[14:15], v8, 36, s[10:11]
	v_add_co_u32_e32 v10, vcc, v6, v5
	v_addc_co_u32_e32 v11, vcc, 0, v7, vcc
	v_add_co_u32_e32 v12, vcc, v8, v5
	v_addc_co_u32_e32 v13, vcc, 0, v9, vcc
	global_load_dwordx2 v[14:15], v[10:11], off offset:2
	global_load_dwordx2 v[16:17], v[12:13], off offset:4
	;; [unrolled: 1-line block ×3, first 2 shown]
	global_load_dword v20, v[8:9], off
	global_load_ushort v21, v[6:7], off
	v_add_u32_e32 v3, 32, v3
	v_cmp_le_u32_e32 vcc, s6, v3
	s_or_b64 s[4:5], vcc, s[4:5]
	s_waitcnt vmcnt(4)
	v_and_b32_e32 v7, 0xf0f0f0f, v14
	v_lshrrev_b32_e32 v8, 4, v14
	v_and_b32_e32 v8, 0xf0f0f0f, v8
	s_waitcnt vmcnt(3)
	v_dot4_i32_i8 v7, v7, v16, 0
	v_and_b32_e32 v9, 0xf0f0f0f, v15
	v_lshrrev_b32_e32 v10, 4, v15
	s_waitcnt vmcnt(2)
	v_dot4_i32_i8 v7, v8, v18, v7
	v_and_b32_e32 v10, 0xf0f0f0f, v10
	v_dot4_i32_i8 v7, v9, v17, v7
	s_waitcnt vmcnt(1)
	v_cvt_f32_f16_sdwa v6, v20 dst_sel:DWORD dst_unused:UNUSED_PAD src0_sel:WORD_1
	v_dot4_i32_i8 v7, v10, v19, v7
	v_cvt_f32_i32_e32 v7, v7
	v_mul_f32_e32 v6, -4.0, v6
	v_fma_mix_f32 v6, v7, v20, v6 op_sel_hi:[0,1,0]
	s_waitcnt vmcnt(0)
	v_fma_mix_f32 v2, v6, v21, v2 op_sel_hi:[0,1,0]
	s_andn2_b64 exec, exec, s[4:5]
	s_cbranch_execnz .LBB58_3
; %bb.4:
	s_or_b64 exec, exec, s[4:5]
.LBB58_5:
	s_or_b64 exec, exec, s[12:13]
	v_mbcnt_lo_u32_b32 v3, -1, 0
	v_mbcnt_hi_u32_b32 v3, -1, v3
	v_and_b32_e32 v4, 64, v3
	v_add_u32_e32 v4, 64, v4
	v_xor_b32_e32 v5, 32, v3
	v_cmp_lt_i32_e32 vcc, v5, v4
	v_cndmask_b32_e32 v5, v3, v5, vcc
	v_lshlrev_b32_e32 v5, 2, v5
	ds_bpermute_b32 v5, v5, v2
	v_xor_b32_e32 v6, 16, v3
	v_cmp_lt_i32_e32 vcc, v6, v4
	s_waitcnt lgkmcnt(0)
	v_add_f32_e32 v2, v2, v5
	v_cndmask_b32_e32 v5, v3, v6, vcc
	v_lshlrev_b32_e32 v5, 2, v5
	ds_bpermute_b32 v5, v5, v2
	v_xor_b32_e32 v6, 8, v3
	v_cmp_lt_i32_e32 vcc, v6, v4
	s_waitcnt lgkmcnt(0)
	v_add_f32_e32 v2, v2, v5
	;; [unrolled: 7-line block ×4, first 2 shown]
	v_cndmask_b32_e32 v5, v3, v6, vcc
	v_lshlrev_b32_e32 v5, 2, v5
	ds_bpermute_b32 v5, v5, v2
	v_xor_b32_e32 v6, 1, v3
	v_cmp_lt_i32_e32 vcc, v6, v4
	v_cndmask_b32_e32 v3, v3, v6, vcc
	v_lshlrev_b32_e32 v3, 2, v3
	s_waitcnt lgkmcnt(0)
	v_add_f32_e32 v2, v2, v5
	ds_bpermute_b32 v3, v3, v2
	v_cmp_eq_u32_e32 vcc, 0, v0
	s_and_b64 exec, exec, vcc
	s_cbranch_execz .LBB58_7
; %bb.6:
	s_mul_i32 s0, s1, s7
	v_add_u32_e32 v0, s0, v1
	v_mov_b32_e32 v1, 0
	v_lshlrev_b64 v[0:1], 2, v[0:1]
	s_waitcnt lgkmcnt(0)
	v_add_f32_e32 v2, v2, v3
	v_mov_b32_e32 v3, s3
	v_add_co_u32_e32 v0, vcc, s2, v0
	v_addc_co_u32_e32 v1, vcc, v3, v1, vcc
	global_store_dword v[0:1], v2, off
.LBB58_7:
	s_endpgm
	.section	.rodata,"a",@progbits
	.p2align	6, 0x0
	.amdhsa_kernel _ZL13mul_mat_vec_qIfLi32ELi4E10block_q4_0Li2EXadL_ZL17vec_dot_q4_0_q8_1PKvPK10block_q8_1RKiEEEvS2_S2_PT_iii
		.amdhsa_group_segment_fixed_size 0
		.amdhsa_private_segment_fixed_size 0
		.amdhsa_kernarg_size 296
		.amdhsa_user_sgpr_count 6
		.amdhsa_user_sgpr_private_segment_buffer 1
		.amdhsa_user_sgpr_dispatch_ptr 0
		.amdhsa_user_sgpr_queue_ptr 0
		.amdhsa_user_sgpr_kernarg_segment_ptr 1
		.amdhsa_user_sgpr_dispatch_id 0
		.amdhsa_user_sgpr_flat_scratch_init 0
		.amdhsa_user_sgpr_private_segment_size 0
		.amdhsa_uses_dynamic_stack 0
		.amdhsa_system_sgpr_private_segment_wavefront_offset 0
		.amdhsa_system_sgpr_workgroup_id_x 1
		.amdhsa_system_sgpr_workgroup_id_y 1
		.amdhsa_system_sgpr_workgroup_id_z 0
		.amdhsa_system_sgpr_workgroup_info 0
		.amdhsa_system_vgpr_workitem_id 1
		.amdhsa_next_free_vgpr 22
		.amdhsa_next_free_sgpr 16
		.amdhsa_reserve_vcc 1
		.amdhsa_reserve_flat_scratch 0
		.amdhsa_float_round_mode_32 0
		.amdhsa_float_round_mode_16_64 0
		.amdhsa_float_denorm_mode_32 3
		.amdhsa_float_denorm_mode_16_64 3
		.amdhsa_dx10_clamp 1
		.amdhsa_ieee_mode 1
		.amdhsa_fp16_overflow 0
		.amdhsa_exception_fp_ieee_invalid_op 0
		.amdhsa_exception_fp_denorm_src 0
		.amdhsa_exception_fp_ieee_div_zero 0
		.amdhsa_exception_fp_ieee_overflow 0
		.amdhsa_exception_fp_ieee_underflow 0
		.amdhsa_exception_fp_ieee_inexact 0
		.amdhsa_exception_int_div_zero 0
	.end_amdhsa_kernel
	.section	.text._ZL13mul_mat_vec_qIfLi32ELi4E10block_q4_0Li2EXadL_ZL17vec_dot_q4_0_q8_1PKvPK10block_q8_1RKiEEEvS2_S2_PT_iii,"axG",@progbits,_ZL13mul_mat_vec_qIfLi32ELi4E10block_q4_0Li2EXadL_ZL17vec_dot_q4_0_q8_1PKvPK10block_q8_1RKiEEEvS2_S2_PT_iii,comdat
.Lfunc_end58:
	.size	_ZL13mul_mat_vec_qIfLi32ELi4E10block_q4_0Li2EXadL_ZL17vec_dot_q4_0_q8_1PKvPK10block_q8_1RKiEEEvS2_S2_PT_iii, .Lfunc_end58-_ZL13mul_mat_vec_qIfLi32ELi4E10block_q4_0Li2EXadL_ZL17vec_dot_q4_0_q8_1PKvPK10block_q8_1RKiEEEvS2_S2_PT_iii
                                        ; -- End function
	.set _ZL13mul_mat_vec_qIfLi32ELi4E10block_q4_0Li2EXadL_ZL17vec_dot_q4_0_q8_1PKvPK10block_q8_1RKiEEEvS2_S2_PT_iii.num_vgpr, 22
	.set _ZL13mul_mat_vec_qIfLi32ELi4E10block_q4_0Li2EXadL_ZL17vec_dot_q4_0_q8_1PKvPK10block_q8_1RKiEEEvS2_S2_PT_iii.num_agpr, 0
	.set _ZL13mul_mat_vec_qIfLi32ELi4E10block_q4_0Li2EXadL_ZL17vec_dot_q4_0_q8_1PKvPK10block_q8_1RKiEEEvS2_S2_PT_iii.numbered_sgpr, 16
	.set _ZL13mul_mat_vec_qIfLi32ELi4E10block_q4_0Li2EXadL_ZL17vec_dot_q4_0_q8_1PKvPK10block_q8_1RKiEEEvS2_S2_PT_iii.num_named_barrier, 0
	.set _ZL13mul_mat_vec_qIfLi32ELi4E10block_q4_0Li2EXadL_ZL17vec_dot_q4_0_q8_1PKvPK10block_q8_1RKiEEEvS2_S2_PT_iii.private_seg_size, 0
	.set _ZL13mul_mat_vec_qIfLi32ELi4E10block_q4_0Li2EXadL_ZL17vec_dot_q4_0_q8_1PKvPK10block_q8_1RKiEEEvS2_S2_PT_iii.uses_vcc, 1
	.set _ZL13mul_mat_vec_qIfLi32ELi4E10block_q4_0Li2EXadL_ZL17vec_dot_q4_0_q8_1PKvPK10block_q8_1RKiEEEvS2_S2_PT_iii.uses_flat_scratch, 0
	.set _ZL13mul_mat_vec_qIfLi32ELi4E10block_q4_0Li2EXadL_ZL17vec_dot_q4_0_q8_1PKvPK10block_q8_1RKiEEEvS2_S2_PT_iii.has_dyn_sized_stack, 0
	.set _ZL13mul_mat_vec_qIfLi32ELi4E10block_q4_0Li2EXadL_ZL17vec_dot_q4_0_q8_1PKvPK10block_q8_1RKiEEEvS2_S2_PT_iii.has_recursion, 0
	.set _ZL13mul_mat_vec_qIfLi32ELi4E10block_q4_0Li2EXadL_ZL17vec_dot_q4_0_q8_1PKvPK10block_q8_1RKiEEEvS2_S2_PT_iii.has_indirect_call, 0
	.section	.AMDGPU.csdata,"",@progbits
; Kernel info:
; codeLenInByte = 668
; TotalNumSgprs: 20
; NumVgprs: 22
; ScratchSize: 0
; MemoryBound: 0
; FloatMode: 240
; IeeeMode: 1
; LDSByteSize: 0 bytes/workgroup (compile time only)
; SGPRBlocks: 2
; VGPRBlocks: 5
; NumSGPRsForWavesPerEU: 20
; NumVGPRsForWavesPerEU: 22
; Occupancy: 10
; WaveLimiterHint : 0
; COMPUTE_PGM_RSRC2:SCRATCH_EN: 0
; COMPUTE_PGM_RSRC2:USER_SGPR: 6
; COMPUTE_PGM_RSRC2:TRAP_HANDLER: 0
; COMPUTE_PGM_RSRC2:TGID_X_EN: 1
; COMPUTE_PGM_RSRC2:TGID_Y_EN: 1
; COMPUTE_PGM_RSRC2:TGID_Z_EN: 0
; COMPUTE_PGM_RSRC2:TIDIG_COMP_CNT: 1
	.section	.text._ZL13mul_mat_vec_qIfLi32ELi4E10block_q4_1Li2EXadL_ZL17vec_dot_q4_1_q8_1PKvPK10block_q8_1RKiEEEvS2_S2_PT_iii,"axG",@progbits,_ZL13mul_mat_vec_qIfLi32ELi4E10block_q4_1Li2EXadL_ZL17vec_dot_q4_1_q8_1PKvPK10block_q8_1RKiEEEvS2_S2_PT_iii,comdat
	.globl	_ZL13mul_mat_vec_qIfLi32ELi4E10block_q4_1Li2EXadL_ZL17vec_dot_q4_1_q8_1PKvPK10block_q8_1RKiEEEvS2_S2_PT_iii ; -- Begin function _ZL13mul_mat_vec_qIfLi32ELi4E10block_q4_1Li2EXadL_ZL17vec_dot_q4_1_q8_1PKvPK10block_q8_1RKiEEEvS2_S2_PT_iii
	.p2align	8
	.type	_ZL13mul_mat_vec_qIfLi32ELi4E10block_q4_1Li2EXadL_ZL17vec_dot_q4_1_q8_1PKvPK10block_q8_1RKiEEEvS2_S2_PT_iii,@function
_ZL13mul_mat_vec_qIfLi32ELi4E10block_q4_1Li2EXadL_ZL17vec_dot_q4_1_q8_1PKvPK10block_q8_1RKiEEEvS2_S2_PT_iii: ; @_ZL13mul_mat_vec_qIfLi32ELi4E10block_q4_1Li2EXadL_ZL17vec_dot_q4_1_q8_1PKvPK10block_q8_1RKiEEEvS2_S2_PT_iii
; %bb.0:
	s_load_dword s8, s[4:5], 0x34
	s_load_dwordx4 s[0:3], s[4:5], 0x18
	s_waitcnt lgkmcnt(0)
	s_lshr_b32 s3, s8, 16
	s_mul_i32 s6, s6, s3
	v_add_u32_e32 v1, s6, v1
	s_cmp_lt_u32 s7, s2
	v_cmp_gt_u32_e32 vcc, s1, v1
	s_cselect_b64 s[2:3], -1, 0
	s_and_b64 s[2:3], s[2:3], vcc
	s_and_saveexec_b64 s[8:9], s[2:3]
	s_cbranch_execz .LBB59_7
; %bb.1:
	s_load_dwordx2 s[2:3], s[4:5], 0x10
	s_ashr_i32 s6, s0, 31
	s_lshr_b32 s6, s6, 27
	s_add_i32 s6, s0, s6
	s_ashr_i32 s6, s6, 5
	v_lshrrev_b32_e32 v3, 1, v0
	v_cmp_gt_u32_e32 vcc, s6, v3
	v_mov_b32_e32 v2, 0
	s_and_saveexec_b64 s[12:13], vcc
	s_cbranch_execz .LBB59_5
; %bb.2:
	s_addk_i32 s0, 0x1ff
	s_load_dwordx4 s[8:11], s[4:5], 0x0
	s_ashr_i32 s4, s0, 31
	s_lshr_b32 s4, s4, 23
	s_add_i32 s0, s0, s4
	v_mul_lo_u32 v4, v1, s6
	s_ashr_i32 s0, s0, 9
	s_mul_i32 s0, s7, s0
	v_lshlrev_b32_e32 v2, 3, v0
	s_lshl_b32 s0, s0, 4
	v_and_b32_e32 v5, 8, v2
	v_mov_b32_e32 v2, 0
	s_mov_b64 s[4:5], 0
.LBB59_3:                               ; =>This Inner Loop Header: Depth=1
	v_add_u32_e32 v6, v4, v3
	s_waitcnt lgkmcnt(0)
	v_mad_i64_i32 v[6:7], s[14:15], v6, 20, s[8:9]
	v_add_u32_e32 v8, s0, v3
	v_mad_i64_i32 v[8:9], s[14:15], v8, 36, s[10:11]
	v_add_co_u32_e32 v10, vcc, v6, v5
	v_addc_co_u32_e32 v11, vcc, 0, v7, vcc
	v_add_co_u32_e32 v12, vcc, v8, v5
	v_addc_co_u32_e32 v13, vcc, 0, v9, vcc
	global_load_dword v20, v[6:7], off
	global_load_dwordx2 v[14:15], v[10:11], off offset:4
	global_load_dwordx2 v[16:17], v[12:13], off offset:4
	;; [unrolled: 1-line block ×3, first 2 shown]
	global_load_dword v21, v[8:9], off
	v_add_u32_e32 v3, 32, v3
	v_cmp_le_u32_e32 vcc, s6, v3
	s_or_b64 s[4:5], vcc, s[4:5]
	s_waitcnt vmcnt(3)
	v_and_b32_e32 v7, 0xf0f0f0f, v14
	v_lshrrev_b32_e32 v8, 4, v14
	v_and_b32_e32 v8, 0xf0f0f0f, v8
	s_waitcnt vmcnt(2)
	v_dot4_i32_i8 v7, v7, v16, 0
	v_and_b32_e32 v9, 0xf0f0f0f, v15
	v_lshrrev_b32_e32 v10, 4, v15
	s_waitcnt vmcnt(1)
	v_dot4_i32_i8 v7, v8, v18, v7
	s_waitcnt vmcnt(0)
	v_pk_mul_f16 v6, v20, v21
	v_and_b32_e32 v10, 0xf0f0f0f, v10
	v_dot4_i32_i8 v7, v9, v17, v7
	v_cvt_f32_f16_sdwa v11, v6 dst_sel:DWORD dst_unused:UNUSED_PAD src0_sel:WORD_1
	v_dot4_i32_i8 v7, v10, v19, v7
	v_cvt_f32_i32_e32 v7, v7
	v_mul_f32_e32 v8, 0.5, v11
	v_fma_mix_f32 v6, v7, v6, v8 op_sel_hi:[0,1,0]
	v_add_f32_e32 v2, v2, v6
	s_andn2_b64 exec, exec, s[4:5]
	s_cbranch_execnz .LBB59_3
; %bb.4:
	s_or_b64 exec, exec, s[4:5]
.LBB59_5:
	s_or_b64 exec, exec, s[12:13]
	v_mbcnt_lo_u32_b32 v3, -1, 0
	v_mbcnt_hi_u32_b32 v3, -1, v3
	v_and_b32_e32 v4, 64, v3
	v_add_u32_e32 v4, 64, v4
	v_xor_b32_e32 v5, 32, v3
	v_cmp_lt_i32_e32 vcc, v5, v4
	v_cndmask_b32_e32 v5, v3, v5, vcc
	v_lshlrev_b32_e32 v5, 2, v5
	ds_bpermute_b32 v5, v5, v2
	v_xor_b32_e32 v6, 16, v3
	v_cmp_lt_i32_e32 vcc, v6, v4
	s_waitcnt lgkmcnt(0)
	v_add_f32_e32 v2, v2, v5
	v_cndmask_b32_e32 v5, v3, v6, vcc
	v_lshlrev_b32_e32 v5, 2, v5
	ds_bpermute_b32 v5, v5, v2
	v_xor_b32_e32 v6, 8, v3
	v_cmp_lt_i32_e32 vcc, v6, v4
	s_waitcnt lgkmcnt(0)
	v_add_f32_e32 v2, v2, v5
	;; [unrolled: 7-line block ×4, first 2 shown]
	v_cndmask_b32_e32 v5, v3, v6, vcc
	v_lshlrev_b32_e32 v5, 2, v5
	ds_bpermute_b32 v5, v5, v2
	v_xor_b32_e32 v6, 1, v3
	v_cmp_lt_i32_e32 vcc, v6, v4
	v_cndmask_b32_e32 v3, v3, v6, vcc
	v_lshlrev_b32_e32 v3, 2, v3
	s_waitcnt lgkmcnt(0)
	v_add_f32_e32 v2, v2, v5
	ds_bpermute_b32 v3, v3, v2
	v_cmp_eq_u32_e32 vcc, 0, v0
	s_and_b64 exec, exec, vcc
	s_cbranch_execz .LBB59_7
; %bb.6:
	s_mul_i32 s0, s1, s7
	v_add_u32_e32 v0, s0, v1
	v_mov_b32_e32 v1, 0
	v_lshlrev_b64 v[0:1], 2, v[0:1]
	s_waitcnt lgkmcnt(0)
	v_add_f32_e32 v2, v2, v3
	v_mov_b32_e32 v3, s3
	v_add_co_u32_e32 v0, vcc, s2, v0
	v_addc_co_u32_e32 v1, vcc, v3, v1, vcc
	global_store_dword v[0:1], v2, off
.LBB59_7:
	s_endpgm
	.section	.rodata,"a",@progbits
	.p2align	6, 0x0
	.amdhsa_kernel _ZL13mul_mat_vec_qIfLi32ELi4E10block_q4_1Li2EXadL_ZL17vec_dot_q4_1_q8_1PKvPK10block_q8_1RKiEEEvS2_S2_PT_iii
		.amdhsa_group_segment_fixed_size 0
		.amdhsa_private_segment_fixed_size 0
		.amdhsa_kernarg_size 296
		.amdhsa_user_sgpr_count 6
		.amdhsa_user_sgpr_private_segment_buffer 1
		.amdhsa_user_sgpr_dispatch_ptr 0
		.amdhsa_user_sgpr_queue_ptr 0
		.amdhsa_user_sgpr_kernarg_segment_ptr 1
		.amdhsa_user_sgpr_dispatch_id 0
		.amdhsa_user_sgpr_flat_scratch_init 0
		.amdhsa_user_sgpr_private_segment_size 0
		.amdhsa_uses_dynamic_stack 0
		.amdhsa_system_sgpr_private_segment_wavefront_offset 0
		.amdhsa_system_sgpr_workgroup_id_x 1
		.amdhsa_system_sgpr_workgroup_id_y 1
		.amdhsa_system_sgpr_workgroup_id_z 0
		.amdhsa_system_sgpr_workgroup_info 0
		.amdhsa_system_vgpr_workitem_id 1
		.amdhsa_next_free_vgpr 22
		.amdhsa_next_free_sgpr 16
		.amdhsa_reserve_vcc 1
		.amdhsa_reserve_flat_scratch 0
		.amdhsa_float_round_mode_32 0
		.amdhsa_float_round_mode_16_64 0
		.amdhsa_float_denorm_mode_32 3
		.amdhsa_float_denorm_mode_16_64 3
		.amdhsa_dx10_clamp 1
		.amdhsa_ieee_mode 1
		.amdhsa_fp16_overflow 0
		.amdhsa_exception_fp_ieee_invalid_op 0
		.amdhsa_exception_fp_denorm_src 0
		.amdhsa_exception_fp_ieee_div_zero 0
		.amdhsa_exception_fp_ieee_overflow 0
		.amdhsa_exception_fp_ieee_underflow 0
		.amdhsa_exception_fp_ieee_inexact 0
		.amdhsa_exception_int_div_zero 0
	.end_amdhsa_kernel
	.section	.text._ZL13mul_mat_vec_qIfLi32ELi4E10block_q4_1Li2EXadL_ZL17vec_dot_q4_1_q8_1PKvPK10block_q8_1RKiEEEvS2_S2_PT_iii,"axG",@progbits,_ZL13mul_mat_vec_qIfLi32ELi4E10block_q4_1Li2EXadL_ZL17vec_dot_q4_1_q8_1PKvPK10block_q8_1RKiEEEvS2_S2_PT_iii,comdat
.Lfunc_end59:
	.size	_ZL13mul_mat_vec_qIfLi32ELi4E10block_q4_1Li2EXadL_ZL17vec_dot_q4_1_q8_1PKvPK10block_q8_1RKiEEEvS2_S2_PT_iii, .Lfunc_end59-_ZL13mul_mat_vec_qIfLi32ELi4E10block_q4_1Li2EXadL_ZL17vec_dot_q4_1_q8_1PKvPK10block_q8_1RKiEEEvS2_S2_PT_iii
                                        ; -- End function
	.set _ZL13mul_mat_vec_qIfLi32ELi4E10block_q4_1Li2EXadL_ZL17vec_dot_q4_1_q8_1PKvPK10block_q8_1RKiEEEvS2_S2_PT_iii.num_vgpr, 22
	.set _ZL13mul_mat_vec_qIfLi32ELi4E10block_q4_1Li2EXadL_ZL17vec_dot_q4_1_q8_1PKvPK10block_q8_1RKiEEEvS2_S2_PT_iii.num_agpr, 0
	.set _ZL13mul_mat_vec_qIfLi32ELi4E10block_q4_1Li2EXadL_ZL17vec_dot_q4_1_q8_1PKvPK10block_q8_1RKiEEEvS2_S2_PT_iii.numbered_sgpr, 16
	.set _ZL13mul_mat_vec_qIfLi32ELi4E10block_q4_1Li2EXadL_ZL17vec_dot_q4_1_q8_1PKvPK10block_q8_1RKiEEEvS2_S2_PT_iii.num_named_barrier, 0
	.set _ZL13mul_mat_vec_qIfLi32ELi4E10block_q4_1Li2EXadL_ZL17vec_dot_q4_1_q8_1PKvPK10block_q8_1RKiEEEvS2_S2_PT_iii.private_seg_size, 0
	.set _ZL13mul_mat_vec_qIfLi32ELi4E10block_q4_1Li2EXadL_ZL17vec_dot_q4_1_q8_1PKvPK10block_q8_1RKiEEEvS2_S2_PT_iii.uses_vcc, 1
	.set _ZL13mul_mat_vec_qIfLi32ELi4E10block_q4_1Li2EXadL_ZL17vec_dot_q4_1_q8_1PKvPK10block_q8_1RKiEEEvS2_S2_PT_iii.uses_flat_scratch, 0
	.set _ZL13mul_mat_vec_qIfLi32ELi4E10block_q4_1Li2EXadL_ZL17vec_dot_q4_1_q8_1PKvPK10block_q8_1RKiEEEvS2_S2_PT_iii.has_dyn_sized_stack, 0
	.set _ZL13mul_mat_vec_qIfLi32ELi4E10block_q4_1Li2EXadL_ZL17vec_dot_q4_1_q8_1PKvPK10block_q8_1RKiEEEvS2_S2_PT_iii.has_recursion, 0
	.set _ZL13mul_mat_vec_qIfLi32ELi4E10block_q4_1Li2EXadL_ZL17vec_dot_q4_1_q8_1PKvPK10block_q8_1RKiEEEvS2_S2_PT_iii.has_indirect_call, 0
	.section	.AMDGPU.csdata,"",@progbits
; Kernel info:
; codeLenInByte = 668
; TotalNumSgprs: 20
; NumVgprs: 22
; ScratchSize: 0
; MemoryBound: 0
; FloatMode: 240
; IeeeMode: 1
; LDSByteSize: 0 bytes/workgroup (compile time only)
; SGPRBlocks: 2
; VGPRBlocks: 5
; NumSGPRsForWavesPerEU: 20
; NumVGPRsForWavesPerEU: 22
; Occupancy: 10
; WaveLimiterHint : 0
; COMPUTE_PGM_RSRC2:SCRATCH_EN: 0
; COMPUTE_PGM_RSRC2:USER_SGPR: 6
; COMPUTE_PGM_RSRC2:TRAP_HANDLER: 0
; COMPUTE_PGM_RSRC2:TGID_X_EN: 1
; COMPUTE_PGM_RSRC2:TGID_Y_EN: 1
; COMPUTE_PGM_RSRC2:TGID_Z_EN: 0
; COMPUTE_PGM_RSRC2:TIDIG_COMP_CNT: 1
	.section	.text._ZL13mul_mat_vec_qIfLi32ELi4E10block_q5_0Li2EXadL_ZL17vec_dot_q5_0_q8_1PKvPK10block_q8_1RKiEEEvS2_S2_PT_iii,"axG",@progbits,_ZL13mul_mat_vec_qIfLi32ELi4E10block_q5_0Li2EXadL_ZL17vec_dot_q5_0_q8_1PKvPK10block_q8_1RKiEEEvS2_S2_PT_iii,comdat
	.globl	_ZL13mul_mat_vec_qIfLi32ELi4E10block_q5_0Li2EXadL_ZL17vec_dot_q5_0_q8_1PKvPK10block_q8_1RKiEEEvS2_S2_PT_iii ; -- Begin function _ZL13mul_mat_vec_qIfLi32ELi4E10block_q5_0Li2EXadL_ZL17vec_dot_q5_0_q8_1PKvPK10block_q8_1RKiEEEvS2_S2_PT_iii
	.p2align	8
	.type	_ZL13mul_mat_vec_qIfLi32ELi4E10block_q5_0Li2EXadL_ZL17vec_dot_q5_0_q8_1PKvPK10block_q8_1RKiEEEvS2_S2_PT_iii,@function
_ZL13mul_mat_vec_qIfLi32ELi4E10block_q5_0Li2EXadL_ZL17vec_dot_q5_0_q8_1PKvPK10block_q8_1RKiEEEvS2_S2_PT_iii: ; @_ZL13mul_mat_vec_qIfLi32ELi4E10block_q5_0Li2EXadL_ZL17vec_dot_q5_0_q8_1PKvPK10block_q8_1RKiEEEvS2_S2_PT_iii
; %bb.0:
	s_load_dword s8, s[4:5], 0x34
	s_load_dwordx4 s[0:3], s[4:5], 0x18
	s_waitcnt lgkmcnt(0)
	s_lshr_b32 s3, s8, 16
	s_mul_i32 s6, s6, s3
	v_add_u32_e32 v1, s6, v1
	s_cmp_lt_u32 s7, s2
	v_cmp_gt_u32_e32 vcc, s1, v1
	s_cselect_b64 s[2:3], -1, 0
	s_and_b64 s[2:3], s[2:3], vcc
	s_and_saveexec_b64 s[8:9], s[2:3]
	s_cbranch_execz .LBB60_7
; %bb.1:
	s_load_dwordx2 s[2:3], s[4:5], 0x10
	s_ashr_i32 s6, s0, 31
	s_lshr_b32 s6, s6, 27
	s_add_i32 s6, s0, s6
	s_ashr_i32 s6, s6, 5
	v_lshrrev_b32_e32 v3, 1, v0
	v_cmp_gt_u32_e32 vcc, s6, v3
	v_mov_b32_e32 v2, 0
	s_and_saveexec_b64 s[12:13], vcc
	s_cbranch_execz .LBB60_5
; %bb.2:
	s_addk_i32 s0, 0x1ff
	s_load_dwordx4 s[8:11], s[4:5], 0x0
	s_ashr_i32 s4, s0, 31
	s_lshr_b32 s4, s4, 23
	s_add_i32 s0, s0, s4
	v_mul_lo_u32 v4, v1, s6
	s_ashr_i32 s0, s0, 9
	v_lshlrev_b32_e32 v2, 3, v0
	s_mul_i32 s0, s7, s0
	v_and_b32_e32 v5, 8, v2
	s_lshl_b32 s0, s0, 4
	v_mov_b32_e32 v2, 0
	v_or_b32_e32 v6, 4, v5
	s_mov_b64 s[4:5], 0
.LBB60_3:                               ; =>This Inner Loop Header: Depth=1
	v_add_u32_e32 v7, v4, v3
	s_waitcnt lgkmcnt(0)
	v_mad_i64_i32 v[7:8], s[14:15], v7, 22, s[8:9]
	v_add_u32_e32 v9, s0, v3
	v_mad_i64_i32 v[9:10], s[14:15], v9, 36, s[10:11]
	v_add_co_u32_e32 v11, vcc, v7, v5
	v_addc_co_u32_e32 v12, vcc, 0, v8, vcc
	global_load_dword v17, v[7:8], off offset:2
	global_load_ushort v18, v[7:8], off
	global_load_dwordx2 v[15:16], v[11:12], off offset:6
	v_add_co_u32_e32 v13, vcc, v9, v5
	v_addc_co_u32_e32 v14, vcc, 0, v10, vcc
	v_add_u32_e32 v3, 32, v3
	v_cmp_le_u32_e32 vcc, s6, v3
	s_or_b64 s[4:5], vcc, s[4:5]
	s_waitcnt vmcnt(2)
	v_ashrrev_i32_e32 v19, v5, v17
	v_lshlrev_b32_e32 v8, 4, v19
	v_lshlrev_b32_e32 v11, 11, v19
	v_lshrrev_b32_e32 v12, 12, v19
	v_lshrrev_b32_e32 v20, 5, v19
	v_lshlrev_b32_e32 v21, 2, v19
	v_ashrrev_i32_e32 v17, v6, v17
	s_waitcnt vmcnt(0)
	v_and_b32_e32 v7, 0xf0f0f0f, v15
	v_and_b32_e32 v8, 16, v8
	;; [unrolled: 1-line block ×6, first 2 shown]
	v_or3_b32 v7, v8, v7, v11
	v_lshlrev_b32_e32 v8, 4, v17
	v_lshlrev_b32_e32 v11, 11, v17
	v_or3_b32 v20, v20, v12, v21
	v_lshlrev_b32_e32 v12, 18, v17
	v_and_b32_e32 v8, 16, v8
	v_and_b32_e32 v11, 0x1000, v11
	;; [unrolled: 1-line block ×3, first 2 shown]
	v_lshrrev_b32_e32 v21, 12, v17
	v_or3_b32 v22, v11, v8, v12
	v_lshrrev_b32_e32 v8, 5, v17
	v_lshlrev_b32_e32 v11, 2, v17
	v_and_b32_e32 v12, 16, v21
	v_and_b32_e32 v8, 0x1000, v8
	;; [unrolled: 1-line block ×3, first 2 shown]
	v_or3_b32 v21, v8, v12, v11
	v_lshlrev_b32_e32 v8, 18, v19
	v_lshlrev_b32_e32 v11, 25, v19
	v_and_b32_e32 v8, 0x100000, v8
	v_and_b32_e32 v11, 0x10000000, v11
	v_or3_b32 v23, v7, v8, v11
	global_load_dwordx2 v[7:8], v[13:14], off offset:4
	global_load_dwordx2 v[11:12], v[13:14], off offset:20
                                        ; kill: killed $vgpr13 killed $vgpr14
	s_nop 0
	global_load_dword v9, v[9:10], off
	v_lshrrev_b32_e32 v10, 4, v15
	v_lshlrev_b32_e32 v13, 9, v19
	v_and_b32_e32 v10, 0xf0f0f0f, v10
	v_and_b32_e32 v13, 0x10000000, v13
	;; [unrolled: 1-line block ×3, first 2 shown]
	v_lshrrev_b32_e32 v15, 4, v16
	v_lshlrev_b32_e32 v16, 25, v17
	v_or3_b32 v10, v20, v13, v10
	v_lshlrev_b32_e32 v17, 9, v17
	v_and_b32_e32 v16, 0x10000000, v16
	v_and_b32_e32 v15, 0xf0f0f0f, v15
	;; [unrolled: 1-line block ×3, first 2 shown]
	v_or3_b32 v14, v22, v16, v14
	v_or3_b32 v15, v21, v17, v15
	s_waitcnt vmcnt(2)
	v_dot4_i32_i8 v7, v23, v7, 0
	s_waitcnt vmcnt(1)
	v_dot4_i32_i8 v7, v10, v11, v7
	v_dot4_i32_i8 v7, v14, v8, v7
	s_waitcnt vmcnt(0)
	v_cvt_f32_f16_sdwa v13, v9 dst_sel:DWORD dst_unused:UNUSED_PAD src0_sel:WORD_1
	v_dot4_i32_i8 v7, v15, v12, v7
	v_cvt_f32_i32_e32 v7, v7
	v_mul_f32_e32 v8, 0xc1000000, v13
	v_fma_mix_f32 v7, v9, v7, v8 op_sel_hi:[1,0,0]
	v_fma_mix_f32 v2, v7, v18, v2 op_sel_hi:[0,1,0]
	s_andn2_b64 exec, exec, s[4:5]
	s_cbranch_execnz .LBB60_3
; %bb.4:
	s_or_b64 exec, exec, s[4:5]
.LBB60_5:
	s_or_b64 exec, exec, s[12:13]
	v_mbcnt_lo_u32_b32 v3, -1, 0
	v_mbcnt_hi_u32_b32 v3, -1, v3
	v_and_b32_e32 v4, 64, v3
	v_add_u32_e32 v4, 64, v4
	v_xor_b32_e32 v5, 32, v3
	v_cmp_lt_i32_e32 vcc, v5, v4
	v_cndmask_b32_e32 v5, v3, v5, vcc
	v_lshlrev_b32_e32 v5, 2, v5
	ds_bpermute_b32 v5, v5, v2
	v_xor_b32_e32 v6, 16, v3
	v_cmp_lt_i32_e32 vcc, v6, v4
	s_waitcnt lgkmcnt(0)
	v_add_f32_e32 v2, v2, v5
	v_cndmask_b32_e32 v5, v3, v6, vcc
	v_lshlrev_b32_e32 v5, 2, v5
	ds_bpermute_b32 v5, v5, v2
	v_xor_b32_e32 v6, 8, v3
	v_cmp_lt_i32_e32 vcc, v6, v4
	s_waitcnt lgkmcnt(0)
	v_add_f32_e32 v2, v2, v5
	;; [unrolled: 7-line block ×4, first 2 shown]
	v_cndmask_b32_e32 v5, v3, v6, vcc
	v_lshlrev_b32_e32 v5, 2, v5
	ds_bpermute_b32 v5, v5, v2
	v_xor_b32_e32 v6, 1, v3
	v_cmp_lt_i32_e32 vcc, v6, v4
	v_cndmask_b32_e32 v3, v3, v6, vcc
	v_lshlrev_b32_e32 v3, 2, v3
	s_waitcnt lgkmcnt(0)
	v_add_f32_e32 v2, v2, v5
	ds_bpermute_b32 v3, v3, v2
	v_cmp_eq_u32_e32 vcc, 0, v0
	s_and_b64 exec, exec, vcc
	s_cbranch_execz .LBB60_7
; %bb.6:
	s_mul_i32 s0, s1, s7
	v_add_u32_e32 v0, s0, v1
	v_mov_b32_e32 v1, 0
	v_lshlrev_b64 v[0:1], 2, v[0:1]
	s_waitcnt lgkmcnt(0)
	v_add_f32_e32 v2, v2, v3
	v_mov_b32_e32 v3, s3
	v_add_co_u32_e32 v0, vcc, s2, v0
	v_addc_co_u32_e32 v1, vcc, v3, v1, vcc
	global_store_dword v[0:1], v2, off
.LBB60_7:
	s_endpgm
	.section	.rodata,"a",@progbits
	.p2align	6, 0x0
	.amdhsa_kernel _ZL13mul_mat_vec_qIfLi32ELi4E10block_q5_0Li2EXadL_ZL17vec_dot_q5_0_q8_1PKvPK10block_q8_1RKiEEEvS2_S2_PT_iii
		.amdhsa_group_segment_fixed_size 0
		.amdhsa_private_segment_fixed_size 0
		.amdhsa_kernarg_size 296
		.amdhsa_user_sgpr_count 6
		.amdhsa_user_sgpr_private_segment_buffer 1
		.amdhsa_user_sgpr_dispatch_ptr 0
		.amdhsa_user_sgpr_queue_ptr 0
		.amdhsa_user_sgpr_kernarg_segment_ptr 1
		.amdhsa_user_sgpr_dispatch_id 0
		.amdhsa_user_sgpr_flat_scratch_init 0
		.amdhsa_user_sgpr_private_segment_size 0
		.amdhsa_uses_dynamic_stack 0
		.amdhsa_system_sgpr_private_segment_wavefront_offset 0
		.amdhsa_system_sgpr_workgroup_id_x 1
		.amdhsa_system_sgpr_workgroup_id_y 1
		.amdhsa_system_sgpr_workgroup_id_z 0
		.amdhsa_system_sgpr_workgroup_info 0
		.amdhsa_system_vgpr_workitem_id 1
		.amdhsa_next_free_vgpr 24
		.amdhsa_next_free_sgpr 16
		.amdhsa_reserve_vcc 1
		.amdhsa_reserve_flat_scratch 0
		.amdhsa_float_round_mode_32 0
		.amdhsa_float_round_mode_16_64 0
		.amdhsa_float_denorm_mode_32 3
		.amdhsa_float_denorm_mode_16_64 3
		.amdhsa_dx10_clamp 1
		.amdhsa_ieee_mode 1
		.amdhsa_fp16_overflow 0
		.amdhsa_exception_fp_ieee_invalid_op 0
		.amdhsa_exception_fp_denorm_src 0
		.amdhsa_exception_fp_ieee_div_zero 0
		.amdhsa_exception_fp_ieee_overflow 0
		.amdhsa_exception_fp_ieee_underflow 0
		.amdhsa_exception_fp_ieee_inexact 0
		.amdhsa_exception_int_div_zero 0
	.end_amdhsa_kernel
	.section	.text._ZL13mul_mat_vec_qIfLi32ELi4E10block_q5_0Li2EXadL_ZL17vec_dot_q5_0_q8_1PKvPK10block_q8_1RKiEEEvS2_S2_PT_iii,"axG",@progbits,_ZL13mul_mat_vec_qIfLi32ELi4E10block_q5_0Li2EXadL_ZL17vec_dot_q5_0_q8_1PKvPK10block_q8_1RKiEEEvS2_S2_PT_iii,comdat
.Lfunc_end60:
	.size	_ZL13mul_mat_vec_qIfLi32ELi4E10block_q5_0Li2EXadL_ZL17vec_dot_q5_0_q8_1PKvPK10block_q8_1RKiEEEvS2_S2_PT_iii, .Lfunc_end60-_ZL13mul_mat_vec_qIfLi32ELi4E10block_q5_0Li2EXadL_ZL17vec_dot_q5_0_q8_1PKvPK10block_q8_1RKiEEEvS2_S2_PT_iii
                                        ; -- End function
	.set _ZL13mul_mat_vec_qIfLi32ELi4E10block_q5_0Li2EXadL_ZL17vec_dot_q5_0_q8_1PKvPK10block_q8_1RKiEEEvS2_S2_PT_iii.num_vgpr, 24
	.set _ZL13mul_mat_vec_qIfLi32ELi4E10block_q5_0Li2EXadL_ZL17vec_dot_q5_0_q8_1PKvPK10block_q8_1RKiEEEvS2_S2_PT_iii.num_agpr, 0
	.set _ZL13mul_mat_vec_qIfLi32ELi4E10block_q5_0Li2EXadL_ZL17vec_dot_q5_0_q8_1PKvPK10block_q8_1RKiEEEvS2_S2_PT_iii.numbered_sgpr, 16
	.set _ZL13mul_mat_vec_qIfLi32ELi4E10block_q5_0Li2EXadL_ZL17vec_dot_q5_0_q8_1PKvPK10block_q8_1RKiEEEvS2_S2_PT_iii.num_named_barrier, 0
	.set _ZL13mul_mat_vec_qIfLi32ELi4E10block_q5_0Li2EXadL_ZL17vec_dot_q5_0_q8_1PKvPK10block_q8_1RKiEEEvS2_S2_PT_iii.private_seg_size, 0
	.set _ZL13mul_mat_vec_qIfLi32ELi4E10block_q5_0Li2EXadL_ZL17vec_dot_q5_0_q8_1PKvPK10block_q8_1RKiEEEvS2_S2_PT_iii.uses_vcc, 1
	.set _ZL13mul_mat_vec_qIfLi32ELi4E10block_q5_0Li2EXadL_ZL17vec_dot_q5_0_q8_1PKvPK10block_q8_1RKiEEEvS2_S2_PT_iii.uses_flat_scratch, 0
	.set _ZL13mul_mat_vec_qIfLi32ELi4E10block_q5_0Li2EXadL_ZL17vec_dot_q5_0_q8_1PKvPK10block_q8_1RKiEEEvS2_S2_PT_iii.has_dyn_sized_stack, 0
	.set _ZL13mul_mat_vec_qIfLi32ELi4E10block_q5_0Li2EXadL_ZL17vec_dot_q5_0_q8_1PKvPK10block_q8_1RKiEEEvS2_S2_PT_iii.has_recursion, 0
	.set _ZL13mul_mat_vec_qIfLi32ELi4E10block_q5_0Li2EXadL_ZL17vec_dot_q5_0_q8_1PKvPK10block_q8_1RKiEEEvS2_S2_PT_iii.has_indirect_call, 0
	.section	.AMDGPU.csdata,"",@progbits
; Kernel info:
; codeLenInByte = 936
; TotalNumSgprs: 20
; NumVgprs: 24
; ScratchSize: 0
; MemoryBound: 0
; FloatMode: 240
; IeeeMode: 1
; LDSByteSize: 0 bytes/workgroup (compile time only)
; SGPRBlocks: 2
; VGPRBlocks: 5
; NumSGPRsForWavesPerEU: 20
; NumVGPRsForWavesPerEU: 24
; Occupancy: 10
; WaveLimiterHint : 0
; COMPUTE_PGM_RSRC2:SCRATCH_EN: 0
; COMPUTE_PGM_RSRC2:USER_SGPR: 6
; COMPUTE_PGM_RSRC2:TRAP_HANDLER: 0
; COMPUTE_PGM_RSRC2:TGID_X_EN: 1
; COMPUTE_PGM_RSRC2:TGID_Y_EN: 1
; COMPUTE_PGM_RSRC2:TGID_Z_EN: 0
; COMPUTE_PGM_RSRC2:TIDIG_COMP_CNT: 1
	.section	.text._ZL13mul_mat_vec_qIfLi32ELi4E10block_q5_1Li2EXadL_ZL17vec_dot_q5_1_q8_1PKvPK10block_q8_1RKiEEEvS2_S2_PT_iii,"axG",@progbits,_ZL13mul_mat_vec_qIfLi32ELi4E10block_q5_1Li2EXadL_ZL17vec_dot_q5_1_q8_1PKvPK10block_q8_1RKiEEEvS2_S2_PT_iii,comdat
	.globl	_ZL13mul_mat_vec_qIfLi32ELi4E10block_q5_1Li2EXadL_ZL17vec_dot_q5_1_q8_1PKvPK10block_q8_1RKiEEEvS2_S2_PT_iii ; -- Begin function _ZL13mul_mat_vec_qIfLi32ELi4E10block_q5_1Li2EXadL_ZL17vec_dot_q5_1_q8_1PKvPK10block_q8_1RKiEEEvS2_S2_PT_iii
	.p2align	8
	.type	_ZL13mul_mat_vec_qIfLi32ELi4E10block_q5_1Li2EXadL_ZL17vec_dot_q5_1_q8_1PKvPK10block_q8_1RKiEEEvS2_S2_PT_iii,@function
_ZL13mul_mat_vec_qIfLi32ELi4E10block_q5_1Li2EXadL_ZL17vec_dot_q5_1_q8_1PKvPK10block_q8_1RKiEEEvS2_S2_PT_iii: ; @_ZL13mul_mat_vec_qIfLi32ELi4E10block_q5_1Li2EXadL_ZL17vec_dot_q5_1_q8_1PKvPK10block_q8_1RKiEEEvS2_S2_PT_iii
; %bb.0:
	s_load_dword s8, s[4:5], 0x34
	s_load_dwordx4 s[0:3], s[4:5], 0x18
	s_waitcnt lgkmcnt(0)
	s_lshr_b32 s3, s8, 16
	s_mul_i32 s6, s6, s3
	v_add_u32_e32 v1, s6, v1
	s_cmp_lt_u32 s7, s2
	v_cmp_gt_u32_e32 vcc, s1, v1
	s_cselect_b64 s[2:3], -1, 0
	s_and_b64 s[2:3], s[2:3], vcc
	s_and_saveexec_b64 s[8:9], s[2:3]
	s_cbranch_execz .LBB61_7
; %bb.1:
	s_load_dwordx2 s[2:3], s[4:5], 0x10
	s_ashr_i32 s6, s0, 31
	s_lshr_b32 s6, s6, 27
	s_add_i32 s6, s0, s6
	s_ashr_i32 s6, s6, 5
	v_lshrrev_b32_e32 v3, 1, v0
	v_cmp_gt_u32_e32 vcc, s6, v3
	v_mov_b32_e32 v2, 0
	s_and_saveexec_b64 s[12:13], vcc
	s_cbranch_execz .LBB61_5
; %bb.2:
	s_addk_i32 s0, 0x1ff
	s_load_dwordx4 s[8:11], s[4:5], 0x0
	s_ashr_i32 s4, s0, 31
	s_lshr_b32 s4, s4, 23
	s_add_i32 s0, s0, s4
	v_mul_lo_u32 v4, v1, s6
	s_ashr_i32 s0, s0, 9
	v_lshlrev_b32_e32 v2, 3, v0
	s_mul_i32 s0, s7, s0
	v_and_b32_e32 v5, 8, v2
	s_lshl_b32 s0, s0, 4
	v_mov_b32_e32 v2, 0
	v_or_b32_e32 v6, 4, v5
	s_mov_b64 s[4:5], 0
.LBB61_3:                               ; =>This Inner Loop Header: Depth=1
	v_add_u32_e32 v7, v4, v3
	s_waitcnt lgkmcnt(0)
	v_mad_i64_i32 v[7:8], s[14:15], v7, 24, s[8:9]
	v_add_u32_e32 v9, s0, v3
	v_mad_i64_i32 v[9:10], s[14:15], v9, 36, s[10:11]
	global_load_dwordx2 v[11:12], v[7:8], off
	v_add_co_u32_e32 v7, vcc, v7, v5
	v_addc_co_u32_e32 v8, vcc, 0, v8, vcc
	v_add_co_u32_e32 v13, vcc, v9, v5
	v_addc_co_u32_e32 v14, vcc, 0, v10, vcc
	global_load_dwordx2 v[15:16], v[7:8], off offset:8
	global_load_dwordx2 v[17:18], v[13:14], off offset:4
	;; [unrolled: 1-line block ×3, first 2 shown]
	global_load_dword v21, v[9:10], off
	v_add_u32_e32 v3, 32, v3
	v_cmp_le_u32_e32 vcc, s6, v3
	s_or_b64 s[4:5], vcc, s[4:5]
	s_waitcnt vmcnt(4)
	v_ashrrev_i32_e32 v7, v5, v12
	v_ashrrev_i32_e32 v8, v6, v12
	v_lshlrev_b32_e32 v12, 11, v7
	v_lshrrev_b32_e32 v13, 12, v7
	v_lshrrev_b32_e32 v14, 5, v7
	v_and_b32_e32 v12, 0x1000, v12
	s_waitcnt vmcnt(3)
	v_and_b32_e32 v10, 0xf0f0f0f, v15
	v_and_b32_e32 v13, 16, v13
	;; [unrolled: 1-line block ×3, first 2 shown]
	s_waitcnt vmcnt(0)
	v_pk_mul_f16 v9, v11, v21
	v_lshlrev_b32_e32 v11, 4, v7
	v_lshlrev_b32_e32 v21, 2, v7
	v_and_b32_e32 v11, 16, v11
	v_and_b32_e32 v21, 0x100000, v21
	v_or3_b32 v10, v11, v10, v12
	v_lshlrev_b32_e32 v11, 4, v8
	v_lshlrev_b32_e32 v12, 11, v8
	v_or3_b32 v13, v14, v13, v21
	v_lshlrev_b32_e32 v14, 18, v8
	v_and_b32_e32 v11, 16, v11
	v_and_b32_e32 v12, 0x1000, v12
	;; [unrolled: 1-line block ×3, first 2 shown]
	v_lshrrev_b32_e32 v21, 12, v8
	v_or3_b32 v11, v12, v11, v14
	v_lshrrev_b32_e32 v12, 5, v8
	v_lshlrev_b32_e32 v14, 2, v8
	v_and_b32_e32 v21, 16, v21
	v_and_b32_e32 v12, 0x1000, v12
	;; [unrolled: 1-line block ×3, first 2 shown]
	v_or3_b32 v12, v12, v21, v14
	v_lshlrev_b32_e32 v14, 18, v7
	v_lshlrev_b32_e32 v21, 25, v7
	v_and_b32_e32 v14, 0x100000, v14
	v_and_b32_e32 v21, 0x10000000, v21
	v_or3_b32 v10, v10, v14, v21
	v_lshrrev_b32_e32 v14, 4, v15
	v_lshlrev_b32_e32 v7, 9, v7
	v_lshlrev_b32_e32 v21, 25, v8
	v_and_b32_e32 v14, 0xf0f0f0f, v14
	v_and_b32_e32 v7, 0x10000000, v7
	;; [unrolled: 1-line block ×3, first 2 shown]
	v_lshrrev_b32_e32 v16, 4, v16
	v_lshlrev_b32_e32 v8, 9, v8
	v_or3_b32 v7, v13, v7, v14
	v_and_b32_e32 v14, 0x10000000, v21
	v_dot4_i32_i8 v10, v10, v17, 0
	v_and_b32_e32 v16, 0xf0f0f0f, v16
	v_and_b32_e32 v8, 0x10000000, v8
	v_or3_b32 v11, v11, v14, v15
	v_dot4_i32_i8 v7, v7, v19, v10
	v_or3_b32 v8, v12, v8, v16
	v_dot4_i32_i8 v7, v11, v18, v7
	v_cvt_f32_f16_sdwa v13, v9 dst_sel:DWORD dst_unused:UNUSED_PAD src0_sel:WORD_1
	v_dot4_i32_i8 v7, v8, v20, v7
	v_cvt_f32_i32_e32 v7, v7
	v_mul_f32_e32 v8, 0.5, v13
	v_fma_mix_f32 v7, v7, v9, v8 op_sel_hi:[0,1,0]
	v_add_f32_e32 v2, v2, v7
	s_andn2_b64 exec, exec, s[4:5]
	s_cbranch_execnz .LBB61_3
; %bb.4:
	s_or_b64 exec, exec, s[4:5]
.LBB61_5:
	s_or_b64 exec, exec, s[12:13]
	v_mbcnt_lo_u32_b32 v3, -1, 0
	v_mbcnt_hi_u32_b32 v3, -1, v3
	v_and_b32_e32 v4, 64, v3
	v_add_u32_e32 v4, 64, v4
	v_xor_b32_e32 v5, 32, v3
	v_cmp_lt_i32_e32 vcc, v5, v4
	v_cndmask_b32_e32 v5, v3, v5, vcc
	v_lshlrev_b32_e32 v5, 2, v5
	ds_bpermute_b32 v5, v5, v2
	v_xor_b32_e32 v6, 16, v3
	v_cmp_lt_i32_e32 vcc, v6, v4
	s_waitcnt lgkmcnt(0)
	v_add_f32_e32 v2, v2, v5
	v_cndmask_b32_e32 v5, v3, v6, vcc
	v_lshlrev_b32_e32 v5, 2, v5
	ds_bpermute_b32 v5, v5, v2
	v_xor_b32_e32 v6, 8, v3
	v_cmp_lt_i32_e32 vcc, v6, v4
	s_waitcnt lgkmcnt(0)
	v_add_f32_e32 v2, v2, v5
	;; [unrolled: 7-line block ×4, first 2 shown]
	v_cndmask_b32_e32 v5, v3, v6, vcc
	v_lshlrev_b32_e32 v5, 2, v5
	ds_bpermute_b32 v5, v5, v2
	v_xor_b32_e32 v6, 1, v3
	v_cmp_lt_i32_e32 vcc, v6, v4
	v_cndmask_b32_e32 v3, v3, v6, vcc
	v_lshlrev_b32_e32 v3, 2, v3
	s_waitcnt lgkmcnt(0)
	v_add_f32_e32 v2, v2, v5
	ds_bpermute_b32 v3, v3, v2
	v_cmp_eq_u32_e32 vcc, 0, v0
	s_and_b64 exec, exec, vcc
	s_cbranch_execz .LBB61_7
; %bb.6:
	s_mul_i32 s0, s1, s7
	v_add_u32_e32 v0, s0, v1
	v_mov_b32_e32 v1, 0
	v_lshlrev_b64 v[0:1], 2, v[0:1]
	s_waitcnt lgkmcnt(0)
	v_add_f32_e32 v2, v2, v3
	v_mov_b32_e32 v3, s3
	v_add_co_u32_e32 v0, vcc, s2, v0
	v_addc_co_u32_e32 v1, vcc, v3, v1, vcc
	global_store_dword v[0:1], v2, off
.LBB61_7:
	s_endpgm
	.section	.rodata,"a",@progbits
	.p2align	6, 0x0
	.amdhsa_kernel _ZL13mul_mat_vec_qIfLi32ELi4E10block_q5_1Li2EXadL_ZL17vec_dot_q5_1_q8_1PKvPK10block_q8_1RKiEEEvS2_S2_PT_iii
		.amdhsa_group_segment_fixed_size 0
		.amdhsa_private_segment_fixed_size 0
		.amdhsa_kernarg_size 296
		.amdhsa_user_sgpr_count 6
		.amdhsa_user_sgpr_private_segment_buffer 1
		.amdhsa_user_sgpr_dispatch_ptr 0
		.amdhsa_user_sgpr_queue_ptr 0
		.amdhsa_user_sgpr_kernarg_segment_ptr 1
		.amdhsa_user_sgpr_dispatch_id 0
		.amdhsa_user_sgpr_flat_scratch_init 0
		.amdhsa_user_sgpr_private_segment_size 0
		.amdhsa_uses_dynamic_stack 0
		.amdhsa_system_sgpr_private_segment_wavefront_offset 0
		.amdhsa_system_sgpr_workgroup_id_x 1
		.amdhsa_system_sgpr_workgroup_id_y 1
		.amdhsa_system_sgpr_workgroup_id_z 0
		.amdhsa_system_sgpr_workgroup_info 0
		.amdhsa_system_vgpr_workitem_id 1
		.amdhsa_next_free_vgpr 22
		.amdhsa_next_free_sgpr 16
		.amdhsa_reserve_vcc 1
		.amdhsa_reserve_flat_scratch 0
		.amdhsa_float_round_mode_32 0
		.amdhsa_float_round_mode_16_64 0
		.amdhsa_float_denorm_mode_32 3
		.amdhsa_float_denorm_mode_16_64 3
		.amdhsa_dx10_clamp 1
		.amdhsa_ieee_mode 1
		.amdhsa_fp16_overflow 0
		.amdhsa_exception_fp_ieee_invalid_op 0
		.amdhsa_exception_fp_denorm_src 0
		.amdhsa_exception_fp_ieee_div_zero 0
		.amdhsa_exception_fp_ieee_overflow 0
		.amdhsa_exception_fp_ieee_underflow 0
		.amdhsa_exception_fp_ieee_inexact 0
		.amdhsa_exception_int_div_zero 0
	.end_amdhsa_kernel
	.section	.text._ZL13mul_mat_vec_qIfLi32ELi4E10block_q5_1Li2EXadL_ZL17vec_dot_q5_1_q8_1PKvPK10block_q8_1RKiEEEvS2_S2_PT_iii,"axG",@progbits,_ZL13mul_mat_vec_qIfLi32ELi4E10block_q5_1Li2EXadL_ZL17vec_dot_q5_1_q8_1PKvPK10block_q8_1RKiEEEvS2_S2_PT_iii,comdat
.Lfunc_end61:
	.size	_ZL13mul_mat_vec_qIfLi32ELi4E10block_q5_1Li2EXadL_ZL17vec_dot_q5_1_q8_1PKvPK10block_q8_1RKiEEEvS2_S2_PT_iii, .Lfunc_end61-_ZL13mul_mat_vec_qIfLi32ELi4E10block_q5_1Li2EXadL_ZL17vec_dot_q5_1_q8_1PKvPK10block_q8_1RKiEEEvS2_S2_PT_iii
                                        ; -- End function
	.set _ZL13mul_mat_vec_qIfLi32ELi4E10block_q5_1Li2EXadL_ZL17vec_dot_q5_1_q8_1PKvPK10block_q8_1RKiEEEvS2_S2_PT_iii.num_vgpr, 22
	.set _ZL13mul_mat_vec_qIfLi32ELi4E10block_q5_1Li2EXadL_ZL17vec_dot_q5_1_q8_1PKvPK10block_q8_1RKiEEEvS2_S2_PT_iii.num_agpr, 0
	.set _ZL13mul_mat_vec_qIfLi32ELi4E10block_q5_1Li2EXadL_ZL17vec_dot_q5_1_q8_1PKvPK10block_q8_1RKiEEEvS2_S2_PT_iii.numbered_sgpr, 16
	.set _ZL13mul_mat_vec_qIfLi32ELi4E10block_q5_1Li2EXadL_ZL17vec_dot_q5_1_q8_1PKvPK10block_q8_1RKiEEEvS2_S2_PT_iii.num_named_barrier, 0
	.set _ZL13mul_mat_vec_qIfLi32ELi4E10block_q5_1Li2EXadL_ZL17vec_dot_q5_1_q8_1PKvPK10block_q8_1RKiEEEvS2_S2_PT_iii.private_seg_size, 0
	.set _ZL13mul_mat_vec_qIfLi32ELi4E10block_q5_1Li2EXadL_ZL17vec_dot_q5_1_q8_1PKvPK10block_q8_1RKiEEEvS2_S2_PT_iii.uses_vcc, 1
	.set _ZL13mul_mat_vec_qIfLi32ELi4E10block_q5_1Li2EXadL_ZL17vec_dot_q5_1_q8_1PKvPK10block_q8_1RKiEEEvS2_S2_PT_iii.uses_flat_scratch, 0
	.set _ZL13mul_mat_vec_qIfLi32ELi4E10block_q5_1Li2EXadL_ZL17vec_dot_q5_1_q8_1PKvPK10block_q8_1RKiEEEvS2_S2_PT_iii.has_dyn_sized_stack, 0
	.set _ZL13mul_mat_vec_qIfLi32ELi4E10block_q5_1Li2EXadL_ZL17vec_dot_q5_1_q8_1PKvPK10block_q8_1RKiEEEvS2_S2_PT_iii.has_recursion, 0
	.set _ZL13mul_mat_vec_qIfLi32ELi4E10block_q5_1Li2EXadL_ZL17vec_dot_q5_1_q8_1PKvPK10block_q8_1RKiEEEvS2_S2_PT_iii.has_indirect_call, 0
	.section	.AMDGPU.csdata,"",@progbits
; Kernel info:
; codeLenInByte = 916
; TotalNumSgprs: 20
; NumVgprs: 22
; ScratchSize: 0
; MemoryBound: 0
; FloatMode: 240
; IeeeMode: 1
; LDSByteSize: 0 bytes/workgroup (compile time only)
; SGPRBlocks: 2
; VGPRBlocks: 5
; NumSGPRsForWavesPerEU: 20
; NumVGPRsForWavesPerEU: 22
; Occupancy: 10
; WaveLimiterHint : 0
; COMPUTE_PGM_RSRC2:SCRATCH_EN: 0
; COMPUTE_PGM_RSRC2:USER_SGPR: 6
; COMPUTE_PGM_RSRC2:TRAP_HANDLER: 0
; COMPUTE_PGM_RSRC2:TGID_X_EN: 1
; COMPUTE_PGM_RSRC2:TGID_Y_EN: 1
; COMPUTE_PGM_RSRC2:TGID_Z_EN: 0
; COMPUTE_PGM_RSRC2:TIDIG_COMP_CNT: 1
	.section	.text._ZL13mul_mat_vec_qIfLi32ELi8E10block_q8_0Li2EXadL_ZL17vec_dot_q8_0_q8_1PKvPK10block_q8_1RKiEEEvS2_S2_PT_iii,"axG",@progbits,_ZL13mul_mat_vec_qIfLi32ELi8E10block_q8_0Li2EXadL_ZL17vec_dot_q8_0_q8_1PKvPK10block_q8_1RKiEEEvS2_S2_PT_iii,comdat
	.globl	_ZL13mul_mat_vec_qIfLi32ELi8E10block_q8_0Li2EXadL_ZL17vec_dot_q8_0_q8_1PKvPK10block_q8_1RKiEEEvS2_S2_PT_iii ; -- Begin function _ZL13mul_mat_vec_qIfLi32ELi8E10block_q8_0Li2EXadL_ZL17vec_dot_q8_0_q8_1PKvPK10block_q8_1RKiEEEvS2_S2_PT_iii
	.p2align	8
	.type	_ZL13mul_mat_vec_qIfLi32ELi8E10block_q8_0Li2EXadL_ZL17vec_dot_q8_0_q8_1PKvPK10block_q8_1RKiEEEvS2_S2_PT_iii,@function
_ZL13mul_mat_vec_qIfLi32ELi8E10block_q8_0Li2EXadL_ZL17vec_dot_q8_0_q8_1PKvPK10block_q8_1RKiEEEvS2_S2_PT_iii: ; @_ZL13mul_mat_vec_qIfLi32ELi8E10block_q8_0Li2EXadL_ZL17vec_dot_q8_0_q8_1PKvPK10block_q8_1RKiEEEvS2_S2_PT_iii
; %bb.0:
	s_load_dword s8, s[4:5], 0x34
	s_load_dwordx4 s[0:3], s[4:5], 0x18
	s_waitcnt lgkmcnt(0)
	s_lshr_b32 s3, s8, 16
	s_mul_i32 s6, s6, s3
	v_add_u32_e32 v1, s6, v1
	s_cmp_lt_u32 s7, s2
	v_cmp_gt_u32_e32 vcc, s1, v1
	s_cselect_b64 s[2:3], -1, 0
	s_and_b64 s[2:3], s[2:3], vcc
	s_and_saveexec_b64 s[8:9], s[2:3]
	s_cbranch_execz .LBB62_7
; %bb.1:
	s_load_dwordx2 s[2:3], s[4:5], 0x10
	s_ashr_i32 s6, s0, 31
	s_lshr_b32 s6, s6, 27
	s_add_i32 s6, s0, s6
	s_ashr_i32 s6, s6, 5
	v_lshrrev_b32_e32 v3, 2, v0
	v_cmp_gt_u32_e32 vcc, s6, v3
	v_mov_b32_e32 v2, 0
	s_and_saveexec_b64 s[12:13], vcc
	s_cbranch_execz .LBB62_5
; %bb.2:
	s_addk_i32 s0, 0x1ff
	s_load_dwordx4 s[8:11], s[4:5], 0x0
	s_ashr_i32 s4, s0, 31
	s_lshr_b32 s4, s4, 23
	s_add_i32 s0, s0, s4
	v_mul_lo_u32 v4, v1, s6
	s_ashr_i32 s0, s0, 9
	s_mul_i32 s0, s7, s0
	v_lshlrev_b32_e32 v2, 3, v0
	s_lshl_b32 s0, s0, 4
	v_and_b32_e32 v5, 24, v2
	v_mov_b32_e32 v2, 0
	s_mov_b64 s[4:5], 0
.LBB62_3:                               ; =>This Inner Loop Header: Depth=1
	v_add_u32_e32 v6, v4, v3
	s_waitcnt lgkmcnt(0)
	v_mad_i64_i32 v[6:7], s[14:15], v6, 34, s[8:9]
	v_add_u32_e32 v8, s0, v3
	v_mad_i64_i32 v[8:9], s[14:15], v8, 36, s[10:11]
	v_add_co_u32_e32 v10, vcc, v6, v5
	v_addc_co_u32_e32 v11, vcc, 0, v7, vcc
	v_add_co_u32_e32 v12, vcc, v8, v5
	v_addc_co_u32_e32 v13, vcc, 0, v9, vcc
	global_load_ushort v18, v[6:7], off
	global_load_dwordx2 v[14:15], v[10:11], off offset:2
	global_load_dwordx2 v[16:17], v[12:13], off offset:4
	global_load_dword v19, v[8:9], off
	v_add_u32_e32 v3, 16, v3
	v_cmp_le_u32_e32 vcc, s6, v3
	s_or_b64 s[4:5], vcc, s[4:5]
	s_waitcnt vmcnt(3)
	v_cvt_f32_f16_e32 v6, v18
	s_waitcnt vmcnt(1)
	v_dot4_i32_i8 v8, v14, v16, 0
	s_waitcnt vmcnt(0)
	v_cvt_f32_f16_e32 v7, v19
	v_dot4_i32_i8 v8, v15, v17, v8
	v_cvt_f32_i32_e32 v8, v8
	v_mul_f32_e32 v6, v6, v7
	v_fmac_f32_e32 v2, v6, v8
	s_andn2_b64 exec, exec, s[4:5]
	s_cbranch_execnz .LBB62_3
; %bb.4:
	s_or_b64 exec, exec, s[4:5]
.LBB62_5:
	s_or_b64 exec, exec, s[12:13]
	v_mbcnt_lo_u32_b32 v3, -1, 0
	v_mbcnt_hi_u32_b32 v3, -1, v3
	v_and_b32_e32 v4, 64, v3
	v_add_u32_e32 v4, 64, v4
	v_xor_b32_e32 v5, 32, v3
	v_cmp_lt_i32_e32 vcc, v5, v4
	v_cndmask_b32_e32 v5, v3, v5, vcc
	v_lshlrev_b32_e32 v5, 2, v5
	ds_bpermute_b32 v5, v5, v2
	v_xor_b32_e32 v6, 16, v3
	v_cmp_lt_i32_e32 vcc, v6, v4
	s_waitcnt lgkmcnt(0)
	v_add_f32_e32 v2, v2, v5
	v_cndmask_b32_e32 v5, v3, v6, vcc
	v_lshlrev_b32_e32 v5, 2, v5
	ds_bpermute_b32 v5, v5, v2
	v_xor_b32_e32 v6, 8, v3
	v_cmp_lt_i32_e32 vcc, v6, v4
	s_waitcnt lgkmcnt(0)
	v_add_f32_e32 v2, v2, v5
	;; [unrolled: 7-line block ×4, first 2 shown]
	v_cndmask_b32_e32 v5, v3, v6, vcc
	v_lshlrev_b32_e32 v5, 2, v5
	ds_bpermute_b32 v5, v5, v2
	v_xor_b32_e32 v6, 1, v3
	v_cmp_lt_i32_e32 vcc, v6, v4
	v_cndmask_b32_e32 v3, v3, v6, vcc
	v_lshlrev_b32_e32 v3, 2, v3
	s_waitcnt lgkmcnt(0)
	v_add_f32_e32 v2, v2, v5
	ds_bpermute_b32 v3, v3, v2
	v_cmp_eq_u32_e32 vcc, 0, v0
	s_and_b64 exec, exec, vcc
	s_cbranch_execz .LBB62_7
; %bb.6:
	s_mul_i32 s0, s1, s7
	v_add_u32_e32 v0, s0, v1
	v_mov_b32_e32 v1, 0
	v_lshlrev_b64 v[0:1], 2, v[0:1]
	s_waitcnt lgkmcnt(0)
	v_add_f32_e32 v2, v2, v3
	v_mov_b32_e32 v3, s3
	v_add_co_u32_e32 v0, vcc, s2, v0
	v_addc_co_u32_e32 v1, vcc, v3, v1, vcc
	global_store_dword v[0:1], v2, off
.LBB62_7:
	s_endpgm
	.section	.rodata,"a",@progbits
	.p2align	6, 0x0
	.amdhsa_kernel _ZL13mul_mat_vec_qIfLi32ELi8E10block_q8_0Li2EXadL_ZL17vec_dot_q8_0_q8_1PKvPK10block_q8_1RKiEEEvS2_S2_PT_iii
		.amdhsa_group_segment_fixed_size 0
		.amdhsa_private_segment_fixed_size 0
		.amdhsa_kernarg_size 296
		.amdhsa_user_sgpr_count 6
		.amdhsa_user_sgpr_private_segment_buffer 1
		.amdhsa_user_sgpr_dispatch_ptr 0
		.amdhsa_user_sgpr_queue_ptr 0
		.amdhsa_user_sgpr_kernarg_segment_ptr 1
		.amdhsa_user_sgpr_dispatch_id 0
		.amdhsa_user_sgpr_flat_scratch_init 0
		.amdhsa_user_sgpr_private_segment_size 0
		.amdhsa_uses_dynamic_stack 0
		.amdhsa_system_sgpr_private_segment_wavefront_offset 0
		.amdhsa_system_sgpr_workgroup_id_x 1
		.amdhsa_system_sgpr_workgroup_id_y 1
		.amdhsa_system_sgpr_workgroup_id_z 0
		.amdhsa_system_sgpr_workgroup_info 0
		.amdhsa_system_vgpr_workitem_id 1
		.amdhsa_next_free_vgpr 20
		.amdhsa_next_free_sgpr 16
		.amdhsa_reserve_vcc 1
		.amdhsa_reserve_flat_scratch 0
		.amdhsa_float_round_mode_32 0
		.amdhsa_float_round_mode_16_64 0
		.amdhsa_float_denorm_mode_32 3
		.amdhsa_float_denorm_mode_16_64 3
		.amdhsa_dx10_clamp 1
		.amdhsa_ieee_mode 1
		.amdhsa_fp16_overflow 0
		.amdhsa_exception_fp_ieee_invalid_op 0
		.amdhsa_exception_fp_denorm_src 0
		.amdhsa_exception_fp_ieee_div_zero 0
		.amdhsa_exception_fp_ieee_overflow 0
		.amdhsa_exception_fp_ieee_underflow 0
		.amdhsa_exception_fp_ieee_inexact 0
		.amdhsa_exception_int_div_zero 0
	.end_amdhsa_kernel
	.section	.text._ZL13mul_mat_vec_qIfLi32ELi8E10block_q8_0Li2EXadL_ZL17vec_dot_q8_0_q8_1PKvPK10block_q8_1RKiEEEvS2_S2_PT_iii,"axG",@progbits,_ZL13mul_mat_vec_qIfLi32ELi8E10block_q8_0Li2EXadL_ZL17vec_dot_q8_0_q8_1PKvPK10block_q8_1RKiEEEvS2_S2_PT_iii,comdat
.Lfunc_end62:
	.size	_ZL13mul_mat_vec_qIfLi32ELi8E10block_q8_0Li2EXadL_ZL17vec_dot_q8_0_q8_1PKvPK10block_q8_1RKiEEEvS2_S2_PT_iii, .Lfunc_end62-_ZL13mul_mat_vec_qIfLi32ELi8E10block_q8_0Li2EXadL_ZL17vec_dot_q8_0_q8_1PKvPK10block_q8_1RKiEEEvS2_S2_PT_iii
                                        ; -- End function
	.set _ZL13mul_mat_vec_qIfLi32ELi8E10block_q8_0Li2EXadL_ZL17vec_dot_q8_0_q8_1PKvPK10block_q8_1RKiEEEvS2_S2_PT_iii.num_vgpr, 20
	.set _ZL13mul_mat_vec_qIfLi32ELi8E10block_q8_0Li2EXadL_ZL17vec_dot_q8_0_q8_1PKvPK10block_q8_1RKiEEEvS2_S2_PT_iii.num_agpr, 0
	.set _ZL13mul_mat_vec_qIfLi32ELi8E10block_q8_0Li2EXadL_ZL17vec_dot_q8_0_q8_1PKvPK10block_q8_1RKiEEEvS2_S2_PT_iii.numbered_sgpr, 16
	.set _ZL13mul_mat_vec_qIfLi32ELi8E10block_q8_0Li2EXadL_ZL17vec_dot_q8_0_q8_1PKvPK10block_q8_1RKiEEEvS2_S2_PT_iii.num_named_barrier, 0
	.set _ZL13mul_mat_vec_qIfLi32ELi8E10block_q8_0Li2EXadL_ZL17vec_dot_q8_0_q8_1PKvPK10block_q8_1RKiEEEvS2_S2_PT_iii.private_seg_size, 0
	.set _ZL13mul_mat_vec_qIfLi32ELi8E10block_q8_0Li2EXadL_ZL17vec_dot_q8_0_q8_1PKvPK10block_q8_1RKiEEEvS2_S2_PT_iii.uses_vcc, 1
	.set _ZL13mul_mat_vec_qIfLi32ELi8E10block_q8_0Li2EXadL_ZL17vec_dot_q8_0_q8_1PKvPK10block_q8_1RKiEEEvS2_S2_PT_iii.uses_flat_scratch, 0
	.set _ZL13mul_mat_vec_qIfLi32ELi8E10block_q8_0Li2EXadL_ZL17vec_dot_q8_0_q8_1PKvPK10block_q8_1RKiEEEvS2_S2_PT_iii.has_dyn_sized_stack, 0
	.set _ZL13mul_mat_vec_qIfLi32ELi8E10block_q8_0Li2EXadL_ZL17vec_dot_q8_0_q8_1PKvPK10block_q8_1RKiEEEvS2_S2_PT_iii.has_recursion, 0
	.set _ZL13mul_mat_vec_qIfLi32ELi8E10block_q8_0Li2EXadL_ZL17vec_dot_q8_0_q8_1PKvPK10block_q8_1RKiEEEvS2_S2_PT_iii.has_indirect_call, 0
	.section	.AMDGPU.csdata,"",@progbits
; Kernel info:
; codeLenInByte = 584
; TotalNumSgprs: 20
; NumVgprs: 20
; ScratchSize: 0
; MemoryBound: 0
; FloatMode: 240
; IeeeMode: 1
; LDSByteSize: 0 bytes/workgroup (compile time only)
; SGPRBlocks: 2
; VGPRBlocks: 4
; NumSGPRsForWavesPerEU: 20
; NumVGPRsForWavesPerEU: 20
; Occupancy: 10
; WaveLimiterHint : 0
; COMPUTE_PGM_RSRC2:SCRATCH_EN: 0
; COMPUTE_PGM_RSRC2:USER_SGPR: 6
; COMPUTE_PGM_RSRC2:TRAP_HANDLER: 0
; COMPUTE_PGM_RSRC2:TGID_X_EN: 1
; COMPUTE_PGM_RSRC2:TGID_Y_EN: 1
; COMPUTE_PGM_RSRC2:TGID_Z_EN: 0
; COMPUTE_PGM_RSRC2:TIDIG_COMP_CNT: 1
	.section	.text._ZL13mul_mat_vec_qIfLi256ELi16E10block_q2_KLi1EXadL_ZL17vec_dot_q2_K_q8_1PKvPK10block_q8_1RKiEEEvS2_S2_PT_iii,"axG",@progbits,_ZL13mul_mat_vec_qIfLi256ELi16E10block_q2_KLi1EXadL_ZL17vec_dot_q2_K_q8_1PKvPK10block_q8_1RKiEEEvS2_S2_PT_iii,comdat
	.globl	_ZL13mul_mat_vec_qIfLi256ELi16E10block_q2_KLi1EXadL_ZL17vec_dot_q2_K_q8_1PKvPK10block_q8_1RKiEEEvS2_S2_PT_iii ; -- Begin function _ZL13mul_mat_vec_qIfLi256ELi16E10block_q2_KLi1EXadL_ZL17vec_dot_q2_K_q8_1PKvPK10block_q8_1RKiEEEvS2_S2_PT_iii
	.p2align	8
	.type	_ZL13mul_mat_vec_qIfLi256ELi16E10block_q2_KLi1EXadL_ZL17vec_dot_q2_K_q8_1PKvPK10block_q8_1RKiEEEvS2_S2_PT_iii,@function
_ZL13mul_mat_vec_qIfLi256ELi16E10block_q2_KLi1EXadL_ZL17vec_dot_q2_K_q8_1PKvPK10block_q8_1RKiEEEvS2_S2_PT_iii: ; @_ZL13mul_mat_vec_qIfLi256ELi16E10block_q2_KLi1EXadL_ZL17vec_dot_q2_K_q8_1PKvPK10block_q8_1RKiEEEvS2_S2_PT_iii
; %bb.0:
	s_load_dword s8, s[4:5], 0x34
	s_load_dwordx4 s[0:3], s[4:5], 0x18
	s_waitcnt lgkmcnt(0)
	s_lshr_b32 s3, s8, 16
	s_mul_i32 s6, s6, s3
	v_add_u32_e32 v17, s6, v1
	s_cmp_lt_u32 s7, s2
	v_cmp_gt_u32_e32 vcc, s1, v17
	s_cselect_b64 s[2:3], -1, 0
	s_and_b64 s[2:3], s[2:3], vcc
	s_and_saveexec_b64 s[8:9], s[2:3]
	s_cbranch_execz .LBB63_7
; %bb.1:
	s_load_dwordx2 s[2:3], s[4:5], 0x10
	s_ashr_i32 s6, s0, 31
	s_lshr_b32 s6, s6, 24
	s_add_i32 s6, s0, s6
	s_ashr_i32 s6, s6, 8
	v_lshrrev_b32_e32 v18, 4, v0
	v_cmp_gt_u32_e32 vcc, s6, v18
	v_mov_b32_e32 v2, 0
	s_and_saveexec_b64 s[8:9], vcc
	s_cbranch_execz .LBB63_5
; %bb.2:
	s_load_dwordx4 s[12:15], s[4:5], 0x0
	s_addk_i32 s0, 0x1ff
	s_ashr_i32 s4, s0, 31
	v_and_b32_e32 v7, 15, v0
	v_lshrrev_b32_e32 v1, 1, v0
	s_lshr_b32 s4, s4, 23
	v_and_b32_e32 v5, 4, v1
	v_subrev_co_u32_e32 v1, vcc, 8, v7
	s_add_i32 s0, s0, s4
	v_cndmask_b32_e32 v1, v1, v7, vcc
	s_ashr_i32 s0, s0, 9
	v_mul_lo_u32 v19, v17, s6
	v_lshlrev_b32_e32 v20, 2, v7
	v_mov_b32_e32 v2, 0
	s_waitcnt lgkmcnt(0)
	v_mad_u64_u32 v[5:6], s[4:5], v5, 36, s[14:15]
	v_sub_u32_e32 v7, v7, v1
	v_cmp_lt_u32_e32 vcc, 3, v1
	s_mul_i32 s0, s7, s0
	v_lshlrev_b64 v[3:4], 2, v[1:2]
	v_addc_co_u32_e32 v1, vcc, 0, v7, vcc
	v_lshlrev_b32_e32 v7, 3, v18
	v_lshl_add_u32 v22, s0, 4, v7
	v_mov_b32_e32 v7, s12
	v_ashrrev_i32_e32 v21, 31, v1
	s_mov_b64 s[4:5], 0
	s_movk_i32 s0, 0x54
	v_mov_b32_e32 v8, s13
	s_mov_b32 s10, 0x1010101
.LBB63_3:                               ; =>This Inner Loop Header: Depth=1
	v_add_u32_e32 v9, v19, v18
	v_mad_i64_i32 v[9:10], s[12:13], v9, s0, v[7:8]
	v_add_u32_e32 v18, 4, v18
	v_add_co_u32_e32 v11, vcc, v9, v20
	v_addc_co_u32_e32 v12, vcc, 0, v10, vcc
	global_load_dword v23, v[11:12], off offset:16
	v_mad_i64_i32 v[11:12], s[12:13], v22, 36, v[5:6]
	v_add_u32_e32 v22, 32, v22
	v_add_co_u32_e32 v13, vcc, v11, v3
	v_addc_co_u32_e32 v14, vcc, v12, v4, vcc
	v_add_co_u32_e32 v15, vcc, v9, v1
	v_addc_co_u32_e32 v16, vcc, v10, v21, vcc
	global_load_ubyte v26, v[15:16], off
	global_load_ubyte v29, v[15:16], off offset:2
	global_load_dword v24, v[13:14], off offset:4
	global_load_dword v28, v[13:14], off offset:40
	v_cmp_le_u32_e32 vcc, s6, v18
	s_or_b64 s[4:5], vcc, s[4:5]
	s_waitcnt vmcnt(4)
	v_and_b32_e32 v25, 0x3030303, v23
	s_waitcnt vmcnt(3)
	v_and_b32_e32 v27, 15, v26
	v_lshrrev_b32_e32 v26, 4, v26
	v_mul_lo_u32 v26, v26, s10
	s_waitcnt vmcnt(1)
	v_dot4_i32_i8 v25, v25, v24, 0
	v_mul_lo_u32 v25, v27, v25
	v_lshrrev_b32_e32 v27, 2, v23
	v_dot4_i32_i8 v24, v26, v24, 0
	v_lshrrev_b32_e32 v26, 4, v29
	v_mul_lo_u32 v26, v26, s10
	v_and_b32_e32 v27, 0x3030303, v27
	s_waitcnt vmcnt(0)
	v_dot4_i32_i8 v27, v27, v28, 0
	v_cvt_f32_i32_e32 v25, v25
	v_dot4_i32_i8 v26, v26, v28, 0
	global_load_dword v28, v[11:12], off
	v_cvt_f32_i32_e32 v24, v24
	v_and_b32_e32 v30, 15, v29
	v_mul_lo_u32 v27, v30, v27
	v_cvt_f32_i32_e32 v26, v26
	v_cvt_f32_i32_e32 v27, v27
	s_waitcnt vmcnt(0)
	v_fma_mix_f32 v25, v28, v25, 0 op_sel_hi:[1,0,0]
	v_fma_mix_f32 v24, v28, v24, 0 op_sel_hi:[1,0,0]
	global_load_dword v28, v[11:12], off offset:36
	s_waitcnt vmcnt(0)
	v_fma_mix_f32 v25, v28, v27, v25 op_sel_hi:[1,0,0]
	v_fma_mix_f32 v24, v28, v26, v24 op_sel_hi:[1,0,0]
	global_load_ubyte v28, v[15:16], off offset:4
	global_load_dword v27, v[13:14], off offset:76
	v_lshrrev_b32_e32 v26, 4, v23
	v_and_b32_e32 v26, 0x3030303, v26
	s_waitcnt vmcnt(1)
	v_and_b32_e32 v29, 15, v28
	v_lshrrev_b32_e32 v28, 4, v28
	v_mul_lo_u32 v28, v28, s10
	s_waitcnt vmcnt(0)
	v_dot4_i32_i8 v26, v26, v27, 0
	v_mul_lo_u32 v26, v29, v26
	v_dot4_i32_i8 v27, v28, v27, 0
	global_load_dword v28, v[11:12], off offset:72
	v_cvt_f32_i32_e32 v26, v26
	s_waitcnt vmcnt(0)
	v_fma_mix_f32 v25, v28, v26, v25 op_sel_hi:[1,0,0]
	v_cvt_f32_i32_e32 v26, v27
	v_fma_mix_f32 v24, v28, v26, v24 op_sel_hi:[1,0,0]
	global_load_dword v26, v[11:12], off offset:108
	global_load_dword v27, v[13:14], off offset:112
	global_load_ubyte v28, v[15:16], off offset:6
	v_lshrrev_b32_e32 v11, 6, v23
	global_load_dword v9, v[9:10], off offset:80
	v_and_b32_e32 v11, 0x3030303, v11
	s_waitcnt vmcnt(2)
	v_dot4_i32_i8 v11, v11, v27, 0
	s_waitcnt vmcnt(1)
	v_and_b32_e32 v12, 15, v28
	v_mul_lo_u32 v11, v12, v11
	v_lshrrev_b32_e32 v12, 4, v28
	v_mul_lo_u32 v12, v12, s10
	s_waitcnt vmcnt(0)
	v_cvt_f32_f16_sdwa v10, v9 dst_sel:DWORD dst_unused:UNUSED_PAD src0_sel:WORD_1
	v_cvt_f32_i32_e32 v11, v11
	v_dot4_i32_i8 v12, v12, v27, 0
	v_cvt_f32_i32_e32 v12, v12
	v_fma_mix_f32 v11, v26, v11, v25 op_sel_hi:[1,0,0]
	v_fma_mix_f32 v12, v26, v12, v24 op_sel_hi:[1,0,0]
	v_mul_f32_e32 v10, v12, v10
	v_fma_mix_f32 v9, v11, v9, -v10 op_sel_hi:[0,1,0]
	v_add_f32_e32 v2, v2, v9
	s_andn2_b64 exec, exec, s[4:5]
	s_cbranch_execnz .LBB63_3
; %bb.4:
	s_or_b64 exec, exec, s[4:5]
.LBB63_5:
	s_or_b64 exec, exec, s[8:9]
	v_mbcnt_lo_u32_b32 v1, -1, 0
	v_mbcnt_hi_u32_b32 v3, -1, v1
	v_and_b32_e32 v1, 64, v3
	v_add_u32_e32 v4, 64, v1
	v_xor_b32_e32 v1, 32, v3
	v_cmp_lt_i32_e32 vcc, v1, v4
	v_cndmask_b32_e32 v1, v3, v1, vcc
	v_lshlrev_b32_e32 v1, 2, v1
	ds_bpermute_b32 v1, v1, v2
	v_xor_b32_e32 v5, 16, v3
	v_cmp_lt_i32_e32 vcc, v5, v4
	s_waitcnt lgkmcnt(0)
	v_add_f32_e32 v1, v2, v1
	v_cndmask_b32_e32 v2, v3, v5, vcc
	v_lshlrev_b32_e32 v2, 2, v2
	ds_bpermute_b32 v2, v2, v1
	v_xor_b32_e32 v5, 8, v3
	v_cmp_lt_i32_e32 vcc, v5, v4
	s_waitcnt lgkmcnt(0)
	v_add_f32_e32 v1, v1, v2
	;; [unrolled: 7-line block ×5, first 2 shown]
	v_cndmask_b32_e32 v2, v3, v5, vcc
	v_lshlrev_b32_e32 v2, 2, v2
	ds_bpermute_b32 v2, v2, v1
	v_cmp_eq_u32_e32 vcc, 0, v0
	s_and_b64 exec, exec, vcc
	s_cbranch_execz .LBB63_7
; %bb.6:
	s_mul_i32 s0, s1, s7
	s_waitcnt lgkmcnt(0)
	v_add_f32_e32 v2, v1, v2
	v_add_u32_e32 v0, s0, v17
	v_mov_b32_e32 v1, 0
	v_lshlrev_b64 v[0:1], 2, v[0:1]
	v_mov_b32_e32 v3, s3
	v_add_co_u32_e32 v0, vcc, s2, v0
	v_addc_co_u32_e32 v1, vcc, v3, v1, vcc
	global_store_dword v[0:1], v2, off
.LBB63_7:
	s_endpgm
	.section	.rodata,"a",@progbits
	.p2align	6, 0x0
	.amdhsa_kernel _ZL13mul_mat_vec_qIfLi256ELi16E10block_q2_KLi1EXadL_ZL17vec_dot_q2_K_q8_1PKvPK10block_q8_1RKiEEEvS2_S2_PT_iii
		.amdhsa_group_segment_fixed_size 0
		.amdhsa_private_segment_fixed_size 0
		.amdhsa_kernarg_size 296
		.amdhsa_user_sgpr_count 6
		.amdhsa_user_sgpr_private_segment_buffer 1
		.amdhsa_user_sgpr_dispatch_ptr 0
		.amdhsa_user_sgpr_queue_ptr 0
		.amdhsa_user_sgpr_kernarg_segment_ptr 1
		.amdhsa_user_sgpr_dispatch_id 0
		.amdhsa_user_sgpr_flat_scratch_init 0
		.amdhsa_user_sgpr_private_segment_size 0
		.amdhsa_uses_dynamic_stack 0
		.amdhsa_system_sgpr_private_segment_wavefront_offset 0
		.amdhsa_system_sgpr_workgroup_id_x 1
		.amdhsa_system_sgpr_workgroup_id_y 1
		.amdhsa_system_sgpr_workgroup_id_z 0
		.amdhsa_system_sgpr_workgroup_info 0
		.amdhsa_system_vgpr_workitem_id 1
		.amdhsa_next_free_vgpr 31
		.amdhsa_next_free_sgpr 16
		.amdhsa_reserve_vcc 1
		.amdhsa_reserve_flat_scratch 0
		.amdhsa_float_round_mode_32 0
		.amdhsa_float_round_mode_16_64 0
		.amdhsa_float_denorm_mode_32 3
		.amdhsa_float_denorm_mode_16_64 3
		.amdhsa_dx10_clamp 1
		.amdhsa_ieee_mode 1
		.amdhsa_fp16_overflow 0
		.amdhsa_exception_fp_ieee_invalid_op 0
		.amdhsa_exception_fp_denorm_src 0
		.amdhsa_exception_fp_ieee_div_zero 0
		.amdhsa_exception_fp_ieee_overflow 0
		.amdhsa_exception_fp_ieee_underflow 0
		.amdhsa_exception_fp_ieee_inexact 0
		.amdhsa_exception_int_div_zero 0
	.end_amdhsa_kernel
	.section	.text._ZL13mul_mat_vec_qIfLi256ELi16E10block_q2_KLi1EXadL_ZL17vec_dot_q2_K_q8_1PKvPK10block_q8_1RKiEEEvS2_S2_PT_iii,"axG",@progbits,_ZL13mul_mat_vec_qIfLi256ELi16E10block_q2_KLi1EXadL_ZL17vec_dot_q2_K_q8_1PKvPK10block_q8_1RKiEEEvS2_S2_PT_iii,comdat
.Lfunc_end63:
	.size	_ZL13mul_mat_vec_qIfLi256ELi16E10block_q2_KLi1EXadL_ZL17vec_dot_q2_K_q8_1PKvPK10block_q8_1RKiEEEvS2_S2_PT_iii, .Lfunc_end63-_ZL13mul_mat_vec_qIfLi256ELi16E10block_q2_KLi1EXadL_ZL17vec_dot_q2_K_q8_1PKvPK10block_q8_1RKiEEEvS2_S2_PT_iii
                                        ; -- End function
	.set _ZL13mul_mat_vec_qIfLi256ELi16E10block_q2_KLi1EXadL_ZL17vec_dot_q2_K_q8_1PKvPK10block_q8_1RKiEEEvS2_S2_PT_iii.num_vgpr, 31
	.set _ZL13mul_mat_vec_qIfLi256ELi16E10block_q2_KLi1EXadL_ZL17vec_dot_q2_K_q8_1PKvPK10block_q8_1RKiEEEvS2_S2_PT_iii.num_agpr, 0
	.set _ZL13mul_mat_vec_qIfLi256ELi16E10block_q2_KLi1EXadL_ZL17vec_dot_q2_K_q8_1PKvPK10block_q8_1RKiEEEvS2_S2_PT_iii.numbered_sgpr, 16
	.set _ZL13mul_mat_vec_qIfLi256ELi16E10block_q2_KLi1EXadL_ZL17vec_dot_q2_K_q8_1PKvPK10block_q8_1RKiEEEvS2_S2_PT_iii.num_named_barrier, 0
	.set _ZL13mul_mat_vec_qIfLi256ELi16E10block_q2_KLi1EXadL_ZL17vec_dot_q2_K_q8_1PKvPK10block_q8_1RKiEEEvS2_S2_PT_iii.private_seg_size, 0
	.set _ZL13mul_mat_vec_qIfLi256ELi16E10block_q2_KLi1EXadL_ZL17vec_dot_q2_K_q8_1PKvPK10block_q8_1RKiEEEvS2_S2_PT_iii.uses_vcc, 1
	.set _ZL13mul_mat_vec_qIfLi256ELi16E10block_q2_KLi1EXadL_ZL17vec_dot_q2_K_q8_1PKvPK10block_q8_1RKiEEEvS2_S2_PT_iii.uses_flat_scratch, 0
	.set _ZL13mul_mat_vec_qIfLi256ELi16E10block_q2_KLi1EXadL_ZL17vec_dot_q2_K_q8_1PKvPK10block_q8_1RKiEEEvS2_S2_PT_iii.has_dyn_sized_stack, 0
	.set _ZL13mul_mat_vec_qIfLi256ELi16E10block_q2_KLi1EXadL_ZL17vec_dot_q2_K_q8_1PKvPK10block_q8_1RKiEEEvS2_S2_PT_iii.has_recursion, 0
	.set _ZL13mul_mat_vec_qIfLi256ELi16E10block_q2_KLi1EXadL_ZL17vec_dot_q2_K_q8_1PKvPK10block_q8_1RKiEEEvS2_S2_PT_iii.has_indirect_call, 0
	.section	.AMDGPU.csdata,"",@progbits
; Kernel info:
; codeLenInByte = 1072
; TotalNumSgprs: 20
; NumVgprs: 31
; ScratchSize: 0
; MemoryBound: 0
; FloatMode: 240
; IeeeMode: 1
; LDSByteSize: 0 bytes/workgroup (compile time only)
; SGPRBlocks: 2
; VGPRBlocks: 7
; NumSGPRsForWavesPerEU: 20
; NumVGPRsForWavesPerEU: 31
; Occupancy: 8
; WaveLimiterHint : 0
; COMPUTE_PGM_RSRC2:SCRATCH_EN: 0
; COMPUTE_PGM_RSRC2:USER_SGPR: 6
; COMPUTE_PGM_RSRC2:TRAP_HANDLER: 0
; COMPUTE_PGM_RSRC2:TGID_X_EN: 1
; COMPUTE_PGM_RSRC2:TGID_Y_EN: 1
; COMPUTE_PGM_RSRC2:TGID_Z_EN: 0
; COMPUTE_PGM_RSRC2:TIDIG_COMP_CNT: 1
	.section	.text._ZL13mul_mat_vec_qIfLi256ELi16E10block_q3_KLi1EXadL_ZL17vec_dot_q3_K_q8_1PKvPK10block_q8_1RKiEEEvS2_S2_PT_iii,"axG",@progbits,_ZL13mul_mat_vec_qIfLi256ELi16E10block_q3_KLi1EXadL_ZL17vec_dot_q3_K_q8_1PKvPK10block_q8_1RKiEEEvS2_S2_PT_iii,comdat
	.globl	_ZL13mul_mat_vec_qIfLi256ELi16E10block_q3_KLi1EXadL_ZL17vec_dot_q3_K_q8_1PKvPK10block_q8_1RKiEEEvS2_S2_PT_iii ; -- Begin function _ZL13mul_mat_vec_qIfLi256ELi16E10block_q3_KLi1EXadL_ZL17vec_dot_q3_K_q8_1PKvPK10block_q8_1RKiEEEvS2_S2_PT_iii
	.p2align	8
	.type	_ZL13mul_mat_vec_qIfLi256ELi16E10block_q3_KLi1EXadL_ZL17vec_dot_q3_K_q8_1PKvPK10block_q8_1RKiEEEvS2_S2_PT_iii,@function
_ZL13mul_mat_vec_qIfLi256ELi16E10block_q3_KLi1EXadL_ZL17vec_dot_q3_K_q8_1PKvPK10block_q8_1RKiEEEvS2_S2_PT_iii: ; @_ZL13mul_mat_vec_qIfLi256ELi16E10block_q3_KLi1EXadL_ZL17vec_dot_q3_K_q8_1PKvPK10block_q8_1RKiEEEvS2_S2_PT_iii
; %bb.0:
	s_load_dword s8, s[4:5], 0x34
	s_load_dwordx4 s[0:3], s[4:5], 0x18
	s_waitcnt lgkmcnt(0)
	s_lshr_b32 s3, s8, 16
	s_mul_i32 s6, s6, s3
	v_add_u32_e32 v9, s6, v1
	s_cmp_lt_u32 s7, s2
	v_cmp_gt_u32_e32 vcc, s1, v9
	s_cselect_b64 s[2:3], -1, 0
	s_and_b64 s[2:3], s[2:3], vcc
	s_and_saveexec_b64 s[8:9], s[2:3]
	s_cbranch_execz .LBB64_7
; %bb.1:
	s_load_dwordx2 s[2:3], s[4:5], 0x10
	s_ashr_i32 s6, s0, 31
	s_lshr_b32 s6, s6, 24
	s_add_i32 s6, s0, s6
	s_ashr_i32 s6, s6, 8
	v_lshrrev_b32_e32 v10, 4, v0
	v_cmp_gt_u32_e32 vcc, s6, v10
	v_mov_b32_e32 v2, 0
	s_and_saveexec_b64 s[12:13], vcc
	s_cbranch_execz .LBB64_5
; %bb.2:
	v_and_b32_e32 v2, 15, v0
	v_subrev_co_u32_e32 v1, vcc, 8, v2
	v_cndmask_b32_e32 v1, v1, v2, vcc
	v_sub_u32_e32 v3, v2, v1
	v_cmp_lt_u32_e32 vcc, 3, v1
	v_addc_co_u32_e32 v3, vcc, 0, v3, vcc
	v_mov_b32_e32 v4, 7
	v_add_u16_e32 v8, 2, v3
	v_mov_b32_e32 v6, 5
	v_lshrrev_b16_sdwa v11, v4, sext(v8) dst_sel:DWORD dst_unused:UNUSED_PAD src0_sel:DWORD src1_sel:BYTE_0
	v_lshrrev_b16_sdwa v12, v6, v11 dst_sel:DWORD dst_unused:UNUSED_PAD src0_sel:DWORD src1_sel:BYTE_0
	v_mov_b32_e32 v7, 6
	v_add_u16_e32 v12, v8, v12
	v_and_b32_e32 v13, 0xf8, v12
	v_lshrrev_b16_sdwa v11, v7, v11 dst_sel:DWORD dst_unused:UNUSED_PAD src0_sel:DWORD src1_sel:BYTE_0
	v_sub_u16_e32 v23, v8, v13
	v_add_u16_e32 v13, v8, v11
	v_and_b32_e32 v11, 0xfc, v13
	v_sub_u16_e32 v8, v8, v11
	v_add_u16_e32 v11, 4, v3
	v_lshrrev_b16_sdwa v14, v4, sext(v11) dst_sel:DWORD dst_unused:UNUSED_PAD src0_sel:DWORD src1_sel:BYTE_0
	v_lshrrev_b16_sdwa v15, v6, v14 dst_sel:DWORD dst_unused:UNUSED_PAD src0_sel:DWORD src1_sel:BYTE_0
	v_add_u16_e32 v15, v11, v15
	v_lshrrev_b16_sdwa v14, v7, v14 dst_sel:DWORD dst_unused:UNUSED_PAD src0_sel:DWORD src1_sel:BYTE_0
	v_and_b32_e32 v16, 0xf8, v15
	v_add_u16_e32 v14, v11, v14
	v_lshrrev_b16_sdwa v5, v4, sext(v3) dst_sel:DWORD dst_unused:UNUSED_PAD src0_sel:DWORD src1_sel:BYTE_0
	v_sub_u16_e32 v25, v11, v16
	v_and_b32_e32 v16, 0xfc, v14
	v_sub_u16_e32 v26, v11, v16
	v_lshrrev_b16_sdwa v11, v6, v5 dst_sel:DWORD dst_unused:UNUSED_PAD src0_sel:DWORD src1_sel:BYTE_0
	v_add_u16_e32 v11, v3, v11
	v_lshrrev_b16_sdwa v5, v7, v5 dst_sel:DWORD dst_unused:UNUSED_PAD src0_sel:DWORD src1_sel:BYTE_0
	v_and_b32_e32 v16, 0xf8, v11
	v_add_u16_e32 v5, v3, v5
	v_sub_u16_e32 v21, v3, v16
	v_and_b32_e32 v16, 0xfc, v5
	v_sub_u16_e32 v22, v3, v16
	v_add_u16_e32 v3, 6, v3
	v_lshrrev_b16_sdwa v4, v4, sext(v3) dst_sel:DWORD dst_unused:UNUSED_PAD src0_sel:DWORD src1_sel:BYTE_0
	v_lshrrev_b16_sdwa v6, v6, v4 dst_sel:DWORD dst_unused:UNUSED_PAD src0_sel:DWORD src1_sel:BYTE_0
	v_lshrrev_b16_sdwa v4, v7, v4 dst_sel:DWORD dst_unused:UNUSED_PAD src0_sel:DWORD src1_sel:BYTE_0
	v_mov_b32_e32 v7, 3
	v_mov_b32_e32 v16, 2
	v_add_u16_e32 v6, v3, v6
	s_addk_i32 s0, 0x1ff
	v_lshrrev_b16_sdwa v11, v7, sext(v11) dst_sel:DWORD dst_unused:UNUSED_PAD src0_sel:DWORD src1_sel:BYTE_0
	v_lshrrev_b16_sdwa v12, v7, sext(v12) dst_sel:DWORD dst_unused:UNUSED_PAD src0_sel:DWORD src1_sel:BYTE_0
	v_ashrrev_i16_sdwa v17, v16, sext(v13) dst_sel:DWORD dst_unused:UNUSED_PAD src0_sel:DWORD src1_sel:BYTE_0
	v_lshrrev_b16_sdwa v13, v7, sext(v15) dst_sel:DWORD dst_unused:UNUSED_PAD src0_sel:DWORD src1_sel:BYTE_0
	v_lshrrev_b16_sdwa v7, v7, sext(v6) dst_sel:DWORD dst_unused:UNUSED_PAD src0_sel:DWORD src1_sel:BYTE_0
	v_add_u16_e32 v4, v3, v4
	s_load_dwordx4 s[8:11], s[4:5], 0x0
	s_ashr_i32 s4, s0, 31
	v_lshrrev_b16_sdwa v18, v16, sext(v14) dst_sel:DWORD dst_unused:UNUSED_PAD src0_sel:DWORD src1_sel:BYTE_0
	v_and_b32_e32 v6, 0xf8, v6
	v_lshlrev_b32_sdwa v14, v16, v7 dst_sel:DWORD dst_unused:UNUSED_PAD src0_sel:DWORD src1_sel:BYTE_0
	v_lshrrev_b16_sdwa v7, v16, sext(v4) dst_sel:DWORD dst_unused:UNUSED_PAD src0_sel:DWORD src1_sel:BYTE_0
	v_and_b32_e32 v4, 0xfc, v4
	s_lshr_b32 s4, s4, 23
	v_ashrrev_i16_sdwa v5, v16, sext(v5) dst_sel:DWORD dst_unused:UNUSED_PAD src0_sel:DWORD src1_sel:BYTE_0
	v_sub_u16_e32 v6, v3, v6
	v_sub_u16_e32 v3, v3, v4
	v_mov_b32_e32 v4, 1
	s_add_i32 s0, s0, s4
	v_lshlrev_b32_sdwa v11, v16, v11 dst_sel:DWORD dst_unused:UNUSED_PAD src0_sel:DWORD src1_sel:BYTE_0
	v_lshlrev_b32_sdwa v12, v16, v12 dst_sel:DWORD dst_unused:UNUSED_PAD src0_sel:DWORD src1_sel:BYTE_0
	;; [unrolled: 1-line block ×3, first 2 shown]
	v_lshlrev_b32_sdwa v15, v4, sext(v5) dst_sel:DWORD dst_unused:UNUSED_PAD src0_sel:DWORD src1_sel:WORD_0
	v_lshlrev_b32_sdwa v16, v4, sext(v17) dst_sel:DWORD dst_unused:UNUSED_PAD src0_sel:DWORD src1_sel:WORD_0
	v_lshlrev_b32_sdwa v17, v4, v18 dst_sel:DWORD dst_unused:UNUSED_PAD src0_sel:DWORD src1_sel:BYTE_0
	v_lshlrev_b32_sdwa v18, v4, v7 dst_sel:DWORD dst_unused:UNUSED_PAD src0_sel:DWORD src1_sel:BYTE_0
	s_ashr_i32 s0, s0, 9
	v_lshrrev_b32_e32 v4, 1, v0
	s_mul_i32 s0, s7, s0
	v_and_b32_e32 v19, 4, v4
	v_bfe_i32 v28, v3, 0, 8
	v_lshlrev_b32_e32 v3, 3, v10
	v_lshl_add_u32 v29, s0, 4, v3
	v_mul_lo_u32 v30, v9, s6
	s_waitcnt lgkmcnt(0)
	v_mad_u64_u32 v[3:4], s[10:11], v19, 36, s[10:11]
	v_lshlrev_b32_e32 v20, 2, v2
	v_mov_b32_e32 v2, 0
	v_bfe_i32 v21, v21, 0, 8
	v_bfe_i32 v22, v22, 0, 8
	;; [unrolled: 1-line block ×7, first 2 shown]
	v_lshlrev_b64 v[5:6], 2, v[1:2]
	s_mov_b64 s[4:5], 0
	s_movk_i32 s0, 0x6e
	v_ashrrev_i32_e32 v31, 31, v21
	v_ashrrev_i32_e32 v32, 31, v22
	;; [unrolled: 1-line block ×8, first 2 shown]
.LBB64_3:                               ; =>This Inner Loop Header: Depth=1
	v_mov_b32_e32 v7, s8
	v_mad_i64_i32 v[46:47], s[10:11], v29, 36, v[3:4]
	v_add_u32_e32 v38, v30, v10
	v_mov_b32_e32 v8, s9
	v_mad_i64_i32 v[7:8], s[10:11], v38, s0, v[7:8]
	v_add_co_u32_e32 v38, vcc, v46, v5
	v_addc_co_u32_e32 v39, vcc, v47, v6, vcc
	global_load_dword v42, v[38:39], off offset:4
	global_load_dword v43, v[38:39], off offset:40
	;; [unrolled: 1-line block ×3, first 2 shown]
	s_nop 0
	global_load_dword v38, v[38:39], off offset:112
	s_nop 0
	global_load_dword v45, v[46:47], off
	global_load_dword v44, v[46:47], off offset:36
	global_load_dword v41, v[46:47], off offset:72
	;; [unrolled: 1-line block ×3, first 2 shown]
	v_add_co_u32_e32 v46, vcc, v7, v21
	v_addc_co_u32_e32 v47, vcc, v8, v31, vcc
	global_load_ubyte v48, v[46:47], off offset:96
	v_add_co_u32_e32 v46, vcc, v7, v22
	v_addc_co_u32_e32 v47, vcc, v8, v32, vcc
	global_load_ubyte v49, v[46:47], off offset:104
	;; [unrolled: 3-line block ×4, first 2 shown]
	v_add_co_u32_e32 v46, vcc, v7, v5
	v_addc_co_u32_e32 v47, vcc, v8, v6, vcc
	global_load_dword v52, v[46:47], off
	v_add_co_u32_e32 v46, vcc, v7, v20
	v_addc_co_u32_e32 v47, vcc, 0, v8, vcc
	global_load_dword v53, v[46:47], off offset:32
	v_add_co_u32_e32 v46, vcc, v7, v25
	v_addc_co_u32_e32 v47, vcc, v8, v35, vcc
	global_load_ubyte v54, v[46:47], off offset:96
	v_add_co_u32_e32 v46, vcc, v7, v26
	v_addc_co_u32_e32 v47, vcc, v8, v36, vcc
	global_load_ubyte v55, v[46:47], off offset:104
	;; [unrolled: 3-line block ×4, first 2 shown]
	v_add_u32_e32 v10, 4, v10
	global_load_ushort v7, v[7:8], off offset:108
	v_cmp_le_u32_e32 vcc, s6, v10
	s_or_b64 s[4:5], vcc, s[4:5]
	v_add_u32_e32 v29, 32, v29
	s_waitcnt vmcnt(10)
	v_bfe_u32 v47, v48, v11, 4
	s_waitcnt vmcnt(9)
	v_lshrrev_b32_e32 v48, v15, v49
	v_lshlrev_b32_e32 v48, 4, v48
	v_and_or_b32 v47, v48, 48, v47
	v_subrev_u32_e32 v47, 32, v47
	s_waitcnt vmcnt(8)
	v_bfe_u32 v48, v50, v12, 4
	s_waitcnt vmcnt(7)
	v_lshrrev_b32_e32 v49, v16, v51
	v_lshlrev_b32_e32 v49, 4, v49
	v_and_or_b32 v48, v49, 48, v48
	s_waitcnt vmcnt(6)
	v_ashrrev_i32_e32 v49, v19, v52
	v_not_b32_e32 v49, v49
	v_lshlrev_b32_e32 v50, 2, v49
	v_and_b32_e32 v50, 0x4040404, v50
	v_lshlrev_b32_e32 v60, 1, v49
	s_waitcnt vmcnt(5)
	v_bfe_u32 v51, v53, 24, 2
	v_and_b32_e32 v52, 0x3030303, v53
	v_sub_u16_sdwa v51, v51, v50 dst_sel:BYTE_1 dst_unused:UNUSED_PAD src0_sel:DWORD src1_sel:BYTE_3
	v_sub_u16_e32 v57, v52, v50
	v_sub_u16_sdwa v58, v52, v50 dst_sel:BYTE_1 dst_unused:UNUSED_PAD src0_sel:BYTE_1 src1_sel:BYTE_1
	v_sub_u16_sdwa v50, v52, v50 dst_sel:DWORD dst_unused:UNUSED_PAD src0_sel:WORD_1 src1_sel:WORD_1
	v_lshrrev_b32_e32 v52, 2, v53
	v_and_b32_e32 v59, 0x3030303, v52
	v_bfe_u32 v52, v52, 24, 2
	v_and_b32_e32 v60, 0x4040404, v60
	v_sub_u16_sdwa v52, v52, v60 dst_sel:BYTE_1 dst_unused:UNUSED_PAD src0_sel:DWORD src1_sel:BYTE_3
	v_sub_u16_e32 v61, v59, v60
	v_sub_u16_sdwa v62, v59, v60 dst_sel:BYTE_1 dst_unused:UNUSED_PAD src0_sel:BYTE_1 src1_sel:BYTE_1
	v_sub_u16_sdwa v59, v59, v60 dst_sel:DWORD dst_unused:UNUSED_PAD src0_sel:WORD_1 src1_sel:WORD_1
	v_or_b32_sdwa v57, v57, v58 dst_sel:DWORD dst_unused:UNUSED_PAD src0_sel:BYTE_0 src1_sel:DWORD
	v_or_b32_sdwa v50, v50, v51 dst_sel:WORD_1 dst_unused:UNUSED_PAD src0_sel:BYTE_0 src1_sel:DWORD
	v_or_b32_sdwa v51, v61, v62 dst_sel:DWORD dst_unused:UNUSED_PAD src0_sel:BYTE_0 src1_sel:DWORD
	v_or_b32_sdwa v52, v59, v52 dst_sel:WORD_1 dst_unused:UNUSED_PAD src0_sel:BYTE_0 src1_sel:DWORD
	v_or_b32_sdwa v50, v57, v50 dst_sel:DWORD dst_unused:UNUSED_PAD src0_sel:WORD_0 src1_sel:DWORD
	v_or_b32_sdwa v51, v51, v52 dst_sel:DWORD dst_unused:UNUSED_PAD src0_sel:WORD_0 src1_sel:DWORD
	v_dot4_i32_i8 v42, v50, v42, 0
	v_dot4_i32_i8 v43, v51, v43, 0
	v_mul_lo_u32 v42, v47, v42
	v_subrev_u32_e32 v47, 32, v48
	v_mul_lo_u32 v43, v47, v43
	v_and_b32_e32 v47, 0x4040404, v49
	v_cvt_f32_i32_e32 v42, v42
	v_cvt_f32_i32_e32 v43, v43
	v_fma_mix_f32 v42, v45, v42, 0 op_sel_hi:[1,0,0]
	v_fma_mix_f32 v42, v44, v43, v42 op_sel_hi:[1,0,0]
	s_waitcnt vmcnt(3)
	v_lshrrev_b32_e32 v44, v17, v55
	v_bfe_u32 v43, v54, v13, 4
	v_lshlrev_b32_e32 v44, 4, v44
	v_and_or_b32 v43, v44, 48, v43
	v_lshrrev_b32_e32 v44, 4, v53
	v_and_b32_e32 v45, 0x3030303, v44
	v_bfe_u32 v44, v44, 24, 2
	v_sub_u16_sdwa v44, v44, v47 dst_sel:BYTE_1 dst_unused:UNUSED_PAD src0_sel:DWORD src1_sel:BYTE_3
	v_sub_u16_e32 v48, v45, v47
	v_sub_u16_sdwa v50, v45, v47 dst_sel:BYTE_1 dst_unused:UNUSED_PAD src0_sel:BYTE_1 src1_sel:BYTE_1
	v_sub_u16_sdwa v45, v45, v47 dst_sel:DWORD dst_unused:UNUSED_PAD src0_sel:WORD_1 src1_sel:WORD_1
	v_or_b32_sdwa v47, v48, v50 dst_sel:DWORD dst_unused:UNUSED_PAD src0_sel:BYTE_0 src1_sel:DWORD
	v_or_b32_sdwa v44, v45, v44 dst_sel:WORD_1 dst_unused:UNUSED_PAD src0_sel:BYTE_0 src1_sel:DWORD
	v_or_b32_sdwa v44, v47, v44 dst_sel:DWORD dst_unused:UNUSED_PAD src0_sel:WORD_0 src1_sel:DWORD
	v_dot4_i32_i8 v40, v44, v40, 0
	v_subrev_u32_e32 v43, 32, v43
	v_mul_lo_u32 v40, v43, v40
	v_lshrrev_b32_e32 v44, 1, v49
	v_lshrrev_b32_e32 v43, 30, v53
	v_and_b32_e32 v44, 0x4040404, v44
	v_cvt_f32_i32_e32 v40, v40
	v_sub_u16_sdwa v43, v43, v44 dst_sel:BYTE_1 dst_unused:UNUSED_PAD src0_sel:DWORD src1_sel:BYTE_3
	v_fma_mix_f32 v40, v41, v40, v42 op_sel_hi:[1,0,0]
	s_waitcnt vmcnt(1)
	v_lshrrev_b32_e32 v42, v18, v46
	v_bfe_u32 v41, v56, v14, 4
	v_lshlrev_b32_e32 v42, 4, v42
	v_and_or_b32 v41, v42, 48, v41
	v_lshrrev_b32_e32 v42, 6, v53
	v_and_b32_e32 v42, 0x3030303, v42
	v_sub_u16_e32 v45, v42, v44
	v_sub_u16_sdwa v46, v42, v44 dst_sel:BYTE_1 dst_unused:UNUSED_PAD src0_sel:BYTE_1 src1_sel:BYTE_1
	v_sub_u16_sdwa v42, v42, v44 dst_sel:DWORD dst_unused:UNUSED_PAD src0_sel:WORD_1 src1_sel:WORD_1
	v_or_b32_sdwa v44, v45, v46 dst_sel:DWORD dst_unused:UNUSED_PAD src0_sel:BYTE_0 src1_sel:DWORD
	v_or_b32_sdwa v42, v42, v43 dst_sel:WORD_1 dst_unused:UNUSED_PAD src0_sel:BYTE_0 src1_sel:DWORD
	v_or_b32_sdwa v42, v44, v42 dst_sel:DWORD dst_unused:UNUSED_PAD src0_sel:WORD_0 src1_sel:DWORD
	v_dot4_i32_i8 v38, v42, v38, 0
	v_subrev_u32_e32 v41, 32, v41
	v_mul_lo_u32 v38, v41, v38
	v_cvt_f32_i32_e32 v38, v38
	v_fma_mix_f32 v38, v39, v38, v40 op_sel_hi:[1,0,0]
	s_waitcnt vmcnt(0)
	v_fma_mix_f32 v2, v38, v7, v2 op_sel_hi:[0,1,0]
	s_andn2_b64 exec, exec, s[4:5]
	s_cbranch_execnz .LBB64_3
; %bb.4:
	s_or_b64 exec, exec, s[4:5]
.LBB64_5:
	s_or_b64 exec, exec, s[12:13]
	v_mbcnt_lo_u32_b32 v1, -1, 0
	v_mbcnt_hi_u32_b32 v3, -1, v1
	v_and_b32_e32 v1, 64, v3
	v_add_u32_e32 v4, 64, v1
	v_xor_b32_e32 v1, 32, v3
	v_cmp_lt_i32_e32 vcc, v1, v4
	v_cndmask_b32_e32 v1, v3, v1, vcc
	v_lshlrev_b32_e32 v1, 2, v1
	ds_bpermute_b32 v1, v1, v2
	v_xor_b32_e32 v5, 16, v3
	v_cmp_lt_i32_e32 vcc, v5, v4
	s_waitcnt lgkmcnt(0)
	v_add_f32_e32 v1, v2, v1
	v_cndmask_b32_e32 v2, v3, v5, vcc
	v_lshlrev_b32_e32 v2, 2, v2
	ds_bpermute_b32 v2, v2, v1
	v_xor_b32_e32 v5, 8, v3
	v_cmp_lt_i32_e32 vcc, v5, v4
	s_waitcnt lgkmcnt(0)
	v_add_f32_e32 v1, v1, v2
	;; [unrolled: 7-line block ×5, first 2 shown]
	v_cndmask_b32_e32 v2, v3, v5, vcc
	v_lshlrev_b32_e32 v2, 2, v2
	ds_bpermute_b32 v2, v2, v1
	v_cmp_eq_u32_e32 vcc, 0, v0
	s_and_b64 exec, exec, vcc
	s_cbranch_execz .LBB64_7
; %bb.6:
	s_mul_i32 s0, s1, s7
	s_waitcnt lgkmcnt(0)
	v_add_f32_e32 v2, v1, v2
	v_add_u32_e32 v0, s0, v9
	v_mov_b32_e32 v1, 0
	v_lshlrev_b64 v[0:1], 2, v[0:1]
	v_mov_b32_e32 v3, s3
	v_add_co_u32_e32 v0, vcc, s2, v0
	v_addc_co_u32_e32 v1, vcc, v3, v1, vcc
	global_store_dword v[0:1], v2, off
.LBB64_7:
	s_endpgm
	.section	.rodata,"a",@progbits
	.p2align	6, 0x0
	.amdhsa_kernel _ZL13mul_mat_vec_qIfLi256ELi16E10block_q3_KLi1EXadL_ZL17vec_dot_q3_K_q8_1PKvPK10block_q8_1RKiEEEvS2_S2_PT_iii
		.amdhsa_group_segment_fixed_size 0
		.amdhsa_private_segment_fixed_size 0
		.amdhsa_kernarg_size 296
		.amdhsa_user_sgpr_count 6
		.amdhsa_user_sgpr_private_segment_buffer 1
		.amdhsa_user_sgpr_dispatch_ptr 0
		.amdhsa_user_sgpr_queue_ptr 0
		.amdhsa_user_sgpr_kernarg_segment_ptr 1
		.amdhsa_user_sgpr_dispatch_id 0
		.amdhsa_user_sgpr_flat_scratch_init 0
		.amdhsa_user_sgpr_private_segment_size 0
		.amdhsa_uses_dynamic_stack 0
		.amdhsa_system_sgpr_private_segment_wavefront_offset 0
		.amdhsa_system_sgpr_workgroup_id_x 1
		.amdhsa_system_sgpr_workgroup_id_y 1
		.amdhsa_system_sgpr_workgroup_id_z 0
		.amdhsa_system_sgpr_workgroup_info 0
		.amdhsa_system_vgpr_workitem_id 1
		.amdhsa_next_free_vgpr 63
		.amdhsa_next_free_sgpr 14
		.amdhsa_reserve_vcc 1
		.amdhsa_reserve_flat_scratch 0
		.amdhsa_float_round_mode_32 0
		.amdhsa_float_round_mode_16_64 0
		.amdhsa_float_denorm_mode_32 3
		.amdhsa_float_denorm_mode_16_64 3
		.amdhsa_dx10_clamp 1
		.amdhsa_ieee_mode 1
		.amdhsa_fp16_overflow 0
		.amdhsa_exception_fp_ieee_invalid_op 0
		.amdhsa_exception_fp_denorm_src 0
		.amdhsa_exception_fp_ieee_div_zero 0
		.amdhsa_exception_fp_ieee_overflow 0
		.amdhsa_exception_fp_ieee_underflow 0
		.amdhsa_exception_fp_ieee_inexact 0
		.amdhsa_exception_int_div_zero 0
	.end_amdhsa_kernel
	.section	.text._ZL13mul_mat_vec_qIfLi256ELi16E10block_q3_KLi1EXadL_ZL17vec_dot_q3_K_q8_1PKvPK10block_q8_1RKiEEEvS2_S2_PT_iii,"axG",@progbits,_ZL13mul_mat_vec_qIfLi256ELi16E10block_q3_KLi1EXadL_ZL17vec_dot_q3_K_q8_1PKvPK10block_q8_1RKiEEEvS2_S2_PT_iii,comdat
.Lfunc_end64:
	.size	_ZL13mul_mat_vec_qIfLi256ELi16E10block_q3_KLi1EXadL_ZL17vec_dot_q3_K_q8_1PKvPK10block_q8_1RKiEEEvS2_S2_PT_iii, .Lfunc_end64-_ZL13mul_mat_vec_qIfLi256ELi16E10block_q3_KLi1EXadL_ZL17vec_dot_q3_K_q8_1PKvPK10block_q8_1RKiEEEvS2_S2_PT_iii
                                        ; -- End function
	.set _ZL13mul_mat_vec_qIfLi256ELi16E10block_q3_KLi1EXadL_ZL17vec_dot_q3_K_q8_1PKvPK10block_q8_1RKiEEEvS2_S2_PT_iii.num_vgpr, 63
	.set _ZL13mul_mat_vec_qIfLi256ELi16E10block_q3_KLi1EXadL_ZL17vec_dot_q3_K_q8_1PKvPK10block_q8_1RKiEEEvS2_S2_PT_iii.num_agpr, 0
	.set _ZL13mul_mat_vec_qIfLi256ELi16E10block_q3_KLi1EXadL_ZL17vec_dot_q3_K_q8_1PKvPK10block_q8_1RKiEEEvS2_S2_PT_iii.numbered_sgpr, 14
	.set _ZL13mul_mat_vec_qIfLi256ELi16E10block_q3_KLi1EXadL_ZL17vec_dot_q3_K_q8_1PKvPK10block_q8_1RKiEEEvS2_S2_PT_iii.num_named_barrier, 0
	.set _ZL13mul_mat_vec_qIfLi256ELi16E10block_q3_KLi1EXadL_ZL17vec_dot_q3_K_q8_1PKvPK10block_q8_1RKiEEEvS2_S2_PT_iii.private_seg_size, 0
	.set _ZL13mul_mat_vec_qIfLi256ELi16E10block_q3_KLi1EXadL_ZL17vec_dot_q3_K_q8_1PKvPK10block_q8_1RKiEEEvS2_S2_PT_iii.uses_vcc, 1
	.set _ZL13mul_mat_vec_qIfLi256ELi16E10block_q3_KLi1EXadL_ZL17vec_dot_q3_K_q8_1PKvPK10block_q8_1RKiEEEvS2_S2_PT_iii.uses_flat_scratch, 0
	.set _ZL13mul_mat_vec_qIfLi256ELi16E10block_q3_KLi1EXadL_ZL17vec_dot_q3_K_q8_1PKvPK10block_q8_1RKiEEEvS2_S2_PT_iii.has_dyn_sized_stack, 0
	.set _ZL13mul_mat_vec_qIfLi256ELi16E10block_q3_KLi1EXadL_ZL17vec_dot_q3_K_q8_1PKvPK10block_q8_1RKiEEEvS2_S2_PT_iii.has_recursion, 0
	.set _ZL13mul_mat_vec_qIfLi256ELi16E10block_q3_KLi1EXadL_ZL17vec_dot_q3_K_q8_1PKvPK10block_q8_1RKiEEEvS2_S2_PT_iii.has_indirect_call, 0
	.section	.AMDGPU.csdata,"",@progbits
; Kernel info:
; codeLenInByte = 1884
; TotalNumSgprs: 18
; NumVgprs: 63
; ScratchSize: 0
; MemoryBound: 0
; FloatMode: 240
; IeeeMode: 1
; LDSByteSize: 0 bytes/workgroup (compile time only)
; SGPRBlocks: 2
; VGPRBlocks: 15
; NumSGPRsForWavesPerEU: 18
; NumVGPRsForWavesPerEU: 63
; Occupancy: 4
; WaveLimiterHint : 0
; COMPUTE_PGM_RSRC2:SCRATCH_EN: 0
; COMPUTE_PGM_RSRC2:USER_SGPR: 6
; COMPUTE_PGM_RSRC2:TRAP_HANDLER: 0
; COMPUTE_PGM_RSRC2:TGID_X_EN: 1
; COMPUTE_PGM_RSRC2:TGID_Y_EN: 1
; COMPUTE_PGM_RSRC2:TGID_Z_EN: 0
; COMPUTE_PGM_RSRC2:TIDIG_COMP_CNT: 1
	.section	.text._ZL13mul_mat_vec_qIfLi256ELi32E10block_q4_KLi2EXadL_ZL17vec_dot_q4_K_q8_1PKvPK10block_q8_1RKiEEEvS2_S2_PT_iii,"axG",@progbits,_ZL13mul_mat_vec_qIfLi256ELi32E10block_q4_KLi2EXadL_ZL17vec_dot_q4_K_q8_1PKvPK10block_q8_1RKiEEEvS2_S2_PT_iii,comdat
	.globl	_ZL13mul_mat_vec_qIfLi256ELi32E10block_q4_KLi2EXadL_ZL17vec_dot_q4_K_q8_1PKvPK10block_q8_1RKiEEEvS2_S2_PT_iii ; -- Begin function _ZL13mul_mat_vec_qIfLi256ELi32E10block_q4_KLi2EXadL_ZL17vec_dot_q4_K_q8_1PKvPK10block_q8_1RKiEEEvS2_S2_PT_iii
	.p2align	8
	.type	_ZL13mul_mat_vec_qIfLi256ELi32E10block_q4_KLi2EXadL_ZL17vec_dot_q4_K_q8_1PKvPK10block_q8_1RKiEEEvS2_S2_PT_iii,@function
_ZL13mul_mat_vec_qIfLi256ELi32E10block_q4_KLi2EXadL_ZL17vec_dot_q4_K_q8_1PKvPK10block_q8_1RKiEEEvS2_S2_PT_iii: ; @_ZL13mul_mat_vec_qIfLi256ELi32E10block_q4_KLi2EXadL_ZL17vec_dot_q4_K_q8_1PKvPK10block_q8_1RKiEEEvS2_S2_PT_iii
; %bb.0:
	s_load_dword s0, s[4:5], 0x34
	s_load_dwordx4 s[8:11], s[4:5], 0x18
	s_waitcnt lgkmcnt(0)
	s_lshr_b32 s0, s0, 16
	s_mul_i32 s6, s6, s0
	v_add_u32_e32 v9, s6, v1
	s_cmp_lt_u32 s7, s10
	v_cmp_gt_u32_e32 vcc, s9, v9
	s_cselect_b64 s[0:1], -1, 0
	s_and_b64 s[0:1], s[0:1], vcc
	s_and_saveexec_b64 s[2:3], s[0:1]
	s_cbranch_execz .LBB65_11
; %bb.1:
	s_load_dwordx2 s[2:3], s[4:5], 0x10
	s_ashr_i32 s0, s8, 31
	s_lshr_b32 s0, s0, 24
	s_add_i32 s0, s8, s0
	s_ashr_i32 s6, s0, 8
	v_lshrrev_b32_e32 v11, 4, v0
	v_cmp_gt_u32_e32 vcc, s6, v11
	v_mov_b32_e32 v10, 0
	s_and_saveexec_b64 s[10:11], vcc
	s_cbranch_execz .LBB65_9
; %bb.2:
	s_load_dwordx4 s[12:15], s[4:5], 0x0
	s_add_i32 s0, s8, 0x1ff
	s_ashr_i32 s1, s0, 31
	s_lshr_b32 s1, s1, 23
	v_lshlrev_b32_e32 v1, 1, v0
	s_add_i32 s0, s0, s1
	v_bfe_u32 v5, v1, 3, 2
	s_ashr_i32 s0, s0, 9
	v_and_b32_e32 v2, 30, v1
	v_lshlrev_b32_e32 v1, 1, v5
	s_mul_i32 s4, s7, s0
	v_mul_lo_u32 v12, v9, s6
	v_cmp_lt_u32_e32 vcc, 15, v2
	s_waitcnt lgkmcnt(0)
	v_mad_u64_u32 v[1:2], s[0:1], v1, 36, s[14:15]
	v_lshlrev_b32_e32 v3, 3, v11
	v_and_b32_e32 v6, 3, v0
	v_lshl_add_u32 v15, s4, 4, v3
	v_mov_b32_e32 v3, s12
	v_lshlrev_b32_e32 v13, 5, v5
	v_mov_b32_e32 v10, 0
	v_lshlrev_b32_e32 v14, 2, v6
	s_mov_b64 s[4:5], 0
	s_movk_i32 s8, 0x90
	v_mov_b32_e32 v4, s13
	v_lshlrev_b32_e32 v16, 1, v5
	s_mov_b32 s12, 0x5040100
	s_mov_b32 s13, 0x20004
	;; [unrolled: 1-line block ×3, first 2 shown]
	v_lshlrev_b32_e32 v17, 2, v6
	s_mov_b32 s15, 0x1010101
	s_branch .LBB65_4
.LBB65_3:                               ;   in Loop: Header=BB65_4 Depth=1
	s_or_b64 exec, exec, s[0:1]
	v_mad_i64_i32 v[7:8], s[0:1], v15, 36, v[1:2]
	v_add_u32_e32 v11, 4, v11
	v_add_u32_e32 v15, 32, v15
	v_add_co_u32_e64 v21, s[0:1], v7, v17
	v_addc_co_u32_e64 v22, s[0:1], 0, v8, s[0:1]
	global_load_dword v23, v[21:22], off offset:4
	global_load_dword v24, v[21:22], off offset:20
	;; [unrolled: 1-line block ×4, first 2 shown]
	global_load_dword v27, v[5:6], off
                                        ; kill: killed $vgpr21 killed $vgpr22
                                        ; kill: killed $vgpr5 killed $vgpr6
	s_nop 0
	global_load_dword v5, v[7:8], off
	global_load_dword v6, v[7:8], off offset:36
	s_waitcnt vmcnt(8)
	v_and_b32_e32 v7, 0xf0f0f0f, v18
	v_lshrrev_b32_e32 v18, 4, v18
	s_waitcnt vmcnt(7)
	v_and_b32_e32 v8, 0xf0f0f0f, v19
	v_lshrrev_b32_e32 v19, 4, v19
	v_and_b32_e32 v18, 0xf0f0f0f, v18
	v_and_b32_e32 v19, 0xf0f0f0f, v19
	v_lshrrev_b16_e32 v21, 8, v20
	v_cmp_le_u32_e64 s[0:1], s6, v11
	s_or_b64 s[4:5], s[0:1], s[4:5]
	s_waitcnt vmcnt(6)
	v_dot4_i32_i8 v7, v7, v23, 0
	s_waitcnt vmcnt(5)
	v_dot4_i32_i8 v7, v8, v24, v7
	v_dot4_i32_i8 v8, s15, v23, 0
	s_waitcnt vmcnt(4)
	v_dot4_i32_i8 v18, v18, v25, 0
	v_dot4_i32_i8 v8, s15, v24, v8
	s_waitcnt vmcnt(3)
	v_dot4_i32_i8 v18, v19, v26, v18
	v_lshrrev_b32_e32 v19, 24, v20
	v_dot4_i32_i8 v22, s15, v25, 0
	v_and_b32_e32 v23, 0xff, v20
	v_bfe_u32 v20, v20, 16, 8
	v_dot4_i32_i8 v22, s15, v26, v22
	v_mul_lo_u32 v7, v7, v20
	v_mul_lo_u32 v8, v8, v23
	;; [unrolled: 1-line block ×4, first 2 shown]
	v_cvt_f32_i32_e32 v7, v7
	v_cvt_f32_i32_e32 v8, v8
	s_waitcnt vmcnt(2)
	v_cvt_f32_f16_sdwa v20, v27 dst_sel:DWORD dst_unused:UNUSED_PAD src0_sel:WORD_1
	v_cvt_f32_i32_e32 v19, v19
	v_cvt_f32_i32_e32 v18, v18
	s_waitcnt vmcnt(1)
	v_fma_mix_f32 v7, v5, v7, 0 op_sel_hi:[1,0,0]
	v_fma_mix_f32 v5, v5, v8, 0 op_sel_hi:[1,0,0]
	s_waitcnt vmcnt(0)
	v_fma_mix_f32 v5, v6, v19, v5 op_sel_hi:[1,0,0]
	v_fma_mix_f32 v7, v6, v18, v7 op_sel_hi:[1,0,0]
	v_mul_f32_e32 v5, v5, v20
	v_fma_mix_f32 v5, v7, v27, -v5 op_sel_hi:[0,1,0]
	v_add_f32_e32 v10, v10, v5
	s_andn2_b64 exec, exec, s[4:5]
	s_cbranch_execz .LBB65_8
.LBB65_4:                               ; =>This Inner Loop Header: Depth=1
	v_add_u32_e32 v5, v12, v11
	v_mad_i64_i32 v[5:6], s[0:1], v5, s8, v[3:4]
                                        ; implicit-def: $vgpr20
	v_add_co_u32_e64 v7, s[0:1], v5, v13
	v_addc_co_u32_e64 v8, s[0:1], 0, v6, s[0:1]
	v_add_co_u32_e64 v7, s[0:1], v7, v14
	v_addc_co_u32_e64 v8, s[0:1], 0, v8, s[0:1]
	global_load_dword v18, v[7:8], off offset:16
	global_load_dword v19, v[7:8], off offset:32
	v_add_co_u32_e64 v7, s[0:1], v5, v16
	v_addc_co_u32_e64 v8, s[0:1], 0, v6, s[0:1]
	s_and_saveexec_b64 s[0:1], vcc
	s_xor_b64 s[0:1], exec, s[0:1]
	s_cbranch_execz .LBB65_6
; %bb.5:                                ;   in Loop: Header=BB65_4 Depth=1
	global_load_ushort v20, v[7:8], off
	global_load_ushort v21, v[7:8], off offset:8
	global_load_ushort v22, v[7:8], off offset:4
	s_waitcnt vmcnt(1)
	v_perm_b32 v7, v20, v21, s12
	s_waitcnt vmcnt(0)
	v_perm_b32 v8, v21, v22, s12
	v_pk_lshrrev_b16 v8, 2, v8
	v_pk_lshrrev_b16 v7, s13, v7
	v_and_b32_e32 v8, 0xf0f3030, v8
	v_and_or_b32 v20, v7, s14, v8
                                        ; implicit-def: $vgpr7_vgpr8
.LBB65_6:                               ;   in Loop: Header=BB65_4 Depth=1
	s_andn2_saveexec_b64 s[0:1], s[0:1]
	s_cbranch_execz .LBB65_3
; %bb.7:                                ;   in Loop: Header=BB65_4 Depth=1
	global_load_ushort v20, v[7:8], off offset:4
	global_load_ushort v21, v[7:8], off offset:8
	s_waitcnt vmcnt(0)
	v_perm_b32 v7, v20, v21, s12
	v_and_b32_e32 v20, 0x3f3f3f3f, v7
	s_branch .LBB65_3
.LBB65_8:
	s_or_b64 exec, exec, s[4:5]
.LBB65_9:
	s_or_b64 exec, exec, s[10:11]
	v_mbcnt_lo_u32_b32 v1, -1, 0
	v_mbcnt_hi_u32_b32 v2, -1, v1
	v_and_b32_e32 v1, 64, v2
	v_add_u32_e32 v3, 64, v1
	v_xor_b32_e32 v1, 32, v2
	v_cmp_lt_i32_e32 vcc, v1, v3
	v_cndmask_b32_e32 v1, v2, v1, vcc
	v_lshlrev_b32_e32 v1, 2, v1
	ds_bpermute_b32 v1, v1, v10
	v_xor_b32_e32 v4, 16, v2
	v_cmp_lt_i32_e32 vcc, v4, v3
	v_cndmask_b32_e32 v4, v2, v4, vcc
	v_lshlrev_b32_e32 v4, 2, v4
	s_waitcnt lgkmcnt(0)
	v_add_f32_e32 v1, v10, v1
	ds_bpermute_b32 v4, v4, v1
	v_xor_b32_e32 v5, 8, v2
	v_cmp_lt_i32_e32 vcc, v5, v3
	s_waitcnt lgkmcnt(0)
	v_add_f32_e32 v1, v1, v4
	v_cndmask_b32_e32 v4, v2, v5, vcc
	v_lshlrev_b32_e32 v4, 2, v4
	ds_bpermute_b32 v4, v4, v1
	v_xor_b32_e32 v5, 4, v2
	v_cmp_lt_i32_e32 vcc, v5, v3
	s_waitcnt lgkmcnt(0)
	v_add_f32_e32 v1, v1, v4
	v_cndmask_b32_e32 v4, v2, v5, vcc
	v_lshlrev_b32_e32 v4, 2, v4
	ds_bpermute_b32 v4, v4, v1
	v_xor_b32_e32 v5, 2, v2
	v_cmp_lt_i32_e32 vcc, v5, v3
	s_waitcnt lgkmcnt(0)
	v_add_f32_e32 v1, v1, v4
	v_cndmask_b32_e32 v4, v2, v5, vcc
	v_lshlrev_b32_e32 v4, 2, v4
	ds_bpermute_b32 v4, v4, v1
	v_xor_b32_e32 v5, 1, v2
	v_cmp_lt_i32_e32 vcc, v5, v3
	v_cndmask_b32_e32 v2, v2, v5, vcc
	v_lshlrev_b32_e32 v2, 2, v2
	s_waitcnt lgkmcnt(0)
	v_add_f32_e32 v1, v1, v4
	ds_bpermute_b32 v2, v2, v1
	v_cmp_eq_u32_e32 vcc, 0, v0
	s_and_b64 exec, exec, vcc
	s_cbranch_execz .LBB65_11
; %bb.10:
	s_mul_i32 s0, s9, s7
	s_waitcnt lgkmcnt(0)
	v_add_f32_e32 v2, v1, v2
	v_add_u32_e32 v0, s0, v9
	v_mov_b32_e32 v1, 0
	v_lshlrev_b64 v[0:1], 2, v[0:1]
	v_mov_b32_e32 v3, s3
	v_add_co_u32_e32 v0, vcc, s2, v0
	v_addc_co_u32_e32 v1, vcc, v3, v1, vcc
	global_store_dword v[0:1], v2, off
.LBB65_11:
	s_endpgm
	.section	.rodata,"a",@progbits
	.p2align	6, 0x0
	.amdhsa_kernel _ZL13mul_mat_vec_qIfLi256ELi32E10block_q4_KLi2EXadL_ZL17vec_dot_q4_K_q8_1PKvPK10block_q8_1RKiEEEvS2_S2_PT_iii
		.amdhsa_group_segment_fixed_size 0
		.amdhsa_private_segment_fixed_size 0
		.amdhsa_kernarg_size 296
		.amdhsa_user_sgpr_count 6
		.amdhsa_user_sgpr_private_segment_buffer 1
		.amdhsa_user_sgpr_dispatch_ptr 0
		.amdhsa_user_sgpr_queue_ptr 0
		.amdhsa_user_sgpr_kernarg_segment_ptr 1
		.amdhsa_user_sgpr_dispatch_id 0
		.amdhsa_user_sgpr_flat_scratch_init 0
		.amdhsa_user_sgpr_private_segment_size 0
		.amdhsa_uses_dynamic_stack 0
		.amdhsa_system_sgpr_private_segment_wavefront_offset 0
		.amdhsa_system_sgpr_workgroup_id_x 1
		.amdhsa_system_sgpr_workgroup_id_y 1
		.amdhsa_system_sgpr_workgroup_id_z 0
		.amdhsa_system_sgpr_workgroup_info 0
		.amdhsa_system_vgpr_workitem_id 1
		.amdhsa_next_free_vgpr 28
		.amdhsa_next_free_sgpr 16
		.amdhsa_reserve_vcc 1
		.amdhsa_reserve_flat_scratch 0
		.amdhsa_float_round_mode_32 0
		.amdhsa_float_round_mode_16_64 0
		.amdhsa_float_denorm_mode_32 3
		.amdhsa_float_denorm_mode_16_64 3
		.amdhsa_dx10_clamp 1
		.amdhsa_ieee_mode 1
		.amdhsa_fp16_overflow 0
		.amdhsa_exception_fp_ieee_invalid_op 0
		.amdhsa_exception_fp_denorm_src 0
		.amdhsa_exception_fp_ieee_div_zero 0
		.amdhsa_exception_fp_ieee_overflow 0
		.amdhsa_exception_fp_ieee_underflow 0
		.amdhsa_exception_fp_ieee_inexact 0
		.amdhsa_exception_int_div_zero 0
	.end_amdhsa_kernel
	.section	.text._ZL13mul_mat_vec_qIfLi256ELi32E10block_q4_KLi2EXadL_ZL17vec_dot_q4_K_q8_1PKvPK10block_q8_1RKiEEEvS2_S2_PT_iii,"axG",@progbits,_ZL13mul_mat_vec_qIfLi256ELi32E10block_q4_KLi2EXadL_ZL17vec_dot_q4_K_q8_1PKvPK10block_q8_1RKiEEEvS2_S2_PT_iii,comdat
.Lfunc_end65:
	.size	_ZL13mul_mat_vec_qIfLi256ELi32E10block_q4_KLi2EXadL_ZL17vec_dot_q4_K_q8_1PKvPK10block_q8_1RKiEEEvS2_S2_PT_iii, .Lfunc_end65-_ZL13mul_mat_vec_qIfLi256ELi32E10block_q4_KLi2EXadL_ZL17vec_dot_q4_K_q8_1PKvPK10block_q8_1RKiEEEvS2_S2_PT_iii
                                        ; -- End function
	.set _ZL13mul_mat_vec_qIfLi256ELi32E10block_q4_KLi2EXadL_ZL17vec_dot_q4_K_q8_1PKvPK10block_q8_1RKiEEEvS2_S2_PT_iii.num_vgpr, 28
	.set _ZL13mul_mat_vec_qIfLi256ELi32E10block_q4_KLi2EXadL_ZL17vec_dot_q4_K_q8_1PKvPK10block_q8_1RKiEEEvS2_S2_PT_iii.num_agpr, 0
	.set _ZL13mul_mat_vec_qIfLi256ELi32E10block_q4_KLi2EXadL_ZL17vec_dot_q4_K_q8_1PKvPK10block_q8_1RKiEEEvS2_S2_PT_iii.numbered_sgpr, 16
	.set _ZL13mul_mat_vec_qIfLi256ELi32E10block_q4_KLi2EXadL_ZL17vec_dot_q4_K_q8_1PKvPK10block_q8_1RKiEEEvS2_S2_PT_iii.num_named_barrier, 0
	.set _ZL13mul_mat_vec_qIfLi256ELi32E10block_q4_KLi2EXadL_ZL17vec_dot_q4_K_q8_1PKvPK10block_q8_1RKiEEEvS2_S2_PT_iii.private_seg_size, 0
	.set _ZL13mul_mat_vec_qIfLi256ELi32E10block_q4_KLi2EXadL_ZL17vec_dot_q4_K_q8_1PKvPK10block_q8_1RKiEEEvS2_S2_PT_iii.uses_vcc, 1
	.set _ZL13mul_mat_vec_qIfLi256ELi32E10block_q4_KLi2EXadL_ZL17vec_dot_q4_K_q8_1PKvPK10block_q8_1RKiEEEvS2_S2_PT_iii.uses_flat_scratch, 0
	.set _ZL13mul_mat_vec_qIfLi256ELi32E10block_q4_KLi2EXadL_ZL17vec_dot_q4_K_q8_1PKvPK10block_q8_1RKiEEEvS2_S2_PT_iii.has_dyn_sized_stack, 0
	.set _ZL13mul_mat_vec_qIfLi256ELi32E10block_q4_KLi2EXadL_ZL17vec_dot_q4_K_q8_1PKvPK10block_q8_1RKiEEEvS2_S2_PT_iii.has_recursion, 0
	.set _ZL13mul_mat_vec_qIfLi256ELi32E10block_q4_KLi2EXadL_ZL17vec_dot_q4_K_q8_1PKvPK10block_q8_1RKiEEEvS2_S2_PT_iii.has_indirect_call, 0
	.section	.AMDGPU.csdata,"",@progbits
; Kernel info:
; codeLenInByte = 1148
; TotalNumSgprs: 20
; NumVgprs: 28
; ScratchSize: 0
; MemoryBound: 0
; FloatMode: 240
; IeeeMode: 1
; LDSByteSize: 0 bytes/workgroup (compile time only)
; SGPRBlocks: 2
; VGPRBlocks: 6
; NumSGPRsForWavesPerEU: 20
; NumVGPRsForWavesPerEU: 28
; Occupancy: 9
; WaveLimiterHint : 0
; COMPUTE_PGM_RSRC2:SCRATCH_EN: 0
; COMPUTE_PGM_RSRC2:USER_SGPR: 6
; COMPUTE_PGM_RSRC2:TRAP_HANDLER: 0
; COMPUTE_PGM_RSRC2:TGID_X_EN: 1
; COMPUTE_PGM_RSRC2:TGID_Y_EN: 1
; COMPUTE_PGM_RSRC2:TGID_Z_EN: 0
; COMPUTE_PGM_RSRC2:TIDIG_COMP_CNT: 1
	.section	.text._ZL13mul_mat_vec_qIfLi256ELi32E10block_q5_KLi2EXadL_ZL17vec_dot_q5_K_q8_1PKvPK10block_q8_1RKiEEEvS2_S2_PT_iii,"axG",@progbits,_ZL13mul_mat_vec_qIfLi256ELi32E10block_q5_KLi2EXadL_ZL17vec_dot_q5_K_q8_1PKvPK10block_q8_1RKiEEEvS2_S2_PT_iii,comdat
	.globl	_ZL13mul_mat_vec_qIfLi256ELi32E10block_q5_KLi2EXadL_ZL17vec_dot_q5_K_q8_1PKvPK10block_q8_1RKiEEEvS2_S2_PT_iii ; -- Begin function _ZL13mul_mat_vec_qIfLi256ELi32E10block_q5_KLi2EXadL_ZL17vec_dot_q5_K_q8_1PKvPK10block_q8_1RKiEEEvS2_S2_PT_iii
	.p2align	8
	.type	_ZL13mul_mat_vec_qIfLi256ELi32E10block_q5_KLi2EXadL_ZL17vec_dot_q5_K_q8_1PKvPK10block_q8_1RKiEEEvS2_S2_PT_iii,@function
_ZL13mul_mat_vec_qIfLi256ELi32E10block_q5_KLi2EXadL_ZL17vec_dot_q5_K_q8_1PKvPK10block_q8_1RKiEEEvS2_S2_PT_iii: ; @_ZL13mul_mat_vec_qIfLi256ELi32E10block_q5_KLi2EXadL_ZL17vec_dot_q5_K_q8_1PKvPK10block_q8_1RKiEEEvS2_S2_PT_iii
; %bb.0:
	s_load_dword s0, s[4:5], 0x34
	s_load_dwordx4 s[8:11], s[4:5], 0x18
	s_waitcnt lgkmcnt(0)
	s_lshr_b32 s0, s0, 16
	s_mul_i32 s6, s6, s0
	v_add_u32_e32 v9, s6, v1
	s_cmp_lt_u32 s7, s10
	v_cmp_gt_u32_e32 vcc, s9, v9
	s_cselect_b64 s[0:1], -1, 0
	s_and_b64 s[0:1], s[0:1], vcc
	s_and_saveexec_b64 s[2:3], s[0:1]
	s_cbranch_execz .LBB66_11
; %bb.1:
	s_load_dwordx2 s[2:3], s[4:5], 0x10
	s_ashr_i32 s0, s8, 31
	s_lshr_b32 s0, s0, 24
	s_add_i32 s0, s8, s0
	s_ashr_i32 s6, s0, 8
	v_lshrrev_b32_e32 v11, 4, v0
	v_cmp_gt_u32_e32 vcc, s6, v11
	v_mov_b32_e32 v10, 0
	s_and_saveexec_b64 s[10:11], vcc
	s_cbranch_execz .LBB66_9
; %bb.2:
	s_load_dwordx4 s[12:15], s[4:5], 0x0
	s_add_i32 s0, s8, 0x1ff
	s_ashr_i32 s1, s0, 31
	s_lshr_b32 s1, s1, 23
	v_lshlrev_b32_e32 v1, 1, v0
	s_add_i32 s0, s0, s1
	v_bfe_u32 v5, v1, 3, 2
	s_ashr_i32 s0, s0, 9
	v_and_b32_e32 v2, 30, v1
	v_lshlrev_b32_e32 v15, 1, v5
	s_mul_i32 s4, s7, s0
	v_mul_lo_u32 v12, v9, s6
	v_cmp_lt_u32_e32 vcc, 15, v2
	s_waitcnt lgkmcnt(0)
	v_mad_u64_u32 v[1:2], s[0:1], v15, 36, s[14:15]
	v_lshlrev_b32_e32 v3, 3, v11
	v_and_b32_e32 v6, 3, v0
	v_lshl_add_u32 v16, s4, 4, v3
	v_mov_b32_e32 v3, s12
	v_lshlrev_b32_e32 v13, 5, v5
	v_mov_b32_e32 v10, 0
	v_lshlrev_b32_e32 v14, 2, v6
	s_mov_b64 s[4:5], 0
	s_movk_i32 s8, 0xb0
	v_mov_b32_e32 v4, s13
	v_lshlrev_b32_e32 v17, 1, v5
	s_mov_b32 s12, 0x5040100
	s_mov_b32 s13, 0x20004
	;; [unrolled: 1-line block ×3, first 2 shown]
	v_lshlrev_b32_e32 v18, 2, v6
	s_mov_b32 s15, 0x10101010
	s_mov_b32 s16, 0x1010101
	s_branch .LBB66_4
.LBB66_3:                               ;   in Loop: Header=BB66_4 Depth=1
	s_or_b64 exec, exec, s[0:1]
	v_mad_i64_i32 v[24:25], s[0:1], v16, 36, v[1:2]
	s_waitcnt vmcnt(1)
	v_ashrrev_i32_e32 v22, v15, v22
	v_add_u32_e32 v11, 4, v11
	v_add_co_u32_e64 v26, s[0:1], v24, v18
	v_addc_co_u32_e64 v27, s[0:1], 0, v25, s[0:1]
	global_load_dword v8, v[26:27], off offset:20
	global_load_dword v28, v[26:27], off offset:4
	global_load_dword v7, v[5:6], off
	global_load_dword v29, v[26:27], off offset:56
	global_load_dword v30, v[26:27], off offset:40
	global_load_dword v31, v[24:25], off
                                        ; kill: killed $vgpr5 killed $vgpr6
                                        ; kill: killed $vgpr26 killed $vgpr27
	s_nop 0
	global_load_dword v5, v[24:25], off offset:36
	s_waitcnt vmcnt(7)
	v_ashrrev_i32_e32 v6, v15, v23
	v_and_b32_e32 v23, 0xf0f0f0f, v21
	v_lshlrev_b32_e32 v24, 4, v22
	v_and_or_b32 v23, v24, s15, v23
	v_and_b32_e32 v24, 0xf0f0f0f, v19
	v_lshlrev_b32_e32 v25, 4, v6
	v_lshrrev_b32_e32 v19, 4, v19
	v_and_or_b32 v24, v25, s15, v24
	v_lshrrev_b32_e32 v21, 4, v21
	v_and_b32_e32 v19, 0xf0f0f0f, v19
	v_lshlrev_b32_e32 v6, 3, v6
	v_and_b32_e32 v21, 0xf0f0f0f, v21
	v_lshlrev_b32_e32 v22, 3, v22
	v_and_or_b32 v6, v6, s15, v19
	v_and_or_b32 v21, v22, s15, v21
	v_lshrrev_b16_e32 v22, 8, v20
	v_lshrrev_b32_e32 v19, 24, v20
	v_cmp_le_u32_e64 s[0:1], s6, v11
	s_or_b64 s[4:5], s[0:1], s[4:5]
	v_add_u32_e32 v16, 32, v16
	s_waitcnt vmcnt(6)
	v_dot4_i32_i8 v24, v24, v8, 0
	v_dot4_i32_i8 v8, s16, v8, 0
	s_waitcnt vmcnt(5)
	v_dot4_i32_i8 v23, v23, v28, v24
	v_and_b32_e32 v24, 0xff, v20
	v_bfe_u32 v20, v20, 16, 8
	v_dot4_i32_i8 v8, s16, v28, v8
	s_waitcnt vmcnt(3)
	v_dot4_i32_i8 v6, v6, v29, 0
	v_dot4_i32_i8 v26, s16, v29, 0
	s_waitcnt vmcnt(2)
	v_dot4_i32_i8 v6, v21, v30, v6
	v_dot4_i32_i8 v21, s16, v30, v26
	v_mul_lo_u32 v20, v23, v20
	v_mul_lo_u32 v8, v8, v24
	;; [unrolled: 1-line block ×4, first 2 shown]
	v_cvt_f32_i32_e32 v20, v20
	v_cvt_f32_i32_e32 v8, v8
	v_cvt_f32_i32_e32 v6, v6
	v_cvt_f32_i32_e32 v19, v19
	v_cvt_f32_f16_sdwa v25, v7 dst_sel:DWORD dst_unused:UNUSED_PAD src0_sel:WORD_1
	s_waitcnt vmcnt(1)
	v_fma_mix_f32 v20, v31, v20, 0 op_sel_hi:[1,0,0]
	v_fma_mix_f32 v8, v31, v8, 0 op_sel_hi:[1,0,0]
	s_waitcnt vmcnt(0)
	v_fma_mix_f32 v6, v5, v6, v20 op_sel_hi:[1,0,0]
	v_fma_mix_f32 v5, v5, v19, v8 op_sel_hi:[1,0,0]
	v_mul_f32_e32 v5, v5, v25
	v_fma_mix_f32 v5, v6, v7, -v5 op_sel_hi:[0,1,0]
	v_add_f32_e32 v10, v10, v5
	s_andn2_b64 exec, exec, s[4:5]
	s_cbranch_execz .LBB66_8
.LBB66_4:                               ; =>This Inner Loop Header: Depth=1
	v_add_u32_e32 v5, v12, v11
	v_mad_i64_i32 v[5:6], s[0:1], v5, s8, v[3:4]
                                        ; implicit-def: $vgpr20
	v_add_co_u32_e64 v7, s[0:1], v5, v13
	v_addc_co_u32_e64 v8, s[0:1], 0, v6, s[0:1]
	v_add_co_u32_e64 v7, s[0:1], v7, v14
	v_addc_co_u32_e64 v8, s[0:1], 0, v8, s[0:1]
	v_add_co_u32_e64 v24, s[0:1], v5, v14
	v_addc_co_u32_e64 v25, s[0:1], 0, v6, s[0:1]
	global_load_dword v21, v[7:8], off offset:48
	global_load_dword v19, v[7:8], off offset:64
	;; [unrolled: 1-line block ×4, first 2 shown]
	v_add_co_u32_e64 v7, s[0:1], v5, v17
	v_addc_co_u32_e64 v8, s[0:1], 0, v6, s[0:1]
	s_and_saveexec_b64 s[0:1], vcc
	s_xor_b64 s[0:1], exec, s[0:1]
	s_cbranch_execz .LBB66_6
; %bb.5:                                ;   in Loop: Header=BB66_4 Depth=1
	global_load_ushort v20, v[7:8], off
	global_load_ushort v24, v[7:8], off offset:8
	global_load_ushort v25, v[7:8], off offset:4
	s_waitcnt vmcnt(1)
	v_perm_b32 v7, v20, v24, s12
	s_waitcnt vmcnt(0)
	v_perm_b32 v8, v24, v25, s12
	v_pk_lshrrev_b16 v8, 2, v8
	v_pk_lshrrev_b16 v7, s13, v7
	v_and_b32_e32 v8, 0xf0f3030, v8
	v_and_or_b32 v20, v7, s14, v8
                                        ; implicit-def: $vgpr7_vgpr8
.LBB66_6:                               ;   in Loop: Header=BB66_4 Depth=1
	s_andn2_saveexec_b64 s[0:1], s[0:1]
	s_cbranch_execz .LBB66_3
; %bb.7:                                ;   in Loop: Header=BB66_4 Depth=1
	global_load_ushort v20, v[7:8], off offset:4
	global_load_ushort v24, v[7:8], off offset:8
	s_waitcnt vmcnt(0)
	v_perm_b32 v7, v20, v24, s12
	v_and_b32_e32 v20, 0x3f3f3f3f, v7
	s_branch .LBB66_3
.LBB66_8:
	s_or_b64 exec, exec, s[4:5]
.LBB66_9:
	s_or_b64 exec, exec, s[10:11]
	v_mbcnt_lo_u32_b32 v1, -1, 0
	v_mbcnt_hi_u32_b32 v2, -1, v1
	v_and_b32_e32 v1, 64, v2
	v_add_u32_e32 v3, 64, v1
	v_xor_b32_e32 v1, 32, v2
	v_cmp_lt_i32_e32 vcc, v1, v3
	v_cndmask_b32_e32 v1, v2, v1, vcc
	v_lshlrev_b32_e32 v1, 2, v1
	ds_bpermute_b32 v1, v1, v10
	v_xor_b32_e32 v4, 16, v2
	v_cmp_lt_i32_e32 vcc, v4, v3
	v_cndmask_b32_e32 v4, v2, v4, vcc
	v_lshlrev_b32_e32 v4, 2, v4
	s_waitcnt lgkmcnt(0)
	v_add_f32_e32 v1, v10, v1
	ds_bpermute_b32 v4, v4, v1
	v_xor_b32_e32 v5, 8, v2
	v_cmp_lt_i32_e32 vcc, v5, v3
	s_waitcnt lgkmcnt(0)
	v_add_f32_e32 v1, v1, v4
	v_cndmask_b32_e32 v4, v2, v5, vcc
	v_lshlrev_b32_e32 v4, 2, v4
	ds_bpermute_b32 v4, v4, v1
	v_xor_b32_e32 v5, 4, v2
	v_cmp_lt_i32_e32 vcc, v5, v3
	s_waitcnt lgkmcnt(0)
	v_add_f32_e32 v1, v1, v4
	v_cndmask_b32_e32 v4, v2, v5, vcc
	v_lshlrev_b32_e32 v4, 2, v4
	;; [unrolled: 7-line block ×3, first 2 shown]
	ds_bpermute_b32 v4, v4, v1
	v_xor_b32_e32 v5, 1, v2
	v_cmp_lt_i32_e32 vcc, v5, v3
	v_cndmask_b32_e32 v2, v2, v5, vcc
	v_lshlrev_b32_e32 v2, 2, v2
	s_waitcnt lgkmcnt(0)
	v_add_f32_e32 v1, v1, v4
	ds_bpermute_b32 v2, v2, v1
	v_cmp_eq_u32_e32 vcc, 0, v0
	s_and_b64 exec, exec, vcc
	s_cbranch_execz .LBB66_11
; %bb.10:
	s_mul_i32 s0, s9, s7
	s_waitcnt lgkmcnt(0)
	v_add_f32_e32 v2, v1, v2
	v_add_u32_e32 v0, s0, v9
	v_mov_b32_e32 v1, 0
	v_lshlrev_b64 v[0:1], 2, v[0:1]
	v_mov_b32_e32 v3, s3
	v_add_co_u32_e32 v0, vcc, s2, v0
	v_addc_co_u32_e32 v1, vcc, v3, v1, vcc
	global_store_dword v[0:1], v2, off
.LBB66_11:
	s_endpgm
	.section	.rodata,"a",@progbits
	.p2align	6, 0x0
	.amdhsa_kernel _ZL13mul_mat_vec_qIfLi256ELi32E10block_q5_KLi2EXadL_ZL17vec_dot_q5_K_q8_1PKvPK10block_q8_1RKiEEEvS2_S2_PT_iii
		.amdhsa_group_segment_fixed_size 0
		.amdhsa_private_segment_fixed_size 0
		.amdhsa_kernarg_size 296
		.amdhsa_user_sgpr_count 6
		.amdhsa_user_sgpr_private_segment_buffer 1
		.amdhsa_user_sgpr_dispatch_ptr 0
		.amdhsa_user_sgpr_queue_ptr 0
		.amdhsa_user_sgpr_kernarg_segment_ptr 1
		.amdhsa_user_sgpr_dispatch_id 0
		.amdhsa_user_sgpr_flat_scratch_init 0
		.amdhsa_user_sgpr_private_segment_size 0
		.amdhsa_uses_dynamic_stack 0
		.amdhsa_system_sgpr_private_segment_wavefront_offset 0
		.amdhsa_system_sgpr_workgroup_id_x 1
		.amdhsa_system_sgpr_workgroup_id_y 1
		.amdhsa_system_sgpr_workgroup_id_z 0
		.amdhsa_system_sgpr_workgroup_info 0
		.amdhsa_system_vgpr_workitem_id 1
		.amdhsa_next_free_vgpr 32
		.amdhsa_next_free_sgpr 17
		.amdhsa_reserve_vcc 1
		.amdhsa_reserve_flat_scratch 0
		.amdhsa_float_round_mode_32 0
		.amdhsa_float_round_mode_16_64 0
		.amdhsa_float_denorm_mode_32 3
		.amdhsa_float_denorm_mode_16_64 3
		.amdhsa_dx10_clamp 1
		.amdhsa_ieee_mode 1
		.amdhsa_fp16_overflow 0
		.amdhsa_exception_fp_ieee_invalid_op 0
		.amdhsa_exception_fp_denorm_src 0
		.amdhsa_exception_fp_ieee_div_zero 0
		.amdhsa_exception_fp_ieee_overflow 0
		.amdhsa_exception_fp_ieee_underflow 0
		.amdhsa_exception_fp_ieee_inexact 0
		.amdhsa_exception_int_div_zero 0
	.end_amdhsa_kernel
	.section	.text._ZL13mul_mat_vec_qIfLi256ELi32E10block_q5_KLi2EXadL_ZL17vec_dot_q5_K_q8_1PKvPK10block_q8_1RKiEEEvS2_S2_PT_iii,"axG",@progbits,_ZL13mul_mat_vec_qIfLi256ELi32E10block_q5_KLi2EXadL_ZL17vec_dot_q5_K_q8_1PKvPK10block_q8_1RKiEEEvS2_S2_PT_iii,comdat
.Lfunc_end66:
	.size	_ZL13mul_mat_vec_qIfLi256ELi32E10block_q5_KLi2EXadL_ZL17vec_dot_q5_K_q8_1PKvPK10block_q8_1RKiEEEvS2_S2_PT_iii, .Lfunc_end66-_ZL13mul_mat_vec_qIfLi256ELi32E10block_q5_KLi2EXadL_ZL17vec_dot_q5_K_q8_1PKvPK10block_q8_1RKiEEEvS2_S2_PT_iii
                                        ; -- End function
	.set _ZL13mul_mat_vec_qIfLi256ELi32E10block_q5_KLi2EXadL_ZL17vec_dot_q5_K_q8_1PKvPK10block_q8_1RKiEEEvS2_S2_PT_iii.num_vgpr, 32
	.set _ZL13mul_mat_vec_qIfLi256ELi32E10block_q5_KLi2EXadL_ZL17vec_dot_q5_K_q8_1PKvPK10block_q8_1RKiEEEvS2_S2_PT_iii.num_agpr, 0
	.set _ZL13mul_mat_vec_qIfLi256ELi32E10block_q5_KLi2EXadL_ZL17vec_dot_q5_K_q8_1PKvPK10block_q8_1RKiEEEvS2_S2_PT_iii.numbered_sgpr, 17
	.set _ZL13mul_mat_vec_qIfLi256ELi32E10block_q5_KLi2EXadL_ZL17vec_dot_q5_K_q8_1PKvPK10block_q8_1RKiEEEvS2_S2_PT_iii.num_named_barrier, 0
	.set _ZL13mul_mat_vec_qIfLi256ELi32E10block_q5_KLi2EXadL_ZL17vec_dot_q5_K_q8_1PKvPK10block_q8_1RKiEEEvS2_S2_PT_iii.private_seg_size, 0
	.set _ZL13mul_mat_vec_qIfLi256ELi32E10block_q5_KLi2EXadL_ZL17vec_dot_q5_K_q8_1PKvPK10block_q8_1RKiEEEvS2_S2_PT_iii.uses_vcc, 1
	.set _ZL13mul_mat_vec_qIfLi256ELi32E10block_q5_KLi2EXadL_ZL17vec_dot_q5_K_q8_1PKvPK10block_q8_1RKiEEEvS2_S2_PT_iii.uses_flat_scratch, 0
	.set _ZL13mul_mat_vec_qIfLi256ELi32E10block_q5_KLi2EXadL_ZL17vec_dot_q5_K_q8_1PKvPK10block_q8_1RKiEEEvS2_S2_PT_iii.has_dyn_sized_stack, 0
	.set _ZL13mul_mat_vec_qIfLi256ELi32E10block_q5_KLi2EXadL_ZL17vec_dot_q5_K_q8_1PKvPK10block_q8_1RKiEEEvS2_S2_PT_iii.has_recursion, 0
	.set _ZL13mul_mat_vec_qIfLi256ELi32E10block_q5_KLi2EXadL_ZL17vec_dot_q5_K_q8_1PKvPK10block_q8_1RKiEEEvS2_S2_PT_iii.has_indirect_call, 0
	.section	.AMDGPU.csdata,"",@progbits
; Kernel info:
; codeLenInByte = 1240
; TotalNumSgprs: 21
; NumVgprs: 32
; ScratchSize: 0
; MemoryBound: 0
; FloatMode: 240
; IeeeMode: 1
; LDSByteSize: 0 bytes/workgroup (compile time only)
; SGPRBlocks: 2
; VGPRBlocks: 7
; NumSGPRsForWavesPerEU: 21
; NumVGPRsForWavesPerEU: 32
; Occupancy: 8
; WaveLimiterHint : 0
; COMPUTE_PGM_RSRC2:SCRATCH_EN: 0
; COMPUTE_PGM_RSRC2:USER_SGPR: 6
; COMPUTE_PGM_RSRC2:TRAP_HANDLER: 0
; COMPUTE_PGM_RSRC2:TGID_X_EN: 1
; COMPUTE_PGM_RSRC2:TGID_Y_EN: 1
; COMPUTE_PGM_RSRC2:TGID_Z_EN: 0
; COMPUTE_PGM_RSRC2:TIDIG_COMP_CNT: 1
	.section	.text._ZL13mul_mat_vec_qIfLi256ELi32E10block_q6_KLi1EXadL_ZL17vec_dot_q6_K_q8_1PKvPK10block_q8_1RKiEEEvS2_S2_PT_iii,"axG",@progbits,_ZL13mul_mat_vec_qIfLi256ELi32E10block_q6_KLi1EXadL_ZL17vec_dot_q6_K_q8_1PKvPK10block_q8_1RKiEEEvS2_S2_PT_iii,comdat
	.globl	_ZL13mul_mat_vec_qIfLi256ELi32E10block_q6_KLi1EXadL_ZL17vec_dot_q6_K_q8_1PKvPK10block_q8_1RKiEEEvS2_S2_PT_iii ; -- Begin function _ZL13mul_mat_vec_qIfLi256ELi32E10block_q6_KLi1EXadL_ZL17vec_dot_q6_K_q8_1PKvPK10block_q8_1RKiEEEvS2_S2_PT_iii
	.p2align	8
	.type	_ZL13mul_mat_vec_qIfLi256ELi32E10block_q6_KLi1EXadL_ZL17vec_dot_q6_K_q8_1PKvPK10block_q8_1RKiEEEvS2_S2_PT_iii,@function
_ZL13mul_mat_vec_qIfLi256ELi32E10block_q6_KLi1EXadL_ZL17vec_dot_q6_K_q8_1PKvPK10block_q8_1RKiEEEvS2_S2_PT_iii: ; @_ZL13mul_mat_vec_qIfLi256ELi32E10block_q6_KLi1EXadL_ZL17vec_dot_q6_K_q8_1PKvPK10block_q8_1RKiEEEvS2_S2_PT_iii
; %bb.0:
	s_load_dword s0, s[4:5], 0x34
	s_load_dwordx4 s[8:11], s[4:5], 0x18
	s_waitcnt lgkmcnt(0)
	s_lshr_b32 s0, s0, 16
	s_mul_i32 s6, s6, s0
	v_add_u32_e32 v5, s6, v1
	s_cmp_lt_u32 s7, s10
	v_cmp_gt_u32_e32 vcc, s9, v5
	s_cselect_b64 s[0:1], -1, 0
	s_and_b64 s[0:1], s[0:1], vcc
	s_and_saveexec_b64 s[2:3], s[0:1]
	s_cbranch_execz .LBB67_7
; %bb.1:
	s_load_dwordx2 s[2:3], s[4:5], 0x10
	s_ashr_i32 s0, s8, 31
	s_lshr_b32 s0, s0, 24
	s_add_i32 s0, s8, s0
	s_ashr_i32 s6, s0, 8
	v_lshrrev_b32_e32 v7, 5, v0
	v_cmp_gt_u32_e32 vcc, s6, v7
	v_mov_b32_e32 v6, 0
	s_and_saveexec_b64 s[10:11], vcc
	s_cbranch_execz .LBB67_5
; %bb.2:
	s_load_dwordx4 s[12:15], s[4:5], 0x0
	s_add_i32 s0, s8, 0x1ff
	v_and_b32_e32 v1, 31, v0
	s_ashr_i32 s1, s0, 31
	v_add_u32_e32 v2, 0xf0, v1
	v_cmp_gt_u32_e32 vcc, 16, v1
	s_lshr_b32 s1, s1, 23
	v_cndmask_b32_e32 v3, v2, v1, vcc
	v_cmp_lt_u32_e32 vcc, 15, v1
	s_add_i32 s0, s0, s1
	v_lshlrev_b32_e32 v9, 2, v1
	v_cndmask_b32_e64 v13, 0, 8, vcc
	v_and_b32_e32 v1, 7, v0
	s_ashr_i32 s0, s0, 9
	v_or_b32_e32 v2, v13, v1
	v_lshlrev_b32_e32 v11, 2, v1
	v_cndmask_b32_e64 v1, 0, 4, vcc
	s_mul_i32 s4, s7, s0
	v_lshlrev_b32_e32 v10, 2, v2
	s_waitcnt lgkmcnt(0)
	v_mad_u64_u32 v[1:2], s[0:1], v1, 36, s[14:15]
	v_and_b32_e32 v4, 0xf8, v3
	v_cmp_ne_u32_e32 vcc, 0, v4
	v_cndmask_b32_e64 v4, 0, 1, vcc
	v_mul_lo_u32 v8, v5, s6
	v_mad_u64_u32 v[1:2], s[0:1], v4, 36, v[1:2]
	v_bfe_u32 v3, v3, 2, 6
	v_add_u32_e32 v13, v3, v13
	v_lshlrev_b32_e32 v3, 3, v7
	v_lshl_add_u32 v14, s4, 4, v3
	v_mov_b32_e32 v3, s12
	v_mov_b32_e32 v6, 0
	v_cndmask_b32_e64 v12, 0, 2, vcc
	s_mov_b64 s[4:5], 0
	s_movk_i32 s8, 0xd2
	v_mov_b32_e32 v4, s13
	s_mov_b32 s12, 0x30303030
	s_movk_i32 s13, 0x3f00
	s_movk_i32 s14, 0xe000
	v_mov_b32_e32 v15, 8
.LBB67_3:                               ; =>This Inner Loop Header: Depth=1
	v_add_u32_e32 v18, v8, v7
	v_mad_i64_i32 v[18:19], s[0:1], v18, s8, v[3:4]
	v_mad_i64_i32 v[16:17], s[0:1], v14, 36, v[1:2]
	v_add_co_u32_e64 v21, s[0:1], v18, v9
	v_addc_co_u32_e64 v22, s[0:1], 0, v19, s[0:1]
	v_add_co_u32_e64 v23, s[0:1], v18, v10
	v_addc_co_u32_e64 v24, s[0:1], 0, v19, s[0:1]
	global_load_dword v25, v[23:24], off offset:128
	global_load_dword v26, v[21:22], off
	v_add_co_u32_e32 v20, vcc, v16, v11
	v_addc_co_u32_e32 v21, vcc, 0, v17, vcc
	global_load_dword v22, v[20:21], off offset:4
	global_load_dword v23, v[20:21], off offset:76
	v_add_co_u32_e32 v20, vcc, v18, v13
	v_addc_co_u32_e32 v21, vcc, 0, v19, vcc
	global_load_sbyte v24, v[20:21], off offset:192
	global_load_sbyte v27, v[20:21], off offset:196
	global_load_dword v28, v[16:17], off
	global_load_dword v29, v[16:17], off offset:72
	global_load_ushort v30, v[18:19], off offset:208
	v_add_u32_e32 v7, 2, v7
	v_cmp_le_u32_e32 vcc, s6, v7
	v_add_u32_e32 v14, 16, v14
	s_or_b64 s[4:5], vcc, s[4:5]
	s_waitcnt vmcnt(8)
	v_ashrrev_i32_e32 v16, v12, v25
	s_waitcnt vmcnt(7)
	v_and_b32_e32 v17, 0xf0f0f0f, v26
	v_lshrrev_b32_e32 v18, 4, v26
	v_lshlrev_b32_e32 v19, 4, v16
	v_and_b32_e32 v18, 0xf0f0f0f, v18
	v_and_or_b32 v17, v19, s12, v17
	v_and_or_b32 v16, v16, s12, v18
	v_lshlrev_b16_e32 v18, 8, v17
	v_and_b32_e32 v19, 0x3f00, v17
	v_and_b32_sdwa v20, v17, s13 dst_sel:DWORD dst_unused:UNUSED_PAD src0_sel:WORD_1 src1_sel:DWORD
	v_lshlrev_b16_sdwa v17, v15, v17 dst_sel:DWORD dst_unused:UNUSED_PAD src0_sel:DWORD src1_sel:WORD_1
	v_add_u16_e32 v18, 0xe000, v18
	v_lshlrev_b16_e32 v21, 8, v16
	v_and_b32_e32 v25, 0x3f00, v16
	v_or_b32_sdwa v18, v19, v18 dst_sel:DWORD dst_unused:UNUSED_PAD src0_sel:DWORD src1_sel:BYTE_1
	v_and_b32_sdwa v19, v16, s13 dst_sel:DWORD dst_unused:UNUSED_PAD src0_sel:WORD_1 src1_sel:DWORD
	v_lshlrev_b16_sdwa v16, v15, v16 dst_sel:DWORD dst_unused:UNUSED_PAD src0_sel:DWORD src1_sel:WORD_1
	v_add_u16_e32 v17, 0xe000, v17
	v_add_u16_e32 v21, 0xe000, v21
	;; [unrolled: 1-line block ×3, first 2 shown]
	v_or_b32_sdwa v17, v20, v17 dst_sel:DWORD dst_unused:UNUSED_PAD src0_sel:DWORD src1_sel:BYTE_1
	v_or_b32_sdwa v20, v25, v21 dst_sel:DWORD dst_unused:UNUSED_PAD src0_sel:DWORD src1_sel:BYTE_1
	;; [unrolled: 1-line block ×3, first 2 shown]
	v_add_u16_e32 v18, 0xe000, v18
	v_add_u16_sdwa v17, v17, s14 dst_sel:WORD_1 dst_unused:UNUSED_PAD src0_sel:DWORD src1_sel:DWORD
	v_add_u16_e32 v19, 0xe000, v20
	v_add_u16_sdwa v16, v16, s14 dst_sel:WORD_1 dst_unused:UNUSED_PAD src0_sel:DWORD src1_sel:DWORD
	v_or_b32_e32 v17, v18, v17
	v_or_b32_e32 v16, v19, v16
	s_waitcnt vmcnt(6)
	v_dot4_i32_i8 v17, v17, v22, 0
	s_waitcnt vmcnt(5)
	v_dot4_i32_i8 v16, v16, v23, 0
	s_waitcnt vmcnt(4)
	v_mul_lo_u32 v17, v17, v24
	s_waitcnt vmcnt(3)
	v_mul_lo_u32 v16, v16, v27
	v_cvt_f32_i32_e32 v17, v17
	v_cvt_f32_i32_e32 v16, v16
	s_waitcnt vmcnt(2)
	v_fma_mix_f32 v17, v28, v17, 0 op_sel_hi:[1,0,0]
	s_waitcnt vmcnt(1)
	v_fma_mix_f32 v16, v29, v16, v17 op_sel_hi:[1,0,0]
	s_waitcnt vmcnt(0)
	v_fma_mix_f32 v6, v16, v30, v6 op_sel_hi:[0,1,0]
	s_andn2_b64 exec, exec, s[4:5]
	s_cbranch_execnz .LBB67_3
; %bb.4:
	s_or_b64 exec, exec, s[4:5]
.LBB67_5:
	s_or_b64 exec, exec, s[10:11]
	v_mbcnt_lo_u32_b32 v1, -1, 0
	v_mbcnt_hi_u32_b32 v2, -1, v1
	v_and_b32_e32 v1, 64, v2
	v_add_u32_e32 v3, 64, v1
	v_xor_b32_e32 v1, 32, v2
	v_cmp_lt_i32_e32 vcc, v1, v3
	v_cndmask_b32_e32 v1, v2, v1, vcc
	v_lshlrev_b32_e32 v1, 2, v1
	ds_bpermute_b32 v1, v1, v6
	v_xor_b32_e32 v4, 16, v2
	v_cmp_lt_i32_e32 vcc, v4, v3
	v_cndmask_b32_e32 v4, v2, v4, vcc
	v_lshlrev_b32_e32 v4, 2, v4
	s_waitcnt lgkmcnt(0)
	v_add_f32_e32 v1, v6, v1
	ds_bpermute_b32 v4, v4, v1
	v_xor_b32_e32 v6, 8, v2
	v_cmp_lt_i32_e32 vcc, v6, v3
	s_waitcnt lgkmcnt(0)
	v_add_f32_e32 v1, v1, v4
	v_cndmask_b32_e32 v4, v2, v6, vcc
	v_lshlrev_b32_e32 v4, 2, v4
	ds_bpermute_b32 v4, v4, v1
	v_xor_b32_e32 v6, 4, v2
	v_cmp_lt_i32_e32 vcc, v6, v3
	s_waitcnt lgkmcnt(0)
	v_add_f32_e32 v1, v1, v4
	v_cndmask_b32_e32 v4, v2, v6, vcc
	v_lshlrev_b32_e32 v4, 2, v4
	;; [unrolled: 7-line block ×3, first 2 shown]
	ds_bpermute_b32 v4, v4, v1
	v_xor_b32_e32 v6, 1, v2
	v_cmp_lt_i32_e32 vcc, v6, v3
	v_cndmask_b32_e32 v2, v2, v6, vcc
	v_lshlrev_b32_e32 v2, 2, v2
	s_waitcnt lgkmcnt(0)
	v_add_f32_e32 v1, v1, v4
	ds_bpermute_b32 v2, v2, v1
	v_cmp_eq_u32_e32 vcc, 0, v0
	s_and_b64 exec, exec, vcc
	s_cbranch_execz .LBB67_7
; %bb.6:
	s_mul_i32 s0, s9, s7
	s_waitcnt lgkmcnt(0)
	v_add_f32_e32 v2, v1, v2
	v_add_u32_e32 v0, s0, v5
	v_mov_b32_e32 v1, 0
	v_lshlrev_b64 v[0:1], 2, v[0:1]
	v_mov_b32_e32 v3, s3
	v_add_co_u32_e32 v0, vcc, s2, v0
	v_addc_co_u32_e32 v1, vcc, v3, v1, vcc
	global_store_dword v[0:1], v2, off
.LBB67_7:
	s_endpgm
	.section	.rodata,"a",@progbits
	.p2align	6, 0x0
	.amdhsa_kernel _ZL13mul_mat_vec_qIfLi256ELi32E10block_q6_KLi1EXadL_ZL17vec_dot_q6_K_q8_1PKvPK10block_q8_1RKiEEEvS2_S2_PT_iii
		.amdhsa_group_segment_fixed_size 0
		.amdhsa_private_segment_fixed_size 0
		.amdhsa_kernarg_size 296
		.amdhsa_user_sgpr_count 6
		.amdhsa_user_sgpr_private_segment_buffer 1
		.amdhsa_user_sgpr_dispatch_ptr 0
		.amdhsa_user_sgpr_queue_ptr 0
		.amdhsa_user_sgpr_kernarg_segment_ptr 1
		.amdhsa_user_sgpr_dispatch_id 0
		.amdhsa_user_sgpr_flat_scratch_init 0
		.amdhsa_user_sgpr_private_segment_size 0
		.amdhsa_uses_dynamic_stack 0
		.amdhsa_system_sgpr_private_segment_wavefront_offset 0
		.amdhsa_system_sgpr_workgroup_id_x 1
		.amdhsa_system_sgpr_workgroup_id_y 1
		.amdhsa_system_sgpr_workgroup_id_z 0
		.amdhsa_system_sgpr_workgroup_info 0
		.amdhsa_system_vgpr_workitem_id 1
		.amdhsa_next_free_vgpr 31
		.amdhsa_next_free_sgpr 16
		.amdhsa_reserve_vcc 1
		.amdhsa_reserve_flat_scratch 0
		.amdhsa_float_round_mode_32 0
		.amdhsa_float_round_mode_16_64 0
		.amdhsa_float_denorm_mode_32 3
		.amdhsa_float_denorm_mode_16_64 3
		.amdhsa_dx10_clamp 1
		.amdhsa_ieee_mode 1
		.amdhsa_fp16_overflow 0
		.amdhsa_exception_fp_ieee_invalid_op 0
		.amdhsa_exception_fp_denorm_src 0
		.amdhsa_exception_fp_ieee_div_zero 0
		.amdhsa_exception_fp_ieee_overflow 0
		.amdhsa_exception_fp_ieee_underflow 0
		.amdhsa_exception_fp_ieee_inexact 0
		.amdhsa_exception_int_div_zero 0
	.end_amdhsa_kernel
	.section	.text._ZL13mul_mat_vec_qIfLi256ELi32E10block_q6_KLi1EXadL_ZL17vec_dot_q6_K_q8_1PKvPK10block_q8_1RKiEEEvS2_S2_PT_iii,"axG",@progbits,_ZL13mul_mat_vec_qIfLi256ELi32E10block_q6_KLi1EXadL_ZL17vec_dot_q6_K_q8_1PKvPK10block_q8_1RKiEEEvS2_S2_PT_iii,comdat
.Lfunc_end67:
	.size	_ZL13mul_mat_vec_qIfLi256ELi32E10block_q6_KLi1EXadL_ZL17vec_dot_q6_K_q8_1PKvPK10block_q8_1RKiEEEvS2_S2_PT_iii, .Lfunc_end67-_ZL13mul_mat_vec_qIfLi256ELi32E10block_q6_KLi1EXadL_ZL17vec_dot_q6_K_q8_1PKvPK10block_q8_1RKiEEEvS2_S2_PT_iii
                                        ; -- End function
	.set _ZL13mul_mat_vec_qIfLi256ELi32E10block_q6_KLi1EXadL_ZL17vec_dot_q6_K_q8_1PKvPK10block_q8_1RKiEEEvS2_S2_PT_iii.num_vgpr, 31
	.set _ZL13mul_mat_vec_qIfLi256ELi32E10block_q6_KLi1EXadL_ZL17vec_dot_q6_K_q8_1PKvPK10block_q8_1RKiEEEvS2_S2_PT_iii.num_agpr, 0
	.set _ZL13mul_mat_vec_qIfLi256ELi32E10block_q6_KLi1EXadL_ZL17vec_dot_q6_K_q8_1PKvPK10block_q8_1RKiEEEvS2_S2_PT_iii.numbered_sgpr, 16
	.set _ZL13mul_mat_vec_qIfLi256ELi32E10block_q6_KLi1EXadL_ZL17vec_dot_q6_K_q8_1PKvPK10block_q8_1RKiEEEvS2_S2_PT_iii.num_named_barrier, 0
	.set _ZL13mul_mat_vec_qIfLi256ELi32E10block_q6_KLi1EXadL_ZL17vec_dot_q6_K_q8_1PKvPK10block_q8_1RKiEEEvS2_S2_PT_iii.private_seg_size, 0
	.set _ZL13mul_mat_vec_qIfLi256ELi32E10block_q6_KLi1EXadL_ZL17vec_dot_q6_K_q8_1PKvPK10block_q8_1RKiEEEvS2_S2_PT_iii.uses_vcc, 1
	.set _ZL13mul_mat_vec_qIfLi256ELi32E10block_q6_KLi1EXadL_ZL17vec_dot_q6_K_q8_1PKvPK10block_q8_1RKiEEEvS2_S2_PT_iii.uses_flat_scratch, 0
	.set _ZL13mul_mat_vec_qIfLi256ELi32E10block_q6_KLi1EXadL_ZL17vec_dot_q6_K_q8_1PKvPK10block_q8_1RKiEEEvS2_S2_PT_iii.has_dyn_sized_stack, 0
	.set _ZL13mul_mat_vec_qIfLi256ELi32E10block_q6_KLi1EXadL_ZL17vec_dot_q6_K_q8_1PKvPK10block_q8_1RKiEEEvS2_S2_PT_iii.has_recursion, 0
	.set _ZL13mul_mat_vec_qIfLi256ELi32E10block_q6_KLi1EXadL_ZL17vec_dot_q6_K_q8_1PKvPK10block_q8_1RKiEEEvS2_S2_PT_iii.has_indirect_call, 0
	.section	.AMDGPU.csdata,"",@progbits
; Kernel info:
; codeLenInByte = 1064
; TotalNumSgprs: 20
; NumVgprs: 31
; ScratchSize: 0
; MemoryBound: 0
; FloatMode: 240
; IeeeMode: 1
; LDSByteSize: 0 bytes/workgroup (compile time only)
; SGPRBlocks: 2
; VGPRBlocks: 7
; NumSGPRsForWavesPerEU: 20
; NumVGPRsForWavesPerEU: 31
; Occupancy: 8
; WaveLimiterHint : 0
; COMPUTE_PGM_RSRC2:SCRATCH_EN: 0
; COMPUTE_PGM_RSRC2:USER_SGPR: 6
; COMPUTE_PGM_RSRC2:TRAP_HANDLER: 0
; COMPUTE_PGM_RSRC2:TGID_X_EN: 1
; COMPUTE_PGM_RSRC2:TGID_Y_EN: 1
; COMPUTE_PGM_RSRC2:TGID_Z_EN: 0
; COMPUTE_PGM_RSRC2:TIDIG_COMP_CNT: 1
	.section	.text._ZL13mul_mat_vec_qIfLi256ELi8E13block_iq2_xxsLi1EXadL_ZL20vec_dot_iq2_xxs_q8_1PKvPK10block_q8_1RKiEEEvS2_S2_PT_iii,"axG",@progbits,_ZL13mul_mat_vec_qIfLi256ELi8E13block_iq2_xxsLi1EXadL_ZL20vec_dot_iq2_xxs_q8_1PKvPK10block_q8_1RKiEEEvS2_S2_PT_iii,comdat
	.globl	_ZL13mul_mat_vec_qIfLi256ELi8E13block_iq2_xxsLi1EXadL_ZL20vec_dot_iq2_xxs_q8_1PKvPK10block_q8_1RKiEEEvS2_S2_PT_iii ; -- Begin function _ZL13mul_mat_vec_qIfLi256ELi8E13block_iq2_xxsLi1EXadL_ZL20vec_dot_iq2_xxs_q8_1PKvPK10block_q8_1RKiEEEvS2_S2_PT_iii
	.p2align	8
	.type	_ZL13mul_mat_vec_qIfLi256ELi8E13block_iq2_xxsLi1EXadL_ZL20vec_dot_iq2_xxs_q8_1PKvPK10block_q8_1RKiEEEvS2_S2_PT_iii,@function
_ZL13mul_mat_vec_qIfLi256ELi8E13block_iq2_xxsLi1EXadL_ZL20vec_dot_iq2_xxs_q8_1PKvPK10block_q8_1RKiEEEvS2_S2_PT_iii: ; @_ZL13mul_mat_vec_qIfLi256ELi8E13block_iq2_xxsLi1EXadL_ZL20vec_dot_iq2_xxs_q8_1PKvPK10block_q8_1RKiEEEvS2_S2_PT_iii
; %bb.0:
	s_load_dword s8, s[4:5], 0x34
	s_load_dwordx4 s[0:3], s[4:5], 0x18
	s_waitcnt lgkmcnt(0)
	s_lshr_b32 s3, s8, 16
	s_mul_i32 s6, s6, s3
	v_add_u32_e32 v9, s6, v1
	s_cmp_lt_u32 s7, s2
	v_cmp_gt_u32_e32 vcc, s1, v9
	s_cselect_b64 s[2:3], -1, 0
	s_and_b64 s[2:3], s[2:3], vcc
	s_and_saveexec_b64 s[8:9], s[2:3]
	s_cbranch_execz .LBB68_7
; %bb.1:
	s_load_dwordx2 s[2:3], s[4:5], 0x10
	s_ashr_i32 s6, s0, 31
	s_lshr_b32 s6, s6, 24
	s_add_i32 s6, s0, s6
	s_ashr_i32 s6, s6, 8
	v_lshrrev_b32_e32 v11, 3, v0
	v_cmp_gt_u32_e32 vcc, s6, v11
	v_mov_b32_e32 v10, 0
	s_and_saveexec_b64 s[8:9], vcc
	s_cbranch_execz .LBB68_5
; %bb.2:
	s_load_dwordx4 s[12:15], s[4:5], 0x0
	s_addk_i32 s0, 0x1ff
	s_ashr_i32 s4, s0, 31
	s_lshr_b32 s4, s4, 23
	s_add_i32 s0, s0, s4
	v_and_b32_e32 v1, 7, v0
	s_ashr_i32 s0, s0, 9
	v_mul_lo_u32 v12, v9, s6
	v_lshlrev_b32_e32 v5, 2, v1
	s_waitcnt lgkmcnt(0)
	v_mad_u64_u32 v[1:2], s[4:5], v1, 36, s[14:15]
	s_mul_i32 s0, s7, s0
	v_lshlrev_b32_e32 v3, 3, v11
	v_lshl_add_u32 v13, s0, 4, v3
	v_mov_b32_e32 v3, s12
	v_mov_b32_e32 v10, 0
	s_mov_b64 s[4:5], 0
	s_movk_i32 s0, 0x42
	v_mov_b32_e32 v4, s13
	v_lshlrev_b32_e32 v14, 1, v5
	v_mov_b32_e32 v15, 3
.LBB68_3:                               ; =>This Inner Loop Header: Depth=1
	v_add_u32_e32 v5, v12, v11
	v_mad_i64_i32 v[7:8], s[10:11], v5, s0, v[3:4]
	v_mad_i64_i32 v[5:6], s[10:11], v13, 36, v[1:2]
	v_add_co_u32_e32 v18, vcc, v7, v14
	v_addc_co_u32_e32 v19, vcc, 0, v8, vcc
	global_load_dword v17, v[18:19], off offset:6
	global_load_dword v16, v[18:19], off offset:2
	s_getpc_b64 s[10:11]
	s_add_u32 s10, s10, _ZL11iq2xxs_grid@rel32@lo+4
	s_addc_u32 s11, s11, _ZL11iq2xxs_grid@rel32@hi+12
	s_getpc_b64 s[12:13]
	s_add_u32 s12, s12, _ZL12ksigns_iq2xs@rel32@lo+4
	s_addc_u32 s13, s13, _ZL12ksigns_iq2xs@rel32@hi+12
	v_add_u32_e32 v11, 8, v11
	v_add_u32_e32 v13, 64, v13
	s_waitcnt vmcnt(1)
	v_and_b32_e32 v25, 0x7f, v17
	s_waitcnt vmcnt(0)
	v_lshlrev_b32_sdwa v24, v15, v16 dst_sel:DWORD dst_unused:UNUSED_PAD src0_sel:DWORD src1_sel:BYTE_0
	global_load_sbyte v26, v25, s[12:13]
	global_load_dwordx4 v[18:21], v[5:6], off offset:4
	global_load_dwordx2 v[22:23], v24, s[10:11]
	s_waitcnt vmcnt(2)
	v_and_b32_e32 v27, 1, v26
	v_cmp_eq_u16_e32 vcc, 0, v27
	s_waitcnt vmcnt(0)
	v_mul_i32_i24_sdwa v24, v22, sext(v18) dst_sel:DWORD dst_unused:UNUSED_PAD src0_sel:BYTE_0 src1_sel:BYTE_0
	v_sub_u32_e32 v27, 0, v24
	v_cndmask_b32_e32 v24, v27, v24, vcc
	v_mul_i32_i24_sdwa v27, v22, sext(v18) dst_sel:DWORD dst_unused:UNUSED_PAD src0_sel:BYTE_1 src1_sel:BYTE_1
	v_and_b32_e32 v28, 2, v26
	v_cmp_eq_u16_e32 vcc, 0, v28
	v_sub_u32_e32 v28, 0, v27
	v_cndmask_b32_e32 v27, v28, v27, vcc
	v_add_u32_e32 v24, v27, v24
	v_mul_i32_i24_sdwa v27, v22, sext(v18) dst_sel:DWORD dst_unused:UNUSED_PAD src0_sel:BYTE_2 src1_sel:BYTE_2
	v_and_b32_e32 v28, 4, v26
	v_cmp_eq_u16_e32 vcc, 0, v28
	v_sub_u32_e32 v28, 0, v27
	v_mul_i32_i24_sdwa v18, v22, sext(v18) dst_sel:DWORD dst_unused:UNUSED_PAD src0_sel:BYTE_3 src1_sel:BYTE_3
	v_and_b32_e32 v22, 8, v26
	v_cndmask_b32_e32 v27, v28, v27, vcc
	v_cmp_eq_u16_e32 vcc, 0, v22
	v_sub_u32_e32 v22, 0, v18
	v_cndmask_b32_e32 v18, v22, v18, vcc
	v_add3_u32 v18, v24, v27, v18
	v_mul_i32_i24_sdwa v22, v23, sext(v19) dst_sel:DWORD dst_unused:UNUSED_PAD src0_sel:BYTE_0 src1_sel:BYTE_0
	v_and_b32_e32 v24, 16, v26
	v_cmp_eq_u16_e32 vcc, 0, v24
	v_sub_u32_e32 v24, 0, v22
	v_cndmask_b32_e32 v22, v24, v22, vcc
	v_mul_i32_i24_sdwa v24, v23, sext(v19) dst_sel:DWORD dst_unused:UNUSED_PAD src0_sel:BYTE_1 src1_sel:BYTE_1
	v_and_b32_e32 v27, 32, v26
	v_cmp_eq_u16_e32 vcc, 0, v27
	v_sub_u32_e32 v27, 0, v24
	v_cndmask_b32_e32 v24, v27, v24, vcc
	v_add3_u32 v18, v18, v22, v24
	v_mul_i32_i24_sdwa v22, v23, sext(v19) dst_sel:DWORD dst_unused:UNUSED_PAD src0_sel:BYTE_2 src1_sel:BYTE_2
	v_cmp_gt_u32_e32 vcc, 64, v25
	v_sub_u32_e32 v24, 0, v22
	v_mul_i32_i24_sdwa v19, v23, sext(v19) dst_sel:DWORD dst_unused:UNUSED_PAD src0_sel:BYTE_3 src1_sel:BYTE_3
	v_cndmask_b32_e32 v22, v24, v22, vcc
	v_sub_u32_e32 v23, 0, v19
	v_cmp_gt_i16_e32 vcc, 0, v26
	v_cndmask_b32_e32 v19, v19, v23, vcc
	v_bfe_u32 v24, v17, 7, 7
	v_add3_u32 v22, v18, v22, v19
	v_lshlrev_b32_sdwa v23, v15, v16 dst_sel:DWORD dst_unused:UNUSED_PAD src0_sel:DWORD src1_sel:BYTE_1
	global_load_sbyte v25, v24, s[12:13]
	global_load_dwordx2 v[18:19], v23, s[10:11]
	s_waitcnt vmcnt(1)
	v_and_b32_e32 v26, 1, v25
	s_waitcnt vmcnt(0)
	v_mul_i32_i24_sdwa v23, v18, sext(v20) dst_sel:DWORD dst_unused:UNUSED_PAD src0_sel:BYTE_0 src1_sel:BYTE_0
	v_cmp_eq_u16_e32 vcc, 0, v26
	v_sub_u32_e32 v26, 0, v23
	v_cndmask_b32_e32 v23, v26, v23, vcc
	v_mul_i32_i24_sdwa v26, v18, sext(v20) dst_sel:DWORD dst_unused:UNUSED_PAD src0_sel:BYTE_1 src1_sel:BYTE_1
	v_and_b32_e32 v27, 2, v25
	v_cmp_eq_u16_e32 vcc, 0, v27
	v_sub_u32_e32 v27, 0, v26
	v_cndmask_b32_e32 v26, v27, v26, vcc
	v_add3_u32 v22, v22, v23, v26
	v_mul_i32_i24_sdwa v23, v18, sext(v20) dst_sel:DWORD dst_unused:UNUSED_PAD src0_sel:BYTE_2 src1_sel:BYTE_2
	v_and_b32_e32 v26, 4, v25
	v_cmp_eq_u16_e32 vcc, 0, v26
	v_sub_u32_e32 v26, 0, v23
	v_mul_i32_i24_sdwa v18, v18, sext(v20) dst_sel:DWORD dst_unused:UNUSED_PAD src0_sel:BYTE_3 src1_sel:BYTE_3
	v_and_b32_e32 v20, 8, v25
	v_cndmask_b32_e32 v23, v26, v23, vcc
	v_cmp_eq_u16_e32 vcc, 0, v20
	v_sub_u32_e32 v20, 0, v18
	v_cndmask_b32_e32 v18, v20, v18, vcc
	v_add3_u32 v18, v22, v23, v18
	v_mul_i32_i24_sdwa v20, v19, sext(v21) dst_sel:DWORD dst_unused:UNUSED_PAD src0_sel:BYTE_0 src1_sel:BYTE_0
	v_and_b32_e32 v22, 16, v25
	v_cmp_eq_u16_e32 vcc, 0, v22
	v_sub_u32_e32 v22, 0, v20
	v_cndmask_b32_e32 v20, v22, v20, vcc
	v_mul_i32_i24_sdwa v22, v19, sext(v21) dst_sel:DWORD dst_unused:UNUSED_PAD src0_sel:BYTE_1 src1_sel:BYTE_1
	v_and_b32_e32 v23, 32, v25
	v_cmp_eq_u16_e32 vcc, 0, v23
	v_sub_u32_e32 v23, 0, v22
	v_cndmask_b32_e32 v22, v23, v22, vcc
	v_add3_u32 v18, v18, v20, v22
	v_mul_i32_i24_sdwa v20, v19, sext(v21) dst_sel:DWORD dst_unused:UNUSED_PAD src0_sel:BYTE_2 src1_sel:BYTE_2
	v_cmp_gt_u32_e32 vcc, 64, v24
	v_sub_u32_e32 v22, 0, v20
	v_mul_i32_i24_sdwa v19, v19, sext(v21) dst_sel:DWORD dst_unused:UNUSED_PAD src0_sel:BYTE_3 src1_sel:BYTE_3
	v_cndmask_b32_e32 v20, v22, v20, vcc
	v_sub_u32_e32 v21, 0, v19
	v_cmp_gt_i16_e32 vcc, 0, v25
	v_cndmask_b32_e32 v19, v19, v21, vcc
	v_bfe_u32 v26, v17, 14, 7
	v_add3_u32 v24, v18, v20, v19
	v_lshlrev_b32_sdwa v25, v15, v16 dst_sel:DWORD dst_unused:UNUSED_PAD src0_sel:DWORD src1_sel:BYTE_2
	global_load_sbyte v27, v26, s[12:13]
	global_load_dwordx4 v[18:21], v[5:6], off offset:20
	global_load_dwordx2 v[22:23], v25, s[10:11]
	v_lshlrev_b32_sdwa v16, v15, v16 dst_sel:DWORD dst_unused:UNUSED_PAD src0_sel:DWORD src1_sel:BYTE_3
	s_waitcnt vmcnt(2)
	v_and_b32_e32 v28, 1, v27
	v_cmp_eq_u16_e32 vcc, 0, v28
	s_waitcnt vmcnt(0)
	v_mul_i32_i24_sdwa v25, v22, sext(v18) dst_sel:DWORD dst_unused:UNUSED_PAD src0_sel:BYTE_0 src1_sel:BYTE_0
	v_sub_u32_e32 v28, 0, v25
	v_cndmask_b32_e32 v25, v28, v25, vcc
	v_mul_i32_i24_sdwa v28, v22, sext(v18) dst_sel:DWORD dst_unused:UNUSED_PAD src0_sel:BYTE_1 src1_sel:BYTE_1
	v_and_b32_e32 v29, 2, v27
	v_cmp_eq_u16_e32 vcc, 0, v29
	v_sub_u32_e32 v29, 0, v28
	v_cndmask_b32_e32 v28, v29, v28, vcc
	v_add3_u32 v24, v24, v25, v28
	v_mul_i32_i24_sdwa v25, v22, sext(v18) dst_sel:DWORD dst_unused:UNUSED_PAD src0_sel:BYTE_2 src1_sel:BYTE_2
	v_and_b32_e32 v28, 4, v27
	v_cmp_eq_u16_e32 vcc, 0, v28
	v_sub_u32_e32 v28, 0, v25
	v_mul_i32_i24_sdwa v18, v22, sext(v18) dst_sel:DWORD dst_unused:UNUSED_PAD src0_sel:BYTE_3 src1_sel:BYTE_3
	v_and_b32_e32 v22, 8, v27
	v_cndmask_b32_e32 v25, v28, v25, vcc
	v_cmp_eq_u16_e32 vcc, 0, v22
	v_sub_u32_e32 v22, 0, v18
	v_cndmask_b32_e32 v18, v22, v18, vcc
	v_add3_u32 v18, v24, v25, v18
	v_mul_i32_i24_sdwa v22, v23, sext(v19) dst_sel:DWORD dst_unused:UNUSED_PAD src0_sel:BYTE_0 src1_sel:BYTE_0
	v_and_b32_e32 v24, 16, v27
	v_cmp_eq_u16_e32 vcc, 0, v24
	v_sub_u32_e32 v24, 0, v22
	v_cndmask_b32_e32 v22, v24, v22, vcc
	v_mul_i32_i24_sdwa v24, v23, sext(v19) dst_sel:DWORD dst_unused:UNUSED_PAD src0_sel:BYTE_1 src1_sel:BYTE_1
	v_and_b32_e32 v25, 32, v27
	v_cmp_eq_u16_e32 vcc, 0, v25
	v_sub_u32_e32 v25, 0, v24
	v_cndmask_b32_e32 v24, v25, v24, vcc
	v_add3_u32 v18, v18, v22, v24
	v_mul_i32_i24_sdwa v22, v23, sext(v19) dst_sel:DWORD dst_unused:UNUSED_PAD src0_sel:BYTE_2 src1_sel:BYTE_2
	v_cmp_gt_u32_e32 vcc, 64, v26
	v_sub_u32_e32 v24, 0, v22
	v_mul_i32_i24_sdwa v19, v23, sext(v19) dst_sel:DWORD dst_unused:UNUSED_PAD src0_sel:BYTE_3 src1_sel:BYTE_3
	v_cndmask_b32_e32 v22, v24, v22, vcc
	v_sub_u32_e32 v23, 0, v19
	v_cmp_gt_i16_e32 vcc, 0, v27
	v_cndmask_b32_e32 v19, v19, v23, vcc
	v_bfe_u32 v23, v17, 21, 7
	v_add3_u32 v22, v18, v22, v19
	global_load_sbyte v24, v23, s[12:13]
	global_load_dwordx2 v[18:19], v16, s[10:11]
	v_lshrrev_b32_e32 v17, 28, v17
	global_load_ushort v7, v[7:8], off
	v_cvt_f32_ubyte0_e32 v8, v17
	global_load_ushort v5, v[5:6], off
	v_add_f32_e32 v8, 0.5, v8
	s_waitcnt vmcnt(3)
	v_and_b32_e32 v25, 1, v24
	s_waitcnt vmcnt(2)
	v_mul_i32_i24_sdwa v16, v18, sext(v20) dst_sel:DWORD dst_unused:UNUSED_PAD src0_sel:BYTE_0 src1_sel:BYTE_0
	v_cmp_eq_u16_e32 vcc, 0, v25
	v_sub_u32_e32 v25, 0, v16
	v_cndmask_b32_e32 v16, v25, v16, vcc
	v_mul_i32_i24_sdwa v25, v18, sext(v20) dst_sel:DWORD dst_unused:UNUSED_PAD src0_sel:BYTE_1 src1_sel:BYTE_1
	v_and_b32_e32 v26, 2, v24
	v_cmp_eq_u16_e32 vcc, 0, v26
	v_sub_u32_e32 v26, 0, v25
	v_cndmask_b32_e32 v25, v26, v25, vcc
	v_add3_u32 v16, v22, v16, v25
	v_mul_i32_i24_sdwa v22, v18, sext(v20) dst_sel:DWORD dst_unused:UNUSED_PAD src0_sel:BYTE_2 src1_sel:BYTE_2
	v_and_b32_e32 v25, 4, v24
	v_cmp_eq_u16_e32 vcc, 0, v25
	v_sub_u32_e32 v25, 0, v22
	v_mul_i32_i24_sdwa v18, v18, sext(v20) dst_sel:DWORD dst_unused:UNUSED_PAD src0_sel:BYTE_3 src1_sel:BYTE_3
	v_and_b32_e32 v20, 8, v24
	v_cndmask_b32_e32 v22, v25, v22, vcc
	v_cmp_eq_u16_e32 vcc, 0, v20
	v_sub_u32_e32 v20, 0, v18
	v_cndmask_b32_e32 v18, v20, v18, vcc
	v_add3_u32 v16, v16, v22, v18
	v_mul_i32_i24_sdwa v18, v19, sext(v21) dst_sel:DWORD dst_unused:UNUSED_PAD src0_sel:BYTE_0 src1_sel:BYTE_0
	v_and_b32_e32 v20, 16, v24
	v_cmp_eq_u16_e32 vcc, 0, v20
	v_sub_u32_e32 v20, 0, v18
	v_cndmask_b32_e32 v18, v20, v18, vcc
	v_mul_i32_i24_sdwa v20, v19, sext(v21) dst_sel:DWORD dst_unused:UNUSED_PAD src0_sel:BYTE_1 src1_sel:BYTE_1
	v_and_b32_e32 v22, 32, v24
	v_cmp_eq_u16_e32 vcc, 0, v22
	v_sub_u32_e32 v22, 0, v20
	v_cndmask_b32_e32 v20, v22, v20, vcc
	v_add3_u32 v16, v16, v18, v20
	v_mul_i32_i24_sdwa v18, v19, sext(v21) dst_sel:DWORD dst_unused:UNUSED_PAD src0_sel:BYTE_2 src1_sel:BYTE_2
	v_cmp_gt_u32_e32 vcc, 64, v23
	v_sub_u32_e32 v20, 0, v18
	v_mul_i32_i24_sdwa v19, v19, sext(v21) dst_sel:DWORD dst_unused:UNUSED_PAD src0_sel:BYTE_3 src1_sel:BYTE_3
	v_cndmask_b32_e32 v18, v20, v18, vcc
	v_sub_u32_e32 v20, 0, v19
	v_cmp_gt_i16_e32 vcc, 0, v24
	s_waitcnt vmcnt(1)
	v_cvt_f32_f16_e32 v7, v7
	v_cndmask_b32_e32 v19, v19, v20, vcc
	s_waitcnt vmcnt(0)
	v_cvt_f32_f16_e32 v5, v5
	v_add3_u32 v16, v16, v18, v19
	v_cvt_f32_i32_e32 v6, v16
	v_mul_f32_e32 v7, v8, v7
	v_mul_f32_e32 v5, v7, v5
	;; [unrolled: 1-line block ×3, first 2 shown]
	v_cmp_le_u32_e32 vcc, s6, v11
	v_fmac_f32_e32 v10, v5, v6
	s_or_b64 s[4:5], vcc, s[4:5]
	s_andn2_b64 exec, exec, s[4:5]
	s_cbranch_execnz .LBB68_3
; %bb.4:
	s_or_b64 exec, exec, s[4:5]
.LBB68_5:
	s_or_b64 exec, exec, s[8:9]
	v_mbcnt_lo_u32_b32 v1, -1, 0
	v_mbcnt_hi_u32_b32 v2, -1, v1
	v_and_b32_e32 v1, 64, v2
	v_add_u32_e32 v3, 64, v1
	v_xor_b32_e32 v1, 32, v2
	v_cmp_lt_i32_e32 vcc, v1, v3
	v_cndmask_b32_e32 v1, v2, v1, vcc
	v_lshlrev_b32_e32 v1, 2, v1
	ds_bpermute_b32 v1, v1, v10
	v_xor_b32_e32 v4, 16, v2
	v_cmp_lt_i32_e32 vcc, v4, v3
	v_cndmask_b32_e32 v4, v2, v4, vcc
	v_lshlrev_b32_e32 v4, 2, v4
	s_waitcnt lgkmcnt(0)
	v_add_f32_e32 v1, v10, v1
	ds_bpermute_b32 v4, v4, v1
	v_xor_b32_e32 v5, 8, v2
	v_cmp_lt_i32_e32 vcc, v5, v3
	s_waitcnt lgkmcnt(0)
	v_add_f32_e32 v1, v1, v4
	v_cndmask_b32_e32 v4, v2, v5, vcc
	v_lshlrev_b32_e32 v4, 2, v4
	ds_bpermute_b32 v4, v4, v1
	v_xor_b32_e32 v5, 4, v2
	v_cmp_lt_i32_e32 vcc, v5, v3
	s_waitcnt lgkmcnt(0)
	v_add_f32_e32 v1, v1, v4
	v_cndmask_b32_e32 v4, v2, v5, vcc
	v_lshlrev_b32_e32 v4, 2, v4
	;; [unrolled: 7-line block ×3, first 2 shown]
	ds_bpermute_b32 v4, v4, v1
	v_xor_b32_e32 v5, 1, v2
	v_cmp_lt_i32_e32 vcc, v5, v3
	v_cndmask_b32_e32 v2, v2, v5, vcc
	v_lshlrev_b32_e32 v2, 2, v2
	s_waitcnt lgkmcnt(0)
	v_add_f32_e32 v1, v1, v4
	ds_bpermute_b32 v2, v2, v1
	v_cmp_eq_u32_e32 vcc, 0, v0
	s_and_b64 exec, exec, vcc
	s_cbranch_execz .LBB68_7
; %bb.6:
	s_mul_i32 s0, s1, s7
	s_waitcnt lgkmcnt(0)
	v_add_f32_e32 v2, v1, v2
	v_add_u32_e32 v0, s0, v9
	v_mov_b32_e32 v1, 0
	v_lshlrev_b64 v[0:1], 2, v[0:1]
	v_mov_b32_e32 v3, s3
	v_add_co_u32_e32 v0, vcc, s2, v0
	v_addc_co_u32_e32 v1, vcc, v3, v1, vcc
	global_store_dword v[0:1], v2, off
.LBB68_7:
	s_endpgm
	.section	.rodata,"a",@progbits
	.p2align	6, 0x0
	.amdhsa_kernel _ZL13mul_mat_vec_qIfLi256ELi8E13block_iq2_xxsLi1EXadL_ZL20vec_dot_iq2_xxs_q8_1PKvPK10block_q8_1RKiEEEvS2_S2_PT_iii
		.amdhsa_group_segment_fixed_size 0
		.amdhsa_private_segment_fixed_size 0
		.amdhsa_kernarg_size 296
		.amdhsa_user_sgpr_count 6
		.amdhsa_user_sgpr_private_segment_buffer 1
		.amdhsa_user_sgpr_dispatch_ptr 0
		.amdhsa_user_sgpr_queue_ptr 0
		.amdhsa_user_sgpr_kernarg_segment_ptr 1
		.amdhsa_user_sgpr_dispatch_id 0
		.amdhsa_user_sgpr_flat_scratch_init 0
		.amdhsa_user_sgpr_private_segment_size 0
		.amdhsa_uses_dynamic_stack 0
		.amdhsa_system_sgpr_private_segment_wavefront_offset 0
		.amdhsa_system_sgpr_workgroup_id_x 1
		.amdhsa_system_sgpr_workgroup_id_y 1
		.amdhsa_system_sgpr_workgroup_id_z 0
		.amdhsa_system_sgpr_workgroup_info 0
		.amdhsa_system_vgpr_workitem_id 1
		.amdhsa_next_free_vgpr 30
		.amdhsa_next_free_sgpr 16
		.amdhsa_reserve_vcc 1
		.amdhsa_reserve_flat_scratch 0
		.amdhsa_float_round_mode_32 0
		.amdhsa_float_round_mode_16_64 0
		.amdhsa_float_denorm_mode_32 3
		.amdhsa_float_denorm_mode_16_64 3
		.amdhsa_dx10_clamp 1
		.amdhsa_ieee_mode 1
		.amdhsa_fp16_overflow 0
		.amdhsa_exception_fp_ieee_invalid_op 0
		.amdhsa_exception_fp_denorm_src 0
		.amdhsa_exception_fp_ieee_div_zero 0
		.amdhsa_exception_fp_ieee_overflow 0
		.amdhsa_exception_fp_ieee_underflow 0
		.amdhsa_exception_fp_ieee_inexact 0
		.amdhsa_exception_int_div_zero 0
	.end_amdhsa_kernel
	.section	.text._ZL13mul_mat_vec_qIfLi256ELi8E13block_iq2_xxsLi1EXadL_ZL20vec_dot_iq2_xxs_q8_1PKvPK10block_q8_1RKiEEEvS2_S2_PT_iii,"axG",@progbits,_ZL13mul_mat_vec_qIfLi256ELi8E13block_iq2_xxsLi1EXadL_ZL20vec_dot_iq2_xxs_q8_1PKvPK10block_q8_1RKiEEEvS2_S2_PT_iii,comdat
.Lfunc_end68:
	.size	_ZL13mul_mat_vec_qIfLi256ELi8E13block_iq2_xxsLi1EXadL_ZL20vec_dot_iq2_xxs_q8_1PKvPK10block_q8_1RKiEEEvS2_S2_PT_iii, .Lfunc_end68-_ZL13mul_mat_vec_qIfLi256ELi8E13block_iq2_xxsLi1EXadL_ZL20vec_dot_iq2_xxs_q8_1PKvPK10block_q8_1RKiEEEvS2_S2_PT_iii
                                        ; -- End function
	.set _ZL13mul_mat_vec_qIfLi256ELi8E13block_iq2_xxsLi1EXadL_ZL20vec_dot_iq2_xxs_q8_1PKvPK10block_q8_1RKiEEEvS2_S2_PT_iii.num_vgpr, 30
	.set _ZL13mul_mat_vec_qIfLi256ELi8E13block_iq2_xxsLi1EXadL_ZL20vec_dot_iq2_xxs_q8_1PKvPK10block_q8_1RKiEEEvS2_S2_PT_iii.num_agpr, 0
	.set _ZL13mul_mat_vec_qIfLi256ELi8E13block_iq2_xxsLi1EXadL_ZL20vec_dot_iq2_xxs_q8_1PKvPK10block_q8_1RKiEEEvS2_S2_PT_iii.numbered_sgpr, 16
	.set _ZL13mul_mat_vec_qIfLi256ELi8E13block_iq2_xxsLi1EXadL_ZL20vec_dot_iq2_xxs_q8_1PKvPK10block_q8_1RKiEEEvS2_S2_PT_iii.num_named_barrier, 0
	.set _ZL13mul_mat_vec_qIfLi256ELi8E13block_iq2_xxsLi1EXadL_ZL20vec_dot_iq2_xxs_q8_1PKvPK10block_q8_1RKiEEEvS2_S2_PT_iii.private_seg_size, 0
	.set _ZL13mul_mat_vec_qIfLi256ELi8E13block_iq2_xxsLi1EXadL_ZL20vec_dot_iq2_xxs_q8_1PKvPK10block_q8_1RKiEEEvS2_S2_PT_iii.uses_vcc, 1
	.set _ZL13mul_mat_vec_qIfLi256ELi8E13block_iq2_xxsLi1EXadL_ZL20vec_dot_iq2_xxs_q8_1PKvPK10block_q8_1RKiEEEvS2_S2_PT_iii.uses_flat_scratch, 0
	.set _ZL13mul_mat_vec_qIfLi256ELi8E13block_iq2_xxsLi1EXadL_ZL20vec_dot_iq2_xxs_q8_1PKvPK10block_q8_1RKiEEEvS2_S2_PT_iii.has_dyn_sized_stack, 0
	.set _ZL13mul_mat_vec_qIfLi256ELi8E13block_iq2_xxsLi1EXadL_ZL20vec_dot_iq2_xxs_q8_1PKvPK10block_q8_1RKiEEEvS2_S2_PT_iii.has_recursion, 0
	.set _ZL13mul_mat_vec_qIfLi256ELi8E13block_iq2_xxsLi1EXadL_ZL20vec_dot_iq2_xxs_q8_1PKvPK10block_q8_1RKiEEEvS2_S2_PT_iii.has_indirect_call, 0
	.section	.AMDGPU.csdata,"",@progbits
; Kernel info:
; codeLenInByte = 1700
; TotalNumSgprs: 20
; NumVgprs: 30
; ScratchSize: 0
; MemoryBound: 0
; FloatMode: 240
; IeeeMode: 1
; LDSByteSize: 0 bytes/workgroup (compile time only)
; SGPRBlocks: 2
; VGPRBlocks: 7
; NumSGPRsForWavesPerEU: 20
; NumVGPRsForWavesPerEU: 30
; Occupancy: 8
; WaveLimiterHint : 0
; COMPUTE_PGM_RSRC2:SCRATCH_EN: 0
; COMPUTE_PGM_RSRC2:USER_SGPR: 6
; COMPUTE_PGM_RSRC2:TRAP_HANDLER: 0
; COMPUTE_PGM_RSRC2:TGID_X_EN: 1
; COMPUTE_PGM_RSRC2:TGID_Y_EN: 1
; COMPUTE_PGM_RSRC2:TGID_Z_EN: 0
; COMPUTE_PGM_RSRC2:TIDIG_COMP_CNT: 1
	.section	.text._ZL13mul_mat_vec_qIfLi256ELi8E12block_iq2_xsLi1EXadL_ZL19vec_dot_iq2_xs_q8_1PKvPK10block_q8_1RKiEEEvS2_S2_PT_iii,"axG",@progbits,_ZL13mul_mat_vec_qIfLi256ELi8E12block_iq2_xsLi1EXadL_ZL19vec_dot_iq2_xs_q8_1PKvPK10block_q8_1RKiEEEvS2_S2_PT_iii,comdat
	.globl	_ZL13mul_mat_vec_qIfLi256ELi8E12block_iq2_xsLi1EXadL_ZL19vec_dot_iq2_xs_q8_1PKvPK10block_q8_1RKiEEEvS2_S2_PT_iii ; -- Begin function _ZL13mul_mat_vec_qIfLi256ELi8E12block_iq2_xsLi1EXadL_ZL19vec_dot_iq2_xs_q8_1PKvPK10block_q8_1RKiEEEvS2_S2_PT_iii
	.p2align	8
	.type	_ZL13mul_mat_vec_qIfLi256ELi8E12block_iq2_xsLi1EXadL_ZL19vec_dot_iq2_xs_q8_1PKvPK10block_q8_1RKiEEEvS2_S2_PT_iii,@function
_ZL13mul_mat_vec_qIfLi256ELi8E12block_iq2_xsLi1EXadL_ZL19vec_dot_iq2_xs_q8_1PKvPK10block_q8_1RKiEEEvS2_S2_PT_iii: ; @_ZL13mul_mat_vec_qIfLi256ELi8E12block_iq2_xsLi1EXadL_ZL19vec_dot_iq2_xs_q8_1PKvPK10block_q8_1RKiEEEvS2_S2_PT_iii
; %bb.0:
	s_load_dword s8, s[4:5], 0x34
	s_load_dwordx4 s[0:3], s[4:5], 0x18
	s_waitcnt lgkmcnt(0)
	s_lshr_b32 s3, s8, 16
	s_mul_i32 s6, s6, s3
	v_add_u32_e32 v11, s6, v1
	s_cmp_lt_u32 s7, s2
	v_cmp_gt_u32_e32 vcc, s1, v11
	s_cselect_b64 s[2:3], -1, 0
	s_and_b64 s[2:3], s[2:3], vcc
	s_and_saveexec_b64 s[8:9], s[2:3]
	s_cbranch_execz .LBB69_7
; %bb.1:
	s_load_dwordx2 s[2:3], s[4:5], 0x10
	s_ashr_i32 s6, s0, 31
	s_lshr_b32 s6, s6, 24
	s_add_i32 s6, s0, s6
	s_ashr_i32 s6, s6, 8
	v_lshrrev_b32_e32 v12, 3, v0
	v_cmp_gt_u32_e32 vcc, s6, v12
	v_mov_b32_e32 v13, 0
	s_and_saveexec_b64 s[8:9], vcc
	s_cbranch_execz .LBB69_5
; %bb.2:
	s_load_dwordx4 s[12:15], s[4:5], 0x0
	s_addk_i32 s0, 0x1ff
	s_ashr_i32 s4, s0, 31
	s_lshr_b32 s4, s4, 23
	s_add_i32 s0, s0, s4
	v_and_b32_e32 v15, 7, v0
	s_ashr_i32 s0, s0, 9
	v_mul_lo_u32 v14, v11, s6
	s_waitcnt lgkmcnt(0)
	v_mad_u64_u32 v[1:2], s[4:5], v15, 36, s[14:15]
	s_mul_i32 s0, s7, s0
	v_lshlrev_b32_e32 v3, 3, v12
	v_lshlrev_b32_e32 v5, 2, v15
	v_lshl_add_u32 v17, s0, 4, v3
	v_mov_b32_e32 v3, s12
	v_mov_b32_e32 v16, 0
	s_mov_b64 s[4:5], 0
	s_movk_i32 s0, 0x4a
	v_mov_b32_e32 v4, s13
	v_lshlrev_b32_e32 v18, 1, v5
	v_mov_b32_e32 v13, 0
.LBB69_3:                               ; =>This Inner Loop Header: Depth=1
	v_add_u32_e32 v5, v14, v12
	v_mad_i64_i32 v[7:8], s[10:11], v5, s0, v[3:4]
	v_mad_i64_i32 v[5:6], s[10:11], v17, 36, v[1:2]
	v_add_co_u32_e32 v21, vcc, v7, v18
	v_addc_co_u32_e32 v22, vcc, 0, v8, vcc
	v_add_co_u32_e32 v23, vcc, v7, v15
	v_addc_co_u32_e32 v24, vcc, 0, v8, vcc
	global_load_ubyte v20, v[23:24], off offset:66
	global_load_dwordx2 v[9:10], v[21:22], off offset:2
	s_getpc_b64 s[10:11]
	s_add_u32 s10, s10, _ZL10iq2xs_grid@rel32@lo+4
	s_addc_u32 s11, s11, _ZL10iq2xs_grid@rel32@hi+12
	s_getpc_b64 s[12:13]
	s_add_u32 s12, s12, _ZL12ksigns_iq2xs@rel32@lo+4
	s_addc_u32 s13, s13, _ZL12ksigns_iq2xs@rel32@hi+12
	v_add_u32_e32 v12, 8, v12
	v_add_u32_e32 v17, 64, v17
	s_waitcnt vmcnt(0)
	v_and_b32_e32 v19, 0x1ff, v9
	v_bfe_u32 v27, v9, 9, 7
	v_lshlrev_b32_e32 v19, 3, v19
	global_load_sbyte v28, v27, s[12:13]
	global_load_dwordx4 v[21:24], v[5:6], off offset:4
	global_load_dwordx2 v[25:26], v19, s[10:11]
	s_waitcnt vmcnt(2)
	v_and_b32_e32 v27, 1, v28
	v_cmp_eq_u16_e32 vcc, 0, v27
	s_waitcnt vmcnt(0)
	v_mul_i32_i24_sdwa v19, v25, sext(v21) dst_sel:DWORD dst_unused:UNUSED_PAD src0_sel:BYTE_0 src1_sel:BYTE_0
	v_sub_u32_e32 v27, 0, v19
	v_cndmask_b32_e32 v19, v27, v19, vcc
	v_mul_i32_i24_sdwa v27, v25, sext(v21) dst_sel:DWORD dst_unused:UNUSED_PAD src0_sel:BYTE_1 src1_sel:BYTE_1
	v_and_b32_e32 v29, 2, v28
	v_cmp_eq_u16_e32 vcc, 0, v29
	v_sub_u32_e32 v29, 0, v27
	v_cndmask_b32_e32 v27, v29, v27, vcc
	v_add_u32_e32 v19, v27, v19
	v_mul_i32_i24_sdwa v27, v25, sext(v21) dst_sel:DWORD dst_unused:UNUSED_PAD src0_sel:BYTE_2 src1_sel:BYTE_2
	v_and_b32_e32 v29, 4, v28
	v_cmp_eq_u16_e32 vcc, 0, v29
	v_sub_u32_e32 v29, 0, v27
	v_mul_i32_i24_sdwa v21, v25, sext(v21) dst_sel:DWORD dst_unused:UNUSED_PAD src0_sel:BYTE_3 src1_sel:BYTE_3
	v_and_b32_e32 v25, 8, v28
	v_cndmask_b32_e32 v27, v29, v27, vcc
	v_cmp_eq_u16_e32 vcc, 0, v25
	v_sub_u32_e32 v25, 0, v21
	v_cndmask_b32_e32 v21, v25, v21, vcc
	v_add3_u32 v19, v19, v27, v21
	v_mul_i32_i24_sdwa v21, v26, sext(v22) dst_sel:DWORD dst_unused:UNUSED_PAD src0_sel:BYTE_0 src1_sel:BYTE_0
	v_and_b32_e32 v25, 16, v28
	v_cmp_eq_u16_e32 vcc, 0, v25
	v_sub_u32_e32 v25, 0, v21
	v_cndmask_b32_e32 v21, v25, v21, vcc
	v_mul_i32_i24_sdwa v25, v26, sext(v22) dst_sel:DWORD dst_unused:UNUSED_PAD src0_sel:BYTE_1 src1_sel:BYTE_1
	v_and_b32_e32 v27, 32, v28
	v_cmp_eq_u16_e32 vcc, 0, v27
	v_sub_u32_e32 v27, 0, v25
	v_cndmask_b32_e32 v25, v27, v25, vcc
	v_add3_u32 v19, v19, v21, v25
	v_mul_i32_i24_sdwa v21, v26, sext(v22) dst_sel:DWORD dst_unused:UNUSED_PAD src0_sel:BYTE_2 src1_sel:BYTE_2
	v_sub_u32_e32 v25, 0, v21
	v_cmp_gt_i16_e32 vcc, 0, v9
	v_mul_i32_i24_sdwa v22, v26, sext(v22) dst_sel:DWORD dst_unused:UNUSED_PAD src0_sel:BYTE_3 src1_sel:BYTE_3
	v_cndmask_b32_e32 v21, v21, v25, vcc
	v_sub_u32_e32 v25, 0, v22
	v_cmp_gt_i16_e32 vcc, 0, v28
	v_cndmask_b32_e32 v22, v22, v25, vcc
	v_add3_u32 v19, v19, v21, v22
	v_lshrrev_b32_e32 v21, 13, v9
	v_lshrrev_b32_e32 v22, 25, v9
	v_and_b32_e32 v21, 0xff8, v21
	global_load_sbyte v27, v22, s[12:13]
	global_load_dwordx2 v[25:26], v21, s[10:11]
	s_waitcnt vmcnt(1)
	v_and_b32_e32 v22, 1, v27
	s_waitcnt vmcnt(0)
	v_mul_i32_i24_sdwa v21, v25, sext(v23) dst_sel:DWORD dst_unused:UNUSED_PAD src0_sel:BYTE_0 src1_sel:BYTE_0
	v_cmp_eq_u16_e32 vcc, 0, v22
	v_sub_u32_e32 v22, 0, v21
	v_cndmask_b32_e32 v21, v22, v21, vcc
	v_mul_i32_i24_sdwa v22, v25, sext(v23) dst_sel:DWORD dst_unused:UNUSED_PAD src0_sel:BYTE_1 src1_sel:BYTE_1
	v_and_b32_e32 v28, 2, v27
	v_cmp_eq_u16_e32 vcc, 0, v28
	v_sub_u32_e32 v28, 0, v22
	v_cndmask_b32_e32 v28, v28, v22, vcc
	v_mul_i32_i24_sdwa v22, v25, sext(v23) dst_sel:DWORD dst_unused:UNUSED_PAD src0_sel:BYTE_2 src1_sel:BYTE_2
	v_and_b32_e32 v29, 4, v27
	v_cmp_eq_u16_e32 vcc, 0, v29
	v_sub_u32_e32 v29, 0, v22
	v_cndmask_b32_e32 v29, v29, v22, vcc
	v_mul_i32_i24_sdwa v22, v25, sext(v23) dst_sel:DWORD dst_unused:UNUSED_PAD src0_sel:BYTE_3 src1_sel:BYTE_3
	v_and_b32_e32 v23, 8, v27
	v_cmp_eq_u16_e32 vcc, 0, v23
	v_sub_u32_e32 v23, 0, v22
	v_cndmask_b32_e32 v30, v23, v22, vcc
	v_mul_i32_i24_sdwa v22, v26, sext(v24) dst_sel:DWORD dst_unused:UNUSED_PAD src0_sel:BYTE_0 src1_sel:BYTE_0
	v_and_b32_e32 v23, 16, v27
	v_cmp_eq_u16_e32 vcc, 0, v23
	v_sub_u32_e32 v23, 0, v22
	v_cndmask_b32_e32 v31, v23, v22, vcc
	v_mul_i32_i24_sdwa v22, v26, sext(v24) dst_sel:DWORD dst_unused:UNUSED_PAD src0_sel:BYTE_1 src1_sel:BYTE_1
	v_and_b32_e32 v23, 32, v27
	v_cmp_eq_u16_e32 vcc, 0, v23
	v_sub_u32_e32 v23, 0, v22
	v_cndmask_b32_e32 v32, v23, v22, vcc
	v_mul_i32_i24_sdwa v22, v26, sext(v24) dst_sel:DWORD dst_unused:UNUSED_PAD src0_sel:BYTE_2 src1_sel:BYTE_2
	v_sub_u32_e32 v23, 0, v22
	v_cmp_lt_i16_sdwa vcc, v9, v16 src0_sel:WORD_1 src1_sel:DWORD
	v_mul_i32_i24_sdwa v9, v26, sext(v24) dst_sel:DWORD dst_unused:UNUSED_PAD src0_sel:BYTE_3 src1_sel:BYTE_3
	v_cndmask_b32_e32 v33, v22, v23, vcc
	v_sub_u32_e32 v22, 0, v9
	v_cmp_gt_i16_e32 vcc, 0, v27
	v_cndmask_b32_e32 v34, v9, v22, vcc
	v_and_b32_e32 v9, 0x1ff, v10
	v_bfe_u32 v22, v10, 9, 7
	v_lshlrev_b32_e32 v9, 3, v9
	global_load_sbyte v35, v22, s[12:13]
	s_nop 0
	global_load_dwordx4 v[22:25], v[5:6], off offset:20
	global_load_dwordx2 v[26:27], v9, s[10:11]
	s_waitcnt vmcnt(2)
	v_and_b32_e32 v36, 1, v35
	v_cmp_eq_u16_e32 vcc, 0, v36
	s_waitcnt vmcnt(0)
	v_mul_i32_i24_sdwa v9, v26, sext(v22) dst_sel:DWORD dst_unused:UNUSED_PAD src0_sel:BYTE_0 src1_sel:BYTE_0
	v_sub_u32_e32 v36, 0, v9
	v_cndmask_b32_e32 v9, v36, v9, vcc
	v_mul_i32_i24_sdwa v36, v26, sext(v22) dst_sel:DWORD dst_unused:UNUSED_PAD src0_sel:BYTE_1 src1_sel:BYTE_1
	v_and_b32_e32 v37, 2, v35
	v_cmp_eq_u16_e32 vcc, 0, v37
	v_sub_u32_e32 v37, 0, v36
	v_cndmask_b32_e32 v36, v37, v36, vcc
	v_add_u32_e32 v9, v36, v9
	v_mul_i32_i24_sdwa v36, v26, sext(v22) dst_sel:DWORD dst_unused:UNUSED_PAD src0_sel:BYTE_2 src1_sel:BYTE_2
	v_and_b32_e32 v37, 4, v35
	v_cmp_eq_u16_e32 vcc, 0, v37
	v_sub_u32_e32 v37, 0, v36
	v_mul_i32_i24_sdwa v22, v26, sext(v22) dst_sel:DWORD dst_unused:UNUSED_PAD src0_sel:BYTE_3 src1_sel:BYTE_3
	v_and_b32_e32 v26, 8, v35
	v_cndmask_b32_e32 v36, v37, v36, vcc
	v_cmp_eq_u16_e32 vcc, 0, v26
	v_sub_u32_e32 v26, 0, v22
	v_cndmask_b32_e32 v22, v26, v22, vcc
	v_add3_u32 v9, v9, v36, v22
	v_mul_i32_i24_sdwa v22, v27, sext(v23) dst_sel:DWORD dst_unused:UNUSED_PAD src0_sel:BYTE_0 src1_sel:BYTE_0
	v_and_b32_e32 v26, 16, v35
	v_cmp_eq_u16_e32 vcc, 0, v26
	v_sub_u32_e32 v26, 0, v22
	v_cndmask_b32_e32 v22, v26, v22, vcc
	v_mul_i32_i24_sdwa v26, v27, sext(v23) dst_sel:DWORD dst_unused:UNUSED_PAD src0_sel:BYTE_1 src1_sel:BYTE_1
	v_and_b32_e32 v36, 32, v35
	v_cmp_eq_u16_e32 vcc, 0, v36
	v_sub_u32_e32 v36, 0, v26
	v_cndmask_b32_e32 v26, v36, v26, vcc
	v_add3_u32 v9, v9, v22, v26
	v_mul_i32_i24_sdwa v22, v27, sext(v23) dst_sel:DWORD dst_unused:UNUSED_PAD src0_sel:BYTE_2 src1_sel:BYTE_2
	v_sub_u32_e32 v26, 0, v22
	v_cmp_gt_i16_e32 vcc, 0, v10
	v_mul_i32_i24_sdwa v23, v27, sext(v23) dst_sel:DWORD dst_unused:UNUSED_PAD src0_sel:BYTE_3 src1_sel:BYTE_3
	v_cndmask_b32_e32 v22, v22, v26, vcc
	v_sub_u32_e32 v26, 0, v23
	v_cmp_gt_i16_e32 vcc, 0, v35
	v_cndmask_b32_e32 v23, v23, v26, vcc
	v_add3_u32 v9, v9, v22, v23
	v_lshrrev_b32_e32 v22, 13, v10
	v_and_b32_e32 v22, 0xff8, v22
	v_lshrrev_b32_e32 v23, 25, v10
	global_load_sbyte v26, v23, s[12:13]
	s_nop 0
	global_load_dwordx2 v[22:23], v22, s[10:11]
	s_waitcnt vmcnt(1)
	v_and_b32_e32 v35, 1, v26
	global_load_ushort v7, v[7:8], off
	s_waitcnt vmcnt(1)
	v_mul_i32_i24_sdwa v27, v22, sext(v24) dst_sel:DWORD dst_unused:UNUSED_PAD src0_sel:BYTE_0 src1_sel:BYTE_0
	global_load_ushort v5, v[5:6], off
	v_cmp_eq_u16_e32 vcc, 0, v35
	v_sub_u32_e32 v35, 0, v27
	v_cndmask_b32_e32 v27, v35, v27, vcc
	v_mul_i32_i24_sdwa v35, v22, sext(v24) dst_sel:DWORD dst_unused:UNUSED_PAD src0_sel:BYTE_1 src1_sel:BYTE_1
	v_and_b32_e32 v36, 2, v26
	v_cmp_eq_u16_e32 vcc, 0, v36
	v_sub_u32_e32 v36, 0, v35
	v_cndmask_b32_e32 v35, v36, v35, vcc
	v_add3_u32 v9, v9, v27, v35
	v_mul_i32_i24_sdwa v27, v22, sext(v24) dst_sel:DWORD dst_unused:UNUSED_PAD src0_sel:BYTE_2 src1_sel:BYTE_2
	v_and_b32_e32 v35, 4, v26
	v_cmp_eq_u16_e32 vcc, 0, v35
	v_sub_u32_e32 v35, 0, v27
	v_mul_i32_i24_sdwa v22, v22, sext(v24) dst_sel:DWORD dst_unused:UNUSED_PAD src0_sel:BYTE_3 src1_sel:BYTE_3
	v_and_b32_e32 v24, 8, v26
	v_cndmask_b32_e32 v27, v35, v27, vcc
	v_cmp_eq_u16_e32 vcc, 0, v24
	v_sub_u32_e32 v24, 0, v22
	v_cndmask_b32_e32 v22, v24, v22, vcc
	v_add3_u32 v9, v9, v27, v22
	v_mul_i32_i24_sdwa v22, v23, sext(v25) dst_sel:DWORD dst_unused:UNUSED_PAD src0_sel:BYTE_0 src1_sel:BYTE_0
	v_and_b32_e32 v24, 16, v26
	v_cmp_eq_u16_e32 vcc, 0, v24
	v_sub_u32_e32 v24, 0, v22
	v_cndmask_b32_e32 v22, v24, v22, vcc
	v_mul_i32_i24_sdwa v24, v23, sext(v25) dst_sel:DWORD dst_unused:UNUSED_PAD src0_sel:BYTE_1 src1_sel:BYTE_1
	v_and_b32_e32 v27, 32, v26
	v_cmp_eq_u16_e32 vcc, 0, v27
	v_sub_u32_e32 v27, 0, v24
	v_cndmask_b32_e32 v24, v27, v24, vcc
	v_add3_u32 v9, v9, v22, v24
	v_mul_i32_i24_sdwa v22, v23, sext(v25) dst_sel:DWORD dst_unused:UNUSED_PAD src0_sel:BYTE_2 src1_sel:BYTE_2
	v_sub_u32_e32 v24, 0, v22
	v_cmp_lt_i16_sdwa vcc, v10, v16 src0_sel:WORD_1 src1_sel:DWORD
	v_cndmask_b32_e32 v10, v22, v24, vcc
	v_mul_i32_i24_sdwa v22, v23, sext(v25) dst_sel:DWORD dst_unused:UNUSED_PAD src0_sel:BYTE_3 src1_sel:BYTE_3
	v_sub_u32_e32 v23, 0, v22
	v_cmp_gt_i16_e32 vcc, 0, v26
	v_cndmask_b32_e32 v22, v22, v23, vcc
	v_add3_u32 v9, v9, v10, v22
	v_add3_u32 v10, v19, v21, v28
	;; [unrolled: 1-line block ×5, first 2 shown]
	v_cvt_f32_i32_e32 v9, v9
	v_lshrrev_b16_e32 v19, 4, v20
	v_and_b32_e32 v20, 15, v20
	v_cvt_f32_ubyte0_e32 v8, v19
	v_cvt_f32_ubyte0_e32 v6, v20
	v_add_f32_e32 v8, 0.5, v8
	v_add_f32_e32 v6, 0.5, v6
	v_mul_f32_e32 v8, v8, v9
	v_cmp_le_u32_e32 vcc, s6, v12
	s_or_b64 s[4:5], vcc, s[4:5]
	s_waitcnt vmcnt(1)
	v_cvt_f32_f16_e32 v7, v7
	s_waitcnt vmcnt(0)
	v_cvt_f32_f16_e32 v5, v5
	v_mul_f32_e32 v5, v7, v5
	v_cvt_f32_i32_e32 v7, v10
	v_mul_f32_e32 v5, 0x3e800000, v5
	v_fmac_f32_e32 v8, v6, v7
	v_fmac_f32_e32 v13, v5, v8
	s_andn2_b64 exec, exec, s[4:5]
	s_cbranch_execnz .LBB69_3
; %bb.4:
	s_or_b64 exec, exec, s[4:5]
.LBB69_5:
	s_or_b64 exec, exec, s[8:9]
	v_mbcnt_lo_u32_b32 v1, -1, 0
	v_mbcnt_hi_u32_b32 v2, -1, v1
	v_and_b32_e32 v1, 64, v2
	v_add_u32_e32 v3, 64, v1
	v_xor_b32_e32 v1, 32, v2
	v_cmp_lt_i32_e32 vcc, v1, v3
	v_cndmask_b32_e32 v1, v2, v1, vcc
	v_lshlrev_b32_e32 v1, 2, v1
	ds_bpermute_b32 v1, v1, v13
	v_xor_b32_e32 v4, 16, v2
	v_cmp_lt_i32_e32 vcc, v4, v3
	v_cndmask_b32_e32 v4, v2, v4, vcc
	v_lshlrev_b32_e32 v4, 2, v4
	s_waitcnt lgkmcnt(0)
	v_add_f32_e32 v1, v13, v1
	ds_bpermute_b32 v4, v4, v1
	v_xor_b32_e32 v5, 8, v2
	v_cmp_lt_i32_e32 vcc, v5, v3
	s_waitcnt lgkmcnt(0)
	v_add_f32_e32 v1, v1, v4
	v_cndmask_b32_e32 v4, v2, v5, vcc
	v_lshlrev_b32_e32 v4, 2, v4
	ds_bpermute_b32 v4, v4, v1
	v_xor_b32_e32 v5, 4, v2
	v_cmp_lt_i32_e32 vcc, v5, v3
	s_waitcnt lgkmcnt(0)
	v_add_f32_e32 v1, v1, v4
	v_cndmask_b32_e32 v4, v2, v5, vcc
	v_lshlrev_b32_e32 v4, 2, v4
	ds_bpermute_b32 v4, v4, v1
	v_xor_b32_e32 v5, 2, v2
	v_cmp_lt_i32_e32 vcc, v5, v3
	s_waitcnt lgkmcnt(0)
	v_add_f32_e32 v1, v1, v4
	v_cndmask_b32_e32 v4, v2, v5, vcc
	v_lshlrev_b32_e32 v4, 2, v4
	ds_bpermute_b32 v4, v4, v1
	v_xor_b32_e32 v5, 1, v2
	v_cmp_lt_i32_e32 vcc, v5, v3
	v_cndmask_b32_e32 v2, v2, v5, vcc
	v_lshlrev_b32_e32 v2, 2, v2
	s_waitcnt lgkmcnt(0)
	v_add_f32_e32 v1, v1, v4
	ds_bpermute_b32 v2, v2, v1
	v_cmp_eq_u32_e32 vcc, 0, v0
	s_and_b64 exec, exec, vcc
	s_cbranch_execz .LBB69_7
; %bb.6:
	s_mul_i32 s0, s1, s7
	s_waitcnt lgkmcnt(0)
	v_add_f32_e32 v2, v1, v2
	v_add_u32_e32 v0, s0, v11
	v_mov_b32_e32 v1, 0
	v_lshlrev_b64 v[0:1], 2, v[0:1]
	v_mov_b32_e32 v3, s3
	v_add_co_u32_e32 v0, vcc, s2, v0
	v_addc_co_u32_e32 v1, vcc, v3, v1, vcc
	global_store_dword v[0:1], v2, off
.LBB69_7:
	s_endpgm
	.section	.rodata,"a",@progbits
	.p2align	6, 0x0
	.amdhsa_kernel _ZL13mul_mat_vec_qIfLi256ELi8E12block_iq2_xsLi1EXadL_ZL19vec_dot_iq2_xs_q8_1PKvPK10block_q8_1RKiEEEvS2_S2_PT_iii
		.amdhsa_group_segment_fixed_size 0
		.amdhsa_private_segment_fixed_size 0
		.amdhsa_kernarg_size 296
		.amdhsa_user_sgpr_count 6
		.amdhsa_user_sgpr_private_segment_buffer 1
		.amdhsa_user_sgpr_dispatch_ptr 0
		.amdhsa_user_sgpr_queue_ptr 0
		.amdhsa_user_sgpr_kernarg_segment_ptr 1
		.amdhsa_user_sgpr_dispatch_id 0
		.amdhsa_user_sgpr_flat_scratch_init 0
		.amdhsa_user_sgpr_private_segment_size 0
		.amdhsa_uses_dynamic_stack 0
		.amdhsa_system_sgpr_private_segment_wavefront_offset 0
		.amdhsa_system_sgpr_workgroup_id_x 1
		.amdhsa_system_sgpr_workgroup_id_y 1
		.amdhsa_system_sgpr_workgroup_id_z 0
		.amdhsa_system_sgpr_workgroup_info 0
		.amdhsa_system_vgpr_workitem_id 1
		.amdhsa_next_free_vgpr 38
		.amdhsa_next_free_sgpr 16
		.amdhsa_reserve_vcc 1
		.amdhsa_reserve_flat_scratch 0
		.amdhsa_float_round_mode_32 0
		.amdhsa_float_round_mode_16_64 0
		.amdhsa_float_denorm_mode_32 3
		.amdhsa_float_denorm_mode_16_64 3
		.amdhsa_dx10_clamp 1
		.amdhsa_ieee_mode 1
		.amdhsa_fp16_overflow 0
		.amdhsa_exception_fp_ieee_invalid_op 0
		.amdhsa_exception_fp_denorm_src 0
		.amdhsa_exception_fp_ieee_div_zero 0
		.amdhsa_exception_fp_ieee_overflow 0
		.amdhsa_exception_fp_ieee_underflow 0
		.amdhsa_exception_fp_ieee_inexact 0
		.amdhsa_exception_int_div_zero 0
	.end_amdhsa_kernel
	.section	.text._ZL13mul_mat_vec_qIfLi256ELi8E12block_iq2_xsLi1EXadL_ZL19vec_dot_iq2_xs_q8_1PKvPK10block_q8_1RKiEEEvS2_S2_PT_iii,"axG",@progbits,_ZL13mul_mat_vec_qIfLi256ELi8E12block_iq2_xsLi1EXadL_ZL19vec_dot_iq2_xs_q8_1PKvPK10block_q8_1RKiEEEvS2_S2_PT_iii,comdat
.Lfunc_end69:
	.size	_ZL13mul_mat_vec_qIfLi256ELi8E12block_iq2_xsLi1EXadL_ZL19vec_dot_iq2_xs_q8_1PKvPK10block_q8_1RKiEEEvS2_S2_PT_iii, .Lfunc_end69-_ZL13mul_mat_vec_qIfLi256ELi8E12block_iq2_xsLi1EXadL_ZL19vec_dot_iq2_xs_q8_1PKvPK10block_q8_1RKiEEEvS2_S2_PT_iii
                                        ; -- End function
	.set _ZL13mul_mat_vec_qIfLi256ELi8E12block_iq2_xsLi1EXadL_ZL19vec_dot_iq2_xs_q8_1PKvPK10block_q8_1RKiEEEvS2_S2_PT_iii.num_vgpr, 38
	.set _ZL13mul_mat_vec_qIfLi256ELi8E12block_iq2_xsLi1EXadL_ZL19vec_dot_iq2_xs_q8_1PKvPK10block_q8_1RKiEEEvS2_S2_PT_iii.num_agpr, 0
	.set _ZL13mul_mat_vec_qIfLi256ELi8E12block_iq2_xsLi1EXadL_ZL19vec_dot_iq2_xs_q8_1PKvPK10block_q8_1RKiEEEvS2_S2_PT_iii.numbered_sgpr, 16
	.set _ZL13mul_mat_vec_qIfLi256ELi8E12block_iq2_xsLi1EXadL_ZL19vec_dot_iq2_xs_q8_1PKvPK10block_q8_1RKiEEEvS2_S2_PT_iii.num_named_barrier, 0
	.set _ZL13mul_mat_vec_qIfLi256ELi8E12block_iq2_xsLi1EXadL_ZL19vec_dot_iq2_xs_q8_1PKvPK10block_q8_1RKiEEEvS2_S2_PT_iii.private_seg_size, 0
	.set _ZL13mul_mat_vec_qIfLi256ELi8E12block_iq2_xsLi1EXadL_ZL19vec_dot_iq2_xs_q8_1PKvPK10block_q8_1RKiEEEvS2_S2_PT_iii.uses_vcc, 1
	.set _ZL13mul_mat_vec_qIfLi256ELi8E12block_iq2_xsLi1EXadL_ZL19vec_dot_iq2_xs_q8_1PKvPK10block_q8_1RKiEEEvS2_S2_PT_iii.uses_flat_scratch, 0
	.set _ZL13mul_mat_vec_qIfLi256ELi8E12block_iq2_xsLi1EXadL_ZL19vec_dot_iq2_xs_q8_1PKvPK10block_q8_1RKiEEEvS2_S2_PT_iii.has_dyn_sized_stack, 0
	.set _ZL13mul_mat_vec_qIfLi256ELi8E12block_iq2_xsLi1EXadL_ZL19vec_dot_iq2_xs_q8_1PKvPK10block_q8_1RKiEEEvS2_S2_PT_iii.has_recursion, 0
	.set _ZL13mul_mat_vec_qIfLi256ELi8E12block_iq2_xsLi1EXadL_ZL19vec_dot_iq2_xs_q8_1PKvPK10block_q8_1RKiEEEvS2_S2_PT_iii.has_indirect_call, 0
	.section	.AMDGPU.csdata,"",@progbits
; Kernel info:
; codeLenInByte = 1744
; TotalNumSgprs: 20
; NumVgprs: 38
; ScratchSize: 0
; MemoryBound: 0
; FloatMode: 240
; IeeeMode: 1
; LDSByteSize: 0 bytes/workgroup (compile time only)
; SGPRBlocks: 2
; VGPRBlocks: 9
; NumSGPRsForWavesPerEU: 20
; NumVGPRsForWavesPerEU: 38
; Occupancy: 6
; WaveLimiterHint : 0
; COMPUTE_PGM_RSRC2:SCRATCH_EN: 0
; COMPUTE_PGM_RSRC2:USER_SGPR: 6
; COMPUTE_PGM_RSRC2:TRAP_HANDLER: 0
; COMPUTE_PGM_RSRC2:TGID_X_EN: 1
; COMPUTE_PGM_RSRC2:TGID_Y_EN: 1
; COMPUTE_PGM_RSRC2:TGID_Z_EN: 0
; COMPUTE_PGM_RSRC2:TIDIG_COMP_CNT: 1
	.section	.text._ZL13mul_mat_vec_qIfLi256ELi8E13block_iq3_xxsLi1EXadL_ZL20vec_dot_iq3_xxs_q8_1PKvPK10block_q8_1RKiEEEvS2_S2_PT_iii,"axG",@progbits,_ZL13mul_mat_vec_qIfLi256ELi8E13block_iq3_xxsLi1EXadL_ZL20vec_dot_iq3_xxs_q8_1PKvPK10block_q8_1RKiEEEvS2_S2_PT_iii,comdat
	.globl	_ZL13mul_mat_vec_qIfLi256ELi8E13block_iq3_xxsLi1EXadL_ZL20vec_dot_iq3_xxs_q8_1PKvPK10block_q8_1RKiEEEvS2_S2_PT_iii ; -- Begin function _ZL13mul_mat_vec_qIfLi256ELi8E13block_iq3_xxsLi1EXadL_ZL20vec_dot_iq3_xxs_q8_1PKvPK10block_q8_1RKiEEEvS2_S2_PT_iii
	.p2align	8
	.type	_ZL13mul_mat_vec_qIfLi256ELi8E13block_iq3_xxsLi1EXadL_ZL20vec_dot_iq3_xxs_q8_1PKvPK10block_q8_1RKiEEEvS2_S2_PT_iii,@function
_ZL13mul_mat_vec_qIfLi256ELi8E13block_iq3_xxsLi1EXadL_ZL20vec_dot_iq3_xxs_q8_1PKvPK10block_q8_1RKiEEEvS2_S2_PT_iii: ; @_ZL13mul_mat_vec_qIfLi256ELi8E13block_iq3_xxsLi1EXadL_ZL20vec_dot_iq3_xxs_q8_1PKvPK10block_q8_1RKiEEEvS2_S2_PT_iii
; %bb.0:
	s_load_dword s0, s[4:5], 0x34
	s_load_dwordx4 s[8:11], s[4:5], 0x18
	s_waitcnt lgkmcnt(0)
	s_lshr_b32 s0, s0, 16
	s_mul_i32 s6, s6, s0
	v_add_u32_e32 v12, s6, v1
	s_cmp_lt_u32 s7, s10
	v_cmp_gt_u32_e32 vcc, s9, v12
	s_cselect_b64 s[0:1], -1, 0
	s_and_b64 s[0:1], s[0:1], vcc
	s_and_saveexec_b64 s[2:3], s[0:1]
	s_cbranch_execz .LBB70_7
; %bb.1:
	s_load_dwordx2 s[2:3], s[4:5], 0x10
	s_ashr_i32 s0, s8, 31
	s_lshr_b32 s0, s0, 24
	s_add_i32 s0, s8, s0
	s_ashr_i32 s6, s0, 8
	v_lshrrev_b32_e32 v14, 3, v0
	v_cmp_gt_u32_e32 vcc, s6, v14
	v_mov_b32_e32 v13, 0
	s_and_saveexec_b64 s[10:11], vcc
	s_cbranch_execz .LBB70_5
; %bb.2:
	s_load_dwordx4 s[12:15], s[4:5], 0x0
	s_add_i32 s0, s8, 0x1ff
	s_ashr_i32 s1, s0, 31
	s_lshr_b32 s1, s1, 23
	s_add_i32 s0, s0, s1
	s_ashr_i32 s0, s0, 9
	v_and_b32_e32 v1, 7, v0
	s_mul_i32 s4, s7, s0
	v_mul_lo_u32 v15, v12, s6
	v_lshlrev_b32_e32 v16, 3, v1
	v_lshlrev_b32_e32 v5, 1, v1
	s_waitcnt lgkmcnt(0)
	v_mad_u64_u32 v[1:2], s[0:1], v1, 36, s[14:15]
	v_lshlrev_b32_e32 v3, 3, v14
	v_lshl_add_u32 v17, s4, 4, v3
	v_mov_b32_e32 v3, s12
	v_mov_b32_e32 v13, 0
	s_mov_b64 s[4:5], 0
	s_movk_i32 s8, 0x62
	v_mov_b32_e32 v4, s13
	v_lshlrev_b32_e32 v18, 1, v5
	s_mov_b32 s16, 0xc060c00
	v_mov_b32_e32 v19, 2
	s_getpc_b64 s[12:13]
	s_add_u32 s12, s12, _ZL11iq3xxs_grid@rel32@lo+4
	s_addc_u32 s13, s13, _ZL11iq3xxs_grid@rel32@hi+12
.LBB70_3:                               ; =>This Inner Loop Header: Depth=1
	v_add_u32_e32 v5, v15, v14
	v_mad_i64_i32 v[5:6], s[0:1], v5, s8, v[3:4]
	s_getpc_b64 s[14:15]
	s_add_u32 s14, s14, _ZL8ksigns64@rel32@lo+4
	s_addc_u32 s15, s15, _ZL8ksigns64@rel32@hi+12
	v_add_u32_e32 v14, 8, v14
	v_add_co_u32_e32 v10, vcc, v5, v16
	v_add_co_u32_e64 v21, s[0:1], v5, v18
	v_addc_co_u32_e32 v11, vcc, 0, v6, vcc
	v_addc_co_u32_e64 v22, vcc, 0, v6, s[0:1]
	global_load_dwordx2 v[8:9], v[10:11], off offset:2
	global_load_dword v20, v[21:22], off offset:66
	v_cmp_le_u32_e32 vcc, s6, v14
	s_or_b64 s[4:5], vcc, s[4:5]
	s_waitcnt vmcnt(1)
	v_lshlrev_b32_sdwa v7, v19, v8 dst_sel:DWORD dst_unused:UNUSED_PAD src0_sel:DWORD src1_sel:BYTE_0
	s_waitcnt vmcnt(0)
	v_and_b32_e32 v10, 0x7f, v20
	v_lshlrev_b32_e32 v21, 3, v10
	global_load_dword v22, v7, s[12:13]
	global_load_dwordx2 v[10:11], v21, s[14:15]
	s_waitcnt vmcnt(0)
	v_xor_b32_e32 v7, v10, v22
	v_and_b32_e32 v21, 0xff000000, v10
	v_and_b32_e32 v22, 0xff0000, v10
	;; [unrolled: 1-line block ×3, first 2 shown]
	v_sub_u32_e32 v21, v7, v21
	v_sub_u32_e32 v22, v7, v22
	;; [unrolled: 1-line block ×4, first 2 shown]
	v_perm_b32 v7, v22, v7, s16
	v_and_b32_e32 v10, 0xff000000, v21
	v_and_b32_e32 v21, 0xff00, v23
	v_or3_b32 v21, v7, v10, v21
	v_lshlrev_b32_sdwa v7, v19, v8 dst_sel:DWORD dst_unused:UNUSED_PAD src0_sel:DWORD src1_sel:BYTE_1
	global_load_dword v7, v7, s[12:13]
	v_and_b32_e32 v10, 0xff000000, v11
	v_and_b32_e32 v22, 0xff0000, v11
	;; [unrolled: 1-line block ×3, first 2 shown]
	s_waitcnt vmcnt(0)
	v_xor_b32_e32 v7, v11, v7
	v_sub_u32_e32 v11, v7, v11
	v_sub_u32_e32 v10, v7, v10
	;; [unrolled: 1-line block ×4, first 2 shown]
	v_perm_b32 v11, v22, v11, s16
	v_and_b32_e32 v10, 0xff000000, v10
	v_and_b32_e32 v7, 0xff00, v7
	v_lshlrev_b32_sdwa v23, v19, v8 dst_sel:DWORD dst_unused:UNUSED_PAD src0_sel:DWORD src1_sel:BYTE_2
	v_or3_b32 v22, v11, v10, v7
	v_lshrrev_b32_e32 v7, 4, v20
	v_and_b32_e32 v7, 0x3f8, v7
	global_load_dword v24, v23, s[12:13]
	global_load_dwordx2 v[10:11], v7, s[14:15]
	s_waitcnt vmcnt(0)
	v_xor_b32_e32 v7, v10, v24
	v_and_b32_e32 v23, 0xff000000, v10
	v_and_b32_e32 v24, 0xff0000, v10
	;; [unrolled: 1-line block ×3, first 2 shown]
	v_sub_u32_e32 v23, v7, v23
	v_sub_u32_e32 v24, v7, v24
	v_sub_u32_e32 v25, v7, v25
	v_sub_u32_e32 v7, v7, v10
	v_perm_b32 v7, v24, v7, s16
	v_and_b32_e32 v10, 0xff000000, v23
	v_and_b32_e32 v23, 0xff00, v25
	v_or3_b32 v23, v7, v10, v23
	v_lshlrev_b32_sdwa v7, v19, v8 dst_sel:DWORD dst_unused:UNUSED_PAD src0_sel:DWORD src1_sel:BYTE_3
	global_load_dword v7, v7, s[12:13]
	v_and_b32_e32 v8, 0xff000000, v11
	v_and_b32_e32 v10, 0xff0000, v11
	v_and_b32_e32 v24, 0xff00, v11
	s_waitcnt vmcnt(0)
	v_xor_b32_e32 v7, v11, v7
	v_sub_u32_e32 v11, v7, v11
	v_sub_u32_e32 v8, v7, v8
	;; [unrolled: 1-line block ×4, first 2 shown]
	v_perm_b32 v10, v10, v11, s16
	v_and_b32_e32 v8, 0xff000000, v8
	v_and_b32_e32 v7, 0xff00, v7
	v_or3_b32 v24, v10, v8, v7
	v_lshrrev_b32_e32 v7, 11, v20
	v_lshlrev_b32_sdwa v11, v19, v9 dst_sel:DWORD dst_unused:UNUSED_PAD src0_sel:DWORD src1_sel:BYTE_0
	v_and_b32_e32 v10, 0x3f8, v7
	global_load_dword v25, v11, s[12:13]
	global_load_dwordx2 v[7:8], v10, s[14:15]
	s_waitcnt vmcnt(0)
	v_xor_b32_e32 v10, v7, v25
	v_and_b32_e32 v11, 0xff000000, v7
	v_and_b32_e32 v25, 0xff0000, v7
	;; [unrolled: 1-line block ×3, first 2 shown]
	v_sub_u32_e32 v11, v10, v11
	v_sub_u32_e32 v25, v10, v25
	;; [unrolled: 1-line block ×4, first 2 shown]
	v_perm_b32 v7, v25, v7, s16
	v_and_b32_e32 v10, 0xff000000, v11
	v_and_b32_e32 v11, 0xff00, v26
	v_or3_b32 v25, v7, v10, v11
	v_lshlrev_b32_sdwa v7, v19, v9 dst_sel:DWORD dst_unused:UNUSED_PAD src0_sel:DWORD src1_sel:BYTE_1
	global_load_dword v7, v7, s[12:13]
	v_and_b32_e32 v10, 0xff000000, v8
	v_and_b32_e32 v11, 0xff0000, v8
	;; [unrolled: 1-line block ×3, first 2 shown]
	s_waitcnt vmcnt(0)
	v_xor_b32_e32 v7, v8, v7
	v_sub_u32_e32 v8, v7, v8
	v_sub_u32_e32 v10, v7, v10
	v_sub_u32_e32 v11, v7, v11
	v_sub_u32_e32 v7, v7, v26
	v_perm_b32 v8, v11, v8, s16
	v_and_b32_e32 v10, 0xff000000, v10
	v_and_b32_e32 v7, 0xff00, v7
	v_or3_b32 v26, v8, v10, v7
	v_lshrrev_b32_e32 v7, 18, v20
	v_lshlrev_b32_sdwa v11, v19, v9 dst_sel:DWORD dst_unused:UNUSED_PAD src0_sel:DWORD src1_sel:BYTE_2
	v_and_b32_e32 v10, 0x3f8, v7
	global_load_dword v27, v11, s[12:13]
	global_load_dwordx2 v[7:8], v10, s[14:15]
	v_lshlrev_b32_sdwa v9, v19, v9 dst_sel:DWORD dst_unused:UNUSED_PAD src0_sel:DWORD src1_sel:BYTE_3
	v_lshrrev_b32_e32 v20, 28, v20
	v_cvt_f32_ubyte0_e32 v20, v20
	v_add_f32_e32 v20, 0.5, v20
	s_waitcnt vmcnt(0)
	v_xor_b32_e32 v10, v7, v27
	v_and_b32_e32 v11, 0xff000000, v7
	v_and_b32_e32 v27, 0xff0000, v7
	v_and_b32_e32 v28, 0xff00, v7
	v_sub_u32_e32 v11, v10, v11
	v_sub_u32_e32 v27, v10, v27
	v_sub_u32_e32 v28, v10, v28
	v_sub_u32_e32 v7, v10, v7
	v_perm_b32 v7, v27, v7, s16
	v_and_b32_e32 v10, 0xff000000, v11
	v_and_b32_e32 v11, 0xff00, v28
	v_or3_b32 v7, v7, v10, v11
	v_mad_i64_i32 v[10:11], s[0:1], v17, 36, v[1:2]
	v_add_u32_e32 v17, 64, v17
	global_load_dwordx4 v[27:30], v[10:11], off
	s_waitcnt vmcnt(0)
	v_dot4_i32_i8 v21, v21, v28, 0
	v_dot4_i32_i8 v21, v22, v29, v21
	;; [unrolled: 1-line block ×3, first 2 shown]
	global_load_dwordx4 v[28:31], v[10:11], off offset:16
	s_waitcnt vmcnt(0)
	v_dot4_i32_i8 v21, v24, v28, v21
	global_load_dword v22, v9, s[12:13]
	global_load_ushort v23, v[5:6], off
	global_load_dword v24, v[10:11], off offset:32
	v_and_b32_e32 v6, 0xff000000, v8
	v_and_b32_e32 v9, 0xff0000, v8
	;; [unrolled: 1-line block ×3, first 2 shown]
	v_dot4_i32_i8 v21, v25, v29, v21
	v_dot4_i32_i8 v21, v26, v30, v21
	;; [unrolled: 1-line block ×3, first 2 shown]
	v_cvt_f32_f16_e32 v7, v27
	s_waitcnt vmcnt(2)
	v_xor_b32_e32 v5, v8, v22
	v_sub_u32_e32 v8, v5, v8
	v_sub_u32_e32 v6, v5, v6
	;; [unrolled: 1-line block ×4, first 2 shown]
	s_waitcnt vmcnt(1)
	v_cvt_f32_f16_e32 v11, v23
	v_and_b32_e32 v6, 0xff000000, v6
	v_and_b32_e32 v5, 0xff00, v5
	v_perm_b32 v8, v9, v8, s16
	v_or3_b32 v5, v8, v6, v5
	s_waitcnt vmcnt(0)
	v_dot4_i32_i8 v5, v5, v24, v21
	v_cvt_f32_i32_e32 v5, v5
	v_mul_f32_e32 v6, v20, v11
	v_mul_f32_e32 v6, v6, v7
	v_mul_f32_e32 v6, 0.5, v6
	v_fmac_f32_e32 v13, v6, v5
	s_andn2_b64 exec, exec, s[4:5]
	s_cbranch_execnz .LBB70_3
; %bb.4:
	s_or_b64 exec, exec, s[4:5]
.LBB70_5:
	s_or_b64 exec, exec, s[10:11]
	v_mbcnt_lo_u32_b32 v1, -1, 0
	v_mbcnt_hi_u32_b32 v2, -1, v1
	v_and_b32_e32 v1, 64, v2
	v_add_u32_e32 v3, 64, v1
	v_xor_b32_e32 v1, 32, v2
	v_cmp_lt_i32_e32 vcc, v1, v3
	v_cndmask_b32_e32 v1, v2, v1, vcc
	v_lshlrev_b32_e32 v1, 2, v1
	ds_bpermute_b32 v1, v1, v13
	v_xor_b32_e32 v4, 16, v2
	v_cmp_lt_i32_e32 vcc, v4, v3
	v_cndmask_b32_e32 v4, v2, v4, vcc
	v_lshlrev_b32_e32 v4, 2, v4
	s_waitcnt lgkmcnt(0)
	v_add_f32_e32 v1, v13, v1
	ds_bpermute_b32 v4, v4, v1
	v_xor_b32_e32 v5, 8, v2
	v_cmp_lt_i32_e32 vcc, v5, v3
	s_waitcnt lgkmcnt(0)
	v_add_f32_e32 v1, v1, v4
	v_cndmask_b32_e32 v4, v2, v5, vcc
	v_lshlrev_b32_e32 v4, 2, v4
	ds_bpermute_b32 v4, v4, v1
	v_xor_b32_e32 v5, 4, v2
	v_cmp_lt_i32_e32 vcc, v5, v3
	s_waitcnt lgkmcnt(0)
	v_add_f32_e32 v1, v1, v4
	v_cndmask_b32_e32 v4, v2, v5, vcc
	v_lshlrev_b32_e32 v4, 2, v4
	;; [unrolled: 7-line block ×3, first 2 shown]
	ds_bpermute_b32 v4, v4, v1
	v_xor_b32_e32 v5, 1, v2
	v_cmp_lt_i32_e32 vcc, v5, v3
	v_cndmask_b32_e32 v2, v2, v5, vcc
	v_lshlrev_b32_e32 v2, 2, v2
	s_waitcnt lgkmcnt(0)
	v_add_f32_e32 v1, v1, v4
	ds_bpermute_b32 v2, v2, v1
	v_cmp_eq_u32_e32 vcc, 0, v0
	s_and_b64 exec, exec, vcc
	s_cbranch_execz .LBB70_7
; %bb.6:
	s_mul_i32 s0, s9, s7
	s_waitcnt lgkmcnt(0)
	v_add_f32_e32 v2, v1, v2
	v_add_u32_e32 v0, s0, v12
	v_mov_b32_e32 v1, 0
	v_lshlrev_b64 v[0:1], 2, v[0:1]
	v_mov_b32_e32 v3, s3
	v_add_co_u32_e32 v0, vcc, s2, v0
	v_addc_co_u32_e32 v1, vcc, v3, v1, vcc
	global_store_dword v[0:1], v2, off
.LBB70_7:
	s_endpgm
	.section	.rodata,"a",@progbits
	.p2align	6, 0x0
	.amdhsa_kernel _ZL13mul_mat_vec_qIfLi256ELi8E13block_iq3_xxsLi1EXadL_ZL20vec_dot_iq3_xxs_q8_1PKvPK10block_q8_1RKiEEEvS2_S2_PT_iii
		.amdhsa_group_segment_fixed_size 0
		.amdhsa_private_segment_fixed_size 0
		.amdhsa_kernarg_size 296
		.amdhsa_user_sgpr_count 6
		.amdhsa_user_sgpr_private_segment_buffer 1
		.amdhsa_user_sgpr_dispatch_ptr 0
		.amdhsa_user_sgpr_queue_ptr 0
		.amdhsa_user_sgpr_kernarg_segment_ptr 1
		.amdhsa_user_sgpr_dispatch_id 0
		.amdhsa_user_sgpr_flat_scratch_init 0
		.amdhsa_user_sgpr_private_segment_size 0
		.amdhsa_uses_dynamic_stack 0
		.amdhsa_system_sgpr_private_segment_wavefront_offset 0
		.amdhsa_system_sgpr_workgroup_id_x 1
		.amdhsa_system_sgpr_workgroup_id_y 1
		.amdhsa_system_sgpr_workgroup_id_z 0
		.amdhsa_system_sgpr_workgroup_info 0
		.amdhsa_system_vgpr_workitem_id 1
		.amdhsa_next_free_vgpr 32
		.amdhsa_next_free_sgpr 17
		.amdhsa_reserve_vcc 1
		.amdhsa_reserve_flat_scratch 0
		.amdhsa_float_round_mode_32 0
		.amdhsa_float_round_mode_16_64 0
		.amdhsa_float_denorm_mode_32 3
		.amdhsa_float_denorm_mode_16_64 3
		.amdhsa_dx10_clamp 1
		.amdhsa_ieee_mode 1
		.amdhsa_fp16_overflow 0
		.amdhsa_exception_fp_ieee_invalid_op 0
		.amdhsa_exception_fp_denorm_src 0
		.amdhsa_exception_fp_ieee_div_zero 0
		.amdhsa_exception_fp_ieee_overflow 0
		.amdhsa_exception_fp_ieee_underflow 0
		.amdhsa_exception_fp_ieee_inexact 0
		.amdhsa_exception_int_div_zero 0
	.end_amdhsa_kernel
	.section	.text._ZL13mul_mat_vec_qIfLi256ELi8E13block_iq3_xxsLi1EXadL_ZL20vec_dot_iq3_xxs_q8_1PKvPK10block_q8_1RKiEEEvS2_S2_PT_iii,"axG",@progbits,_ZL13mul_mat_vec_qIfLi256ELi8E13block_iq3_xxsLi1EXadL_ZL20vec_dot_iq3_xxs_q8_1PKvPK10block_q8_1RKiEEEvS2_S2_PT_iii,comdat
.Lfunc_end70:
	.size	_ZL13mul_mat_vec_qIfLi256ELi8E13block_iq3_xxsLi1EXadL_ZL20vec_dot_iq3_xxs_q8_1PKvPK10block_q8_1RKiEEEvS2_S2_PT_iii, .Lfunc_end70-_ZL13mul_mat_vec_qIfLi256ELi8E13block_iq3_xxsLi1EXadL_ZL20vec_dot_iq3_xxs_q8_1PKvPK10block_q8_1RKiEEEvS2_S2_PT_iii
                                        ; -- End function
	.set _ZL13mul_mat_vec_qIfLi256ELi8E13block_iq3_xxsLi1EXadL_ZL20vec_dot_iq3_xxs_q8_1PKvPK10block_q8_1RKiEEEvS2_S2_PT_iii.num_vgpr, 32
	.set _ZL13mul_mat_vec_qIfLi256ELi8E13block_iq3_xxsLi1EXadL_ZL20vec_dot_iq3_xxs_q8_1PKvPK10block_q8_1RKiEEEvS2_S2_PT_iii.num_agpr, 0
	.set _ZL13mul_mat_vec_qIfLi256ELi8E13block_iq3_xxsLi1EXadL_ZL20vec_dot_iq3_xxs_q8_1PKvPK10block_q8_1RKiEEEvS2_S2_PT_iii.numbered_sgpr, 17
	.set _ZL13mul_mat_vec_qIfLi256ELi8E13block_iq3_xxsLi1EXadL_ZL20vec_dot_iq3_xxs_q8_1PKvPK10block_q8_1RKiEEEvS2_S2_PT_iii.num_named_barrier, 0
	.set _ZL13mul_mat_vec_qIfLi256ELi8E13block_iq3_xxsLi1EXadL_ZL20vec_dot_iq3_xxs_q8_1PKvPK10block_q8_1RKiEEEvS2_S2_PT_iii.private_seg_size, 0
	.set _ZL13mul_mat_vec_qIfLi256ELi8E13block_iq3_xxsLi1EXadL_ZL20vec_dot_iq3_xxs_q8_1PKvPK10block_q8_1RKiEEEvS2_S2_PT_iii.uses_vcc, 1
	.set _ZL13mul_mat_vec_qIfLi256ELi8E13block_iq3_xxsLi1EXadL_ZL20vec_dot_iq3_xxs_q8_1PKvPK10block_q8_1RKiEEEvS2_S2_PT_iii.uses_flat_scratch, 0
	.set _ZL13mul_mat_vec_qIfLi256ELi8E13block_iq3_xxsLi1EXadL_ZL20vec_dot_iq3_xxs_q8_1PKvPK10block_q8_1RKiEEEvS2_S2_PT_iii.has_dyn_sized_stack, 0
	.set _ZL13mul_mat_vec_qIfLi256ELi8E13block_iq3_xxsLi1EXadL_ZL20vec_dot_iq3_xxs_q8_1PKvPK10block_q8_1RKiEEEvS2_S2_PT_iii.has_recursion, 0
	.set _ZL13mul_mat_vec_qIfLi256ELi8E13block_iq3_xxsLi1EXadL_ZL20vec_dot_iq3_xxs_q8_1PKvPK10block_q8_1RKiEEEvS2_S2_PT_iii.has_indirect_call, 0
	.section	.AMDGPU.csdata,"",@progbits
; Kernel info:
; codeLenInByte = 1628
; TotalNumSgprs: 21
; NumVgprs: 32
; ScratchSize: 0
; MemoryBound: 0
; FloatMode: 240
; IeeeMode: 1
; LDSByteSize: 0 bytes/workgroup (compile time only)
; SGPRBlocks: 2
; VGPRBlocks: 7
; NumSGPRsForWavesPerEU: 21
; NumVGPRsForWavesPerEU: 32
; Occupancy: 8
; WaveLimiterHint : 0
; COMPUTE_PGM_RSRC2:SCRATCH_EN: 0
; COMPUTE_PGM_RSRC2:USER_SGPR: 6
; COMPUTE_PGM_RSRC2:TRAP_HANDLER: 0
; COMPUTE_PGM_RSRC2:TGID_X_EN: 1
; COMPUTE_PGM_RSRC2:TGID_Y_EN: 1
; COMPUTE_PGM_RSRC2:TGID_Z_EN: 0
; COMPUTE_PGM_RSRC2:TIDIG_COMP_CNT: 1
	.section	.text._ZL13mul_mat_vec_qIfLi256ELi8E11block_iq1_sLi1EXadL_ZL18vec_dot_iq1_s_q8_1PKvPK10block_q8_1RKiEEEvS2_S2_PT_iii,"axG",@progbits,_ZL13mul_mat_vec_qIfLi256ELi8E11block_iq1_sLi1EXadL_ZL18vec_dot_iq1_s_q8_1PKvPK10block_q8_1RKiEEEvS2_S2_PT_iii,comdat
	.globl	_ZL13mul_mat_vec_qIfLi256ELi8E11block_iq1_sLi1EXadL_ZL18vec_dot_iq1_s_q8_1PKvPK10block_q8_1RKiEEEvS2_S2_PT_iii ; -- Begin function _ZL13mul_mat_vec_qIfLi256ELi8E11block_iq1_sLi1EXadL_ZL18vec_dot_iq1_s_q8_1PKvPK10block_q8_1RKiEEEvS2_S2_PT_iii
	.p2align	8
	.type	_ZL13mul_mat_vec_qIfLi256ELi8E11block_iq1_sLi1EXadL_ZL18vec_dot_iq1_s_q8_1PKvPK10block_q8_1RKiEEEvS2_S2_PT_iii,@function
_ZL13mul_mat_vec_qIfLi256ELi8E11block_iq1_sLi1EXadL_ZL18vec_dot_iq1_s_q8_1PKvPK10block_q8_1RKiEEEvS2_S2_PT_iii: ; @_ZL13mul_mat_vec_qIfLi256ELi8E11block_iq1_sLi1EXadL_ZL18vec_dot_iq1_s_q8_1PKvPK10block_q8_1RKiEEEvS2_S2_PT_iii
; %bb.0:
	s_load_dword s8, s[4:5], 0x34
	s_load_dwordx4 s[0:3], s[4:5], 0x18
	s_waitcnt lgkmcnt(0)
	s_lshr_b32 s3, s8, 16
	s_mul_i32 s6, s6, s3
	v_add_u32_e32 v9, s6, v1
	s_cmp_lt_u32 s7, s2
	v_cmp_gt_u32_e32 vcc, s1, v9
	s_cselect_b64 s[2:3], -1, 0
	s_and_b64 s[2:3], s[2:3], vcc
	s_and_saveexec_b64 s[8:9], s[2:3]
	s_cbranch_execz .LBB71_7
; %bb.1:
	s_load_dwordx2 s[2:3], s[4:5], 0x10
	s_ashr_i32 s6, s0, 31
	s_lshr_b32 s6, s6, 24
	s_add_i32 s6, s0, s6
	s_ashr_i32 s6, s6, 8
	v_lshrrev_b32_e32 v11, 3, v0
	v_cmp_gt_u32_e32 vcc, s6, v11
	v_mov_b32_e32 v10, 0
	s_and_saveexec_b64 s[12:13], vcc
	s_cbranch_execz .LBB71_5
; %bb.2:
	s_load_dwordx4 s[8:11], s[4:5], 0x0
	s_addk_i32 s0, 0x1ff
	s_ashr_i32 s4, s0, 31
	s_lshr_b32 s4, s4, 23
	v_and_b32_e32 v1, 7, v0
	s_add_i32 s0, s0, s4
	v_mul_lo_u32 v12, v9, s6
	s_waitcnt lgkmcnt(0)
	v_mad_u64_u32 v[5:6], s[4:5], v1, 36, s[10:11]
	s_ashr_i32 s0, s0, 9
	s_mul_i32 s0, s7, s0
	v_lshlrev_b32_e32 v2, 1, v1
	v_lshlrev_b32_e32 v3, 3, v11
	v_mov_b32_e32 v10, 0
	v_lshl_add_u32 v13, s0, 4, v3
	s_mov_b64 s[4:5], 0
	v_lshlrev_b32_e32 v14, 1, v2
	v_lshlrev_b32_e32 v15, 1, v1
	s_movk_i32 s0, 0x700
.LBB71_3:                               ; =>This Inner Loop Header: Depth=1
	v_add_u32_e32 v1, v12, v11
	v_mad_i64_i32 v[7:8], s[10:11], v1, 50, s[8:9]
	v_mad_i64_i32 v[21:22], s[10:11], v13, 36, v[5:6]
	v_add_co_u32_e32 v1, vcc, v7, v14
	v_addc_co_u32_e32 v2, vcc, 0, v8, vcc
	v_add_co_u32_e32 v3, vcc, v7, v15
	v_addc_co_u32_e32 v4, vcc, 0, v8, vcc
	global_load_dword v17, v[1:2], off offset:2
	global_load_ushort v16, v[3:4], off offset:34
	s_nop 0
	global_load_dwordx4 v[1:4], v[21:22], off
	global_load_ushort v23, v[7:8], off
	s_getpc_b64 s[10:11]
	s_add_u32 s10, s10, _ZL13iq1s_grid_gpu@rel32@lo+4
	s_addc_u32 s11, s11, _ZL13iq1s_grid_gpu@rel32@hi+12
	v_add_u32_e32 v11, 8, v11
	v_cmp_le_u32_e32 vcc, s6, v11
	v_add_u32_e32 v13, 64, v13
	s_or_b64 s[4:5], vcc, s[4:5]
	s_waitcnt vmcnt(3)
	v_and_b32_e32 v7, 0xff, v17
	s_waitcnt vmcnt(2)
	v_lshlrev_b32_e32 v8, 8, v16
	v_bfe_u32 v18, v17, 8, 8
	v_lshlrev_b32_e32 v19, 5, v16
	v_bfe_u32 v20, v17, 16, 8
	v_lshlrev_b32_e32 v24, 2, v16
	v_lshrrev_b32_e32 v17, 24, v17
	v_lshrrev_b32_e32 v25, 1, v16
	v_and_or_b32 v7, v8, s0, v7
	v_and_or_b32 v8, v19, s0, v18
	;; [unrolled: 1-line block ×4, first 2 shown]
	global_load_dwordx4 v[17:20], v[21:22], off offset:16
	v_lshlrev_b32_e32 v7, 3, v7
	v_lshlrev_b32_e32 v8, 3, v8
	;; [unrolled: 1-line block ×4, first 2 shown]
	global_load_dword v26, v7, s[10:11]
	global_load_dword v27, v8, s[10:11]
                                        ; kill: killed $vgpr8
                                        ; kill: killed $vgpr7
	s_nop 0
	global_load_dword v7, v24, s[10:11]
	global_load_dword v8, v25, s[10:11]
                                        ; kill: killed $vgpr25
                                        ; kill: killed $sgpr10_sgpr11
                                        ; kill: killed $vgpr24
	s_nop 0
	global_load_dword v21, v[21:22], off offset:32
	s_waitcnt vmcnt(4)
	v_and_b32_e32 v22, 0xf0f0f0f, v26
	v_lshrrev_b32_e32 v24, 4, v26
	v_and_b32_e32 v24, 0xf0f0f0f, v24
	v_dot4_i32_i8 v2, v22, v2, 0
	v_dot4_i32_i8 v2, v24, v3, v2
	s_waitcnt vmcnt(3)
	v_and_b32_e32 v3, 0xf0f0f0f, v27
	v_dot4_i32_i8 v2, v3, v4, v2
	v_lshrrev_b32_e32 v4, 4, v27
	v_and_b32_e32 v4, 0xf0f0f0f, v4
	v_dot4_i32_i8 v2, v4, v17, v2
	s_waitcnt vmcnt(2)
	v_and_b32_e32 v4, 0xf0f0f0f, v7
	v_lshrrev_b32_e32 v7, 4, v7
	v_dot4_i32_i8 v2, v4, v18, v2
	v_and_b32_e32 v7, 0xf0f0f0f, v7
	v_dot4_i32_i8 v2, v7, v19, v2
	s_waitcnt vmcnt(1)
	v_and_b32_e32 v7, 0xf0f0f0f, v8
	v_dot4_i32_i8 v2, v7, v20, v2
	v_and_b32_e32 v7, 0x8000, v16
	v_lshrrev_b32_e32 v8, 4, v8
	v_cvt_f32_u32_e32 v7, v7
	v_and_b32_e32 v8, 0xf0f0f0f, v8
	v_cvt_f32_f16_sdwa v4, v1 dst_sel:DWORD dst_unused:UNUSED_PAD src0_sel:WORD_1
	s_waitcnt vmcnt(0)
	v_dot4_i32_i8 v2, v8, v21, v2
	v_cvt_f32_f16_e32 v17, v23
	v_cvt_f32_i32_e32 v2, v2
	v_mov_b32_e32 v3, 0xbf600000
	v_lshrrev_b32_e32 v16, 11, v16
	v_and_or_b32 v16, v16, 14, 1
	v_fmac_f32_e32 v3, 0xb7000000, v7
	v_cvt_f32_ubyte0_e32 v16, v16
	v_mul_f32_e32 v3, v3, v4
	v_mul_f32_e32 v8, v16, v17
	v_fma_mix_f32 v1, v2, v1, v3 op_sel_hi:[0,1,0]
	v_fmac_f32_e32 v10, v8, v1
	s_andn2_b64 exec, exec, s[4:5]
	s_cbranch_execnz .LBB71_3
; %bb.4:
	s_or_b64 exec, exec, s[4:5]
.LBB71_5:
	s_or_b64 exec, exec, s[12:13]
	v_mbcnt_lo_u32_b32 v1, -1, 0
	v_mbcnt_hi_u32_b32 v2, -1, v1
	v_and_b32_e32 v1, 64, v2
	v_add_u32_e32 v3, 64, v1
	v_xor_b32_e32 v1, 32, v2
	v_cmp_lt_i32_e32 vcc, v1, v3
	v_cndmask_b32_e32 v1, v2, v1, vcc
	v_lshlrev_b32_e32 v1, 2, v1
	ds_bpermute_b32 v1, v1, v10
	v_xor_b32_e32 v4, 16, v2
	v_cmp_lt_i32_e32 vcc, v4, v3
	v_cndmask_b32_e32 v4, v2, v4, vcc
	v_lshlrev_b32_e32 v4, 2, v4
	s_waitcnt lgkmcnt(0)
	v_add_f32_e32 v1, v10, v1
	ds_bpermute_b32 v4, v4, v1
	v_xor_b32_e32 v5, 8, v2
	v_cmp_lt_i32_e32 vcc, v5, v3
	s_waitcnt lgkmcnt(0)
	v_add_f32_e32 v1, v1, v4
	v_cndmask_b32_e32 v4, v2, v5, vcc
	v_lshlrev_b32_e32 v4, 2, v4
	ds_bpermute_b32 v4, v4, v1
	v_xor_b32_e32 v5, 4, v2
	v_cmp_lt_i32_e32 vcc, v5, v3
	s_waitcnt lgkmcnt(0)
	v_add_f32_e32 v1, v1, v4
	v_cndmask_b32_e32 v4, v2, v5, vcc
	v_lshlrev_b32_e32 v4, 2, v4
	;; [unrolled: 7-line block ×3, first 2 shown]
	ds_bpermute_b32 v4, v4, v1
	v_xor_b32_e32 v5, 1, v2
	v_cmp_lt_i32_e32 vcc, v5, v3
	v_cndmask_b32_e32 v2, v2, v5, vcc
	v_lshlrev_b32_e32 v2, 2, v2
	s_waitcnt lgkmcnt(0)
	v_add_f32_e32 v1, v1, v4
	ds_bpermute_b32 v2, v2, v1
	v_cmp_eq_u32_e32 vcc, 0, v0
	s_and_b64 exec, exec, vcc
	s_cbranch_execz .LBB71_7
; %bb.6:
	s_mul_i32 s0, s1, s7
	s_waitcnt lgkmcnt(0)
	v_add_f32_e32 v2, v1, v2
	v_add_u32_e32 v0, s0, v9
	v_mov_b32_e32 v1, 0
	v_lshlrev_b64 v[0:1], 2, v[0:1]
	v_mov_b32_e32 v3, s3
	v_add_co_u32_e32 v0, vcc, s2, v0
	v_addc_co_u32_e32 v1, vcc, v3, v1, vcc
	global_store_dword v[0:1], v2, off
.LBB71_7:
	s_endpgm
	.section	.rodata,"a",@progbits
	.p2align	6, 0x0
	.amdhsa_kernel _ZL13mul_mat_vec_qIfLi256ELi8E11block_iq1_sLi1EXadL_ZL18vec_dot_iq1_s_q8_1PKvPK10block_q8_1RKiEEEvS2_S2_PT_iii
		.amdhsa_group_segment_fixed_size 0
		.amdhsa_private_segment_fixed_size 0
		.amdhsa_kernarg_size 296
		.amdhsa_user_sgpr_count 6
		.amdhsa_user_sgpr_private_segment_buffer 1
		.amdhsa_user_sgpr_dispatch_ptr 0
		.amdhsa_user_sgpr_queue_ptr 0
		.amdhsa_user_sgpr_kernarg_segment_ptr 1
		.amdhsa_user_sgpr_dispatch_id 0
		.amdhsa_user_sgpr_flat_scratch_init 0
		.amdhsa_user_sgpr_private_segment_size 0
		.amdhsa_uses_dynamic_stack 0
		.amdhsa_system_sgpr_private_segment_wavefront_offset 0
		.amdhsa_system_sgpr_workgroup_id_x 1
		.amdhsa_system_sgpr_workgroup_id_y 1
		.amdhsa_system_sgpr_workgroup_id_z 0
		.amdhsa_system_sgpr_workgroup_info 0
		.amdhsa_system_vgpr_workitem_id 1
		.amdhsa_next_free_vgpr 28
		.amdhsa_next_free_sgpr 14
		.amdhsa_reserve_vcc 1
		.amdhsa_reserve_flat_scratch 0
		.amdhsa_float_round_mode_32 0
		.amdhsa_float_round_mode_16_64 0
		.amdhsa_float_denorm_mode_32 3
		.amdhsa_float_denorm_mode_16_64 3
		.amdhsa_dx10_clamp 1
		.amdhsa_ieee_mode 1
		.amdhsa_fp16_overflow 0
		.amdhsa_exception_fp_ieee_invalid_op 0
		.amdhsa_exception_fp_denorm_src 0
		.amdhsa_exception_fp_ieee_div_zero 0
		.amdhsa_exception_fp_ieee_overflow 0
		.amdhsa_exception_fp_ieee_underflow 0
		.amdhsa_exception_fp_ieee_inexact 0
		.amdhsa_exception_int_div_zero 0
	.end_amdhsa_kernel
	.section	.text._ZL13mul_mat_vec_qIfLi256ELi8E11block_iq1_sLi1EXadL_ZL18vec_dot_iq1_s_q8_1PKvPK10block_q8_1RKiEEEvS2_S2_PT_iii,"axG",@progbits,_ZL13mul_mat_vec_qIfLi256ELi8E11block_iq1_sLi1EXadL_ZL18vec_dot_iq1_s_q8_1PKvPK10block_q8_1RKiEEEvS2_S2_PT_iii,comdat
.Lfunc_end71:
	.size	_ZL13mul_mat_vec_qIfLi256ELi8E11block_iq1_sLi1EXadL_ZL18vec_dot_iq1_s_q8_1PKvPK10block_q8_1RKiEEEvS2_S2_PT_iii, .Lfunc_end71-_ZL13mul_mat_vec_qIfLi256ELi8E11block_iq1_sLi1EXadL_ZL18vec_dot_iq1_s_q8_1PKvPK10block_q8_1RKiEEEvS2_S2_PT_iii
                                        ; -- End function
	.set _ZL13mul_mat_vec_qIfLi256ELi8E11block_iq1_sLi1EXadL_ZL18vec_dot_iq1_s_q8_1PKvPK10block_q8_1RKiEEEvS2_S2_PT_iii.num_vgpr, 28
	.set _ZL13mul_mat_vec_qIfLi256ELi8E11block_iq1_sLi1EXadL_ZL18vec_dot_iq1_s_q8_1PKvPK10block_q8_1RKiEEEvS2_S2_PT_iii.num_agpr, 0
	.set _ZL13mul_mat_vec_qIfLi256ELi8E11block_iq1_sLi1EXadL_ZL18vec_dot_iq1_s_q8_1PKvPK10block_q8_1RKiEEEvS2_S2_PT_iii.numbered_sgpr, 14
	.set _ZL13mul_mat_vec_qIfLi256ELi8E11block_iq1_sLi1EXadL_ZL18vec_dot_iq1_s_q8_1PKvPK10block_q8_1RKiEEEvS2_S2_PT_iii.num_named_barrier, 0
	.set _ZL13mul_mat_vec_qIfLi256ELi8E11block_iq1_sLi1EXadL_ZL18vec_dot_iq1_s_q8_1PKvPK10block_q8_1RKiEEEvS2_S2_PT_iii.private_seg_size, 0
	.set _ZL13mul_mat_vec_qIfLi256ELi8E11block_iq1_sLi1EXadL_ZL18vec_dot_iq1_s_q8_1PKvPK10block_q8_1RKiEEEvS2_S2_PT_iii.uses_vcc, 1
	.set _ZL13mul_mat_vec_qIfLi256ELi8E11block_iq1_sLi1EXadL_ZL18vec_dot_iq1_s_q8_1PKvPK10block_q8_1RKiEEEvS2_S2_PT_iii.uses_flat_scratch, 0
	.set _ZL13mul_mat_vec_qIfLi256ELi8E11block_iq1_sLi1EXadL_ZL18vec_dot_iq1_s_q8_1PKvPK10block_q8_1RKiEEEvS2_S2_PT_iii.has_dyn_sized_stack, 0
	.set _ZL13mul_mat_vec_qIfLi256ELi8E11block_iq1_sLi1EXadL_ZL18vec_dot_iq1_s_q8_1PKvPK10block_q8_1RKiEEEvS2_S2_PT_iii.has_recursion, 0
	.set _ZL13mul_mat_vec_qIfLi256ELi8E11block_iq1_sLi1EXadL_ZL18vec_dot_iq1_s_q8_1PKvPK10block_q8_1RKiEEEvS2_S2_PT_iii.has_indirect_call, 0
	.section	.AMDGPU.csdata,"",@progbits
; Kernel info:
; codeLenInByte = 988
; TotalNumSgprs: 18
; NumVgprs: 28
; ScratchSize: 0
; MemoryBound: 0
; FloatMode: 240
; IeeeMode: 1
; LDSByteSize: 0 bytes/workgroup (compile time only)
; SGPRBlocks: 2
; VGPRBlocks: 6
; NumSGPRsForWavesPerEU: 18
; NumVGPRsForWavesPerEU: 28
; Occupancy: 9
; WaveLimiterHint : 0
; COMPUTE_PGM_RSRC2:SCRATCH_EN: 0
; COMPUTE_PGM_RSRC2:USER_SGPR: 6
; COMPUTE_PGM_RSRC2:TRAP_HANDLER: 0
; COMPUTE_PGM_RSRC2:TGID_X_EN: 1
; COMPUTE_PGM_RSRC2:TGID_Y_EN: 1
; COMPUTE_PGM_RSRC2:TGID_Z_EN: 0
; COMPUTE_PGM_RSRC2:TIDIG_COMP_CNT: 1
	.section	.text._ZL13mul_mat_vec_qIfLi32ELi4E12block_iq4_nlLi2EXadL_ZL19vec_dot_iq4_nl_q8_1PKvPK10block_q8_1RKiEEEvS2_S2_PT_iii,"axG",@progbits,_ZL13mul_mat_vec_qIfLi32ELi4E12block_iq4_nlLi2EXadL_ZL19vec_dot_iq4_nl_q8_1PKvPK10block_q8_1RKiEEEvS2_S2_PT_iii,comdat
	.globl	_ZL13mul_mat_vec_qIfLi32ELi4E12block_iq4_nlLi2EXadL_ZL19vec_dot_iq4_nl_q8_1PKvPK10block_q8_1RKiEEEvS2_S2_PT_iii ; -- Begin function _ZL13mul_mat_vec_qIfLi32ELi4E12block_iq4_nlLi2EXadL_ZL19vec_dot_iq4_nl_q8_1PKvPK10block_q8_1RKiEEEvS2_S2_PT_iii
	.p2align	8
	.type	_ZL13mul_mat_vec_qIfLi32ELi4E12block_iq4_nlLi2EXadL_ZL19vec_dot_iq4_nl_q8_1PKvPK10block_q8_1RKiEEEvS2_S2_PT_iii,@function
_ZL13mul_mat_vec_qIfLi32ELi4E12block_iq4_nlLi2EXadL_ZL19vec_dot_iq4_nl_q8_1PKvPK10block_q8_1RKiEEEvS2_S2_PT_iii: ; @_ZL13mul_mat_vec_qIfLi32ELi4E12block_iq4_nlLi2EXadL_ZL19vec_dot_iq4_nl_q8_1PKvPK10block_q8_1RKiEEEvS2_S2_PT_iii
; %bb.0:
	s_load_dword s8, s[4:5], 0x34
	s_load_dwordx4 s[0:3], s[4:5], 0x18
	s_waitcnt lgkmcnt(0)
	s_lshr_b32 s3, s8, 16
	s_mul_i32 s6, s6, s3
	v_add_u32_e32 v5, s6, v1
	s_cmp_lt_u32 s7, s2
	v_cmp_gt_u32_e32 vcc, s1, v5
	s_cselect_b64 s[2:3], -1, 0
	s_and_b64 s[2:3], s[2:3], vcc
	s_and_saveexec_b64 s[8:9], s[2:3]
	s_cbranch_execz .LBB72_7
; %bb.1:
	s_load_dwordx2 s[2:3], s[4:5], 0x10
	s_ashr_i32 s6, s0, 31
	s_lshr_b32 s6, s6, 27
	s_add_i32 s6, s0, s6
	s_ashr_i32 s6, s6, 5
	v_lshrrev_b32_e32 v7, 1, v0
	v_cmp_gt_u32_e32 vcc, s6, v7
	v_mov_b32_e32 v6, 0
	s_and_saveexec_b64 s[12:13], vcc
	s_cbranch_execz .LBB72_5
; %bb.2:
	s_addk_i32 s0, 0x1ff
	s_load_dwordx4 s[8:11], s[4:5], 0x0
	s_ashr_i32 s4, s0, 31
	s_lshr_b32 s4, s4, 23
	s_add_i32 s0, s0, s4
	v_mul_lo_u32 v8, v5, s6
	v_lshlrev_b32_e32 v1, 1, v0
	s_ashr_i32 s0, s0, 9
	v_and_b32_e32 v1, 2, v1
	s_mul_i32 s0, s7, s0
	v_lshlrev_b32_e32 v2, 1, v1
	s_lshl_b32 s0, s0, 4
	v_mov_b32_e32 v6, 0
	s_mov_b64 s[4:5], 0
	v_lshlrev_b32_e32 v9, 1, v2
	v_lshlrev_b32_e32 v10, 2, v1
.LBB72_3:                               ; =>This Inner Loop Header: Depth=1
	v_add_u32_e32 v1, v8, v7
	s_waitcnt lgkmcnt(0)
	v_mad_i64_i32 v[3:4], s[14:15], v1, 18, s[8:9]
	v_add_u32_e32 v2, s0, v7
	v_mad_i64_i32 v[1:2], s[14:15], v2, 36, s[10:11]
	v_add_co_u32_e32 v11, vcc, v3, v9
	v_addc_co_u32_e32 v12, vcc, 0, v4, vcc
	global_load_dwordx2 v[11:12], v[11:12], off offset:2
	s_getpc_b64 s[14:15]
	s_add_u32 s14, s14, _ZL13kvalues_iq4nl@rel32@lo+4
	s_addc_u32 s15, s15, _ZL13kvalues_iq4nl@rel32@hi+12
	v_add_co_u32_e32 v13, vcc, v1, v10
	v_addc_co_u32_e32 v14, vcc, 0, v2, vcc
	v_add_u32_e32 v7, 32, v7
	v_cmp_le_u32_e32 vcc, s6, v7
	s_or_b64 s[4:5], vcc, s[4:5]
	s_waitcnt vmcnt(0)
	v_and_b32_e32 v16, 15, v11
	v_bfe_u32 v17, v11, 8, 4
	v_bfe_u32 v18, v11, 16, 4
	;; [unrolled: 1-line block ×3, first 2 shown]
	global_load_ubyte v16, v16, s[14:15]
	s_nop 0
	global_load_ubyte v17, v17, s[14:15]
	s_nop 0
	global_load_ubyte v19, v18, s[14:15]
	global_load_ubyte v20, v15, s[14:15]
	s_waitcnt vmcnt(1)
	v_lshlrev_b32_e32 v18, 16, v19
	s_waitcnt vmcnt(0)
	v_lshlrev_b32_e32 v15, 24, v20
	v_lshl_or_b32 v16, v17, 8, v16
	v_or3_b32 v17, v16, v18, v15
	v_bfe_u32 v15, v11, 12, 4
	v_bfe_u32 v16, v11, 20, 4
	v_lshrrev_b32_e32 v18, 28, v11
	v_bfe_u32 v11, v11, 4, 4
	global_load_ubyte v19, v11, s[14:15]
	global_load_ubyte v20, v15, s[14:15]
	;; [unrolled: 1-line block ×4, first 2 shown]
	v_bfe_u32 v18, v12, 8, 4
	global_load_ubyte v18, v18, s[14:15]
	s_waitcnt vmcnt(3)
	v_lshl_or_b32 v16, v20, 8, v19
	s_waitcnt vmcnt(2)
	v_lshlrev_b32_e32 v15, 16, v21
	s_waitcnt vmcnt(1)
	v_lshlrev_b32_e32 v11, 24, v22
	v_or3_b32 v11, v16, v15, v11
	global_load_dwordx2 v[15:16], v[13:14], off offset:4
	v_bfe_u32 v19, v12, 16, 4
	global_load_dwordx2 v[13:14], v[13:14], off offset:20
	s_waitcnt vmcnt(1)
	v_dot4_i32_i8 v15, v17, v15, 0
	v_and_b32_e32 v17, 15, v12
	s_waitcnt vmcnt(0)
	v_dot4_i32_i8 v11, v11, v13, 0
	v_bfe_u32 v13, v12, 24, 4
	global_load_ubyte v17, v17, s[14:15]
	s_nop 0
	global_load_ubyte v20, v19, s[14:15]
	global_load_ubyte v21, v13, s[14:15]
	s_waitcnt vmcnt(1)
	v_lshlrev_b32_e32 v19, 16, v20
	s_waitcnt vmcnt(0)
	v_lshlrev_b32_e32 v13, 24, v21
	v_lshl_or_b32 v17, v18, 8, v17
	v_or3_b32 v13, v17, v19, v13
	v_bfe_u32 v17, v12, 12, 4
	v_bfe_u32 v18, v12, 20, 4
	v_lshrrev_b32_e32 v19, 28, v12
	v_bfe_u32 v12, v12, 4, 4
	global_load_ubyte v20, v12, s[14:15]
	global_load_ubyte v21, v17, s[14:15]
	;; [unrolled: 1-line block ×4, first 2 shown]
	v_dot4_i32_i8 v13, v13, v16, v15
	global_load_ushort v3, v[3:4], off
	s_waitcnt vmcnt(3)
	v_lshl_or_b32 v18, v21, 8, v20
	global_load_dword v1, v[1:2], off
	s_waitcnt vmcnt(2)
	v_lshlrev_b32_e32 v12, 24, v23
	v_lshlrev_b32_e32 v17, 16, v22
	v_or3_b32 v12, v18, v17, v12
	v_dot4_i32_i8 v11, v12, v14, v11
	s_waitcnt vmcnt(1)
	v_cvt_f32_f16_e32 v3, v3
	v_add_u32_e32 v2, v11, v13
	v_cvt_f32_i32_e32 v2, v2
	s_waitcnt vmcnt(0)
	v_cvt_f32_f16_e32 v1, v1
	v_mul_f32_e32 v1, v3, v1
	v_fmac_f32_e32 v6, v1, v2
	s_andn2_b64 exec, exec, s[4:5]
	s_cbranch_execnz .LBB72_3
; %bb.4:
	s_or_b64 exec, exec, s[4:5]
.LBB72_5:
	s_or_b64 exec, exec, s[12:13]
	v_mbcnt_lo_u32_b32 v1, -1, 0
	v_mbcnt_hi_u32_b32 v2, -1, v1
	v_and_b32_e32 v1, 64, v2
	v_add_u32_e32 v3, 64, v1
	v_xor_b32_e32 v1, 32, v2
	v_cmp_lt_i32_e32 vcc, v1, v3
	v_cndmask_b32_e32 v1, v2, v1, vcc
	v_lshlrev_b32_e32 v1, 2, v1
	ds_bpermute_b32 v1, v1, v6
	v_xor_b32_e32 v4, 16, v2
	v_cmp_lt_i32_e32 vcc, v4, v3
	v_cndmask_b32_e32 v4, v2, v4, vcc
	v_lshlrev_b32_e32 v4, 2, v4
	s_waitcnt lgkmcnt(0)
	v_add_f32_e32 v1, v6, v1
	ds_bpermute_b32 v4, v4, v1
	v_xor_b32_e32 v6, 8, v2
	v_cmp_lt_i32_e32 vcc, v6, v3
	s_waitcnt lgkmcnt(0)
	v_add_f32_e32 v1, v1, v4
	v_cndmask_b32_e32 v4, v2, v6, vcc
	v_lshlrev_b32_e32 v4, 2, v4
	ds_bpermute_b32 v4, v4, v1
	v_xor_b32_e32 v6, 4, v2
	v_cmp_lt_i32_e32 vcc, v6, v3
	s_waitcnt lgkmcnt(0)
	v_add_f32_e32 v1, v1, v4
	v_cndmask_b32_e32 v4, v2, v6, vcc
	v_lshlrev_b32_e32 v4, 2, v4
	;; [unrolled: 7-line block ×3, first 2 shown]
	ds_bpermute_b32 v4, v4, v1
	v_xor_b32_e32 v6, 1, v2
	v_cmp_lt_i32_e32 vcc, v6, v3
	v_cndmask_b32_e32 v2, v2, v6, vcc
	v_lshlrev_b32_e32 v2, 2, v2
	s_waitcnt lgkmcnt(0)
	v_add_f32_e32 v1, v1, v4
	ds_bpermute_b32 v2, v2, v1
	v_cmp_eq_u32_e32 vcc, 0, v0
	s_and_b64 exec, exec, vcc
	s_cbranch_execz .LBB72_7
; %bb.6:
	s_mul_i32 s0, s1, s7
	s_waitcnt lgkmcnt(0)
	v_add_f32_e32 v2, v1, v2
	v_add_u32_e32 v0, s0, v5
	v_mov_b32_e32 v1, 0
	v_lshlrev_b64 v[0:1], 2, v[0:1]
	v_mov_b32_e32 v3, s3
	v_add_co_u32_e32 v0, vcc, s2, v0
	v_addc_co_u32_e32 v1, vcc, v3, v1, vcc
	global_store_dword v[0:1], v2, off
.LBB72_7:
	s_endpgm
	.section	.rodata,"a",@progbits
	.p2align	6, 0x0
	.amdhsa_kernel _ZL13mul_mat_vec_qIfLi32ELi4E12block_iq4_nlLi2EXadL_ZL19vec_dot_iq4_nl_q8_1PKvPK10block_q8_1RKiEEEvS2_S2_PT_iii
		.amdhsa_group_segment_fixed_size 0
		.amdhsa_private_segment_fixed_size 0
		.amdhsa_kernarg_size 296
		.amdhsa_user_sgpr_count 6
		.amdhsa_user_sgpr_private_segment_buffer 1
		.amdhsa_user_sgpr_dispatch_ptr 0
		.amdhsa_user_sgpr_queue_ptr 0
		.amdhsa_user_sgpr_kernarg_segment_ptr 1
		.amdhsa_user_sgpr_dispatch_id 0
		.amdhsa_user_sgpr_flat_scratch_init 0
		.amdhsa_user_sgpr_private_segment_size 0
		.amdhsa_uses_dynamic_stack 0
		.amdhsa_system_sgpr_private_segment_wavefront_offset 0
		.amdhsa_system_sgpr_workgroup_id_x 1
		.amdhsa_system_sgpr_workgroup_id_y 1
		.amdhsa_system_sgpr_workgroup_id_z 0
		.amdhsa_system_sgpr_workgroup_info 0
		.amdhsa_system_vgpr_workitem_id 1
		.amdhsa_next_free_vgpr 24
		.amdhsa_next_free_sgpr 16
		.amdhsa_reserve_vcc 1
		.amdhsa_reserve_flat_scratch 0
		.amdhsa_float_round_mode_32 0
		.amdhsa_float_round_mode_16_64 0
		.amdhsa_float_denorm_mode_32 3
		.amdhsa_float_denorm_mode_16_64 3
		.amdhsa_dx10_clamp 1
		.amdhsa_ieee_mode 1
		.amdhsa_fp16_overflow 0
		.amdhsa_exception_fp_ieee_invalid_op 0
		.amdhsa_exception_fp_denorm_src 0
		.amdhsa_exception_fp_ieee_div_zero 0
		.amdhsa_exception_fp_ieee_overflow 0
		.amdhsa_exception_fp_ieee_underflow 0
		.amdhsa_exception_fp_ieee_inexact 0
		.amdhsa_exception_int_div_zero 0
	.end_amdhsa_kernel
	.section	.text._ZL13mul_mat_vec_qIfLi32ELi4E12block_iq4_nlLi2EXadL_ZL19vec_dot_iq4_nl_q8_1PKvPK10block_q8_1RKiEEEvS2_S2_PT_iii,"axG",@progbits,_ZL13mul_mat_vec_qIfLi32ELi4E12block_iq4_nlLi2EXadL_ZL19vec_dot_iq4_nl_q8_1PKvPK10block_q8_1RKiEEEvS2_S2_PT_iii,comdat
.Lfunc_end72:
	.size	_ZL13mul_mat_vec_qIfLi32ELi4E12block_iq4_nlLi2EXadL_ZL19vec_dot_iq4_nl_q8_1PKvPK10block_q8_1RKiEEEvS2_S2_PT_iii, .Lfunc_end72-_ZL13mul_mat_vec_qIfLi32ELi4E12block_iq4_nlLi2EXadL_ZL19vec_dot_iq4_nl_q8_1PKvPK10block_q8_1RKiEEEvS2_S2_PT_iii
                                        ; -- End function
	.set _ZL13mul_mat_vec_qIfLi32ELi4E12block_iq4_nlLi2EXadL_ZL19vec_dot_iq4_nl_q8_1PKvPK10block_q8_1RKiEEEvS2_S2_PT_iii.num_vgpr, 24
	.set _ZL13mul_mat_vec_qIfLi32ELi4E12block_iq4_nlLi2EXadL_ZL19vec_dot_iq4_nl_q8_1PKvPK10block_q8_1RKiEEEvS2_S2_PT_iii.num_agpr, 0
	.set _ZL13mul_mat_vec_qIfLi32ELi4E12block_iq4_nlLi2EXadL_ZL19vec_dot_iq4_nl_q8_1PKvPK10block_q8_1RKiEEEvS2_S2_PT_iii.numbered_sgpr, 16
	.set _ZL13mul_mat_vec_qIfLi32ELi4E12block_iq4_nlLi2EXadL_ZL19vec_dot_iq4_nl_q8_1PKvPK10block_q8_1RKiEEEvS2_S2_PT_iii.num_named_barrier, 0
	.set _ZL13mul_mat_vec_qIfLi32ELi4E12block_iq4_nlLi2EXadL_ZL19vec_dot_iq4_nl_q8_1PKvPK10block_q8_1RKiEEEvS2_S2_PT_iii.private_seg_size, 0
	.set _ZL13mul_mat_vec_qIfLi32ELi4E12block_iq4_nlLi2EXadL_ZL19vec_dot_iq4_nl_q8_1PKvPK10block_q8_1RKiEEEvS2_S2_PT_iii.uses_vcc, 1
	.set _ZL13mul_mat_vec_qIfLi32ELi4E12block_iq4_nlLi2EXadL_ZL19vec_dot_iq4_nl_q8_1PKvPK10block_q8_1RKiEEEvS2_S2_PT_iii.uses_flat_scratch, 0
	.set _ZL13mul_mat_vec_qIfLi32ELi4E12block_iq4_nlLi2EXadL_ZL19vec_dot_iq4_nl_q8_1PKvPK10block_q8_1RKiEEEvS2_S2_PT_iii.has_dyn_sized_stack, 0
	.set _ZL13mul_mat_vec_qIfLi32ELi4E12block_iq4_nlLi2EXadL_ZL19vec_dot_iq4_nl_q8_1PKvPK10block_q8_1RKiEEEvS2_S2_PT_iii.has_recursion, 0
	.set _ZL13mul_mat_vec_qIfLi32ELi4E12block_iq4_nlLi2EXadL_ZL19vec_dot_iq4_nl_q8_1PKvPK10block_q8_1RKiEEEvS2_S2_PT_iii.has_indirect_call, 0
	.section	.AMDGPU.csdata,"",@progbits
; Kernel info:
; codeLenInByte = 1036
; TotalNumSgprs: 20
; NumVgprs: 24
; ScratchSize: 0
; MemoryBound: 0
; FloatMode: 240
; IeeeMode: 1
; LDSByteSize: 0 bytes/workgroup (compile time only)
; SGPRBlocks: 2
; VGPRBlocks: 5
; NumSGPRsForWavesPerEU: 20
; NumVGPRsForWavesPerEU: 24
; Occupancy: 10
; WaveLimiterHint : 0
; COMPUTE_PGM_RSRC2:SCRATCH_EN: 0
; COMPUTE_PGM_RSRC2:USER_SGPR: 6
; COMPUTE_PGM_RSRC2:TRAP_HANDLER: 0
; COMPUTE_PGM_RSRC2:TGID_X_EN: 1
; COMPUTE_PGM_RSRC2:TGID_Y_EN: 1
; COMPUTE_PGM_RSRC2:TGID_Z_EN: 0
; COMPUTE_PGM_RSRC2:TIDIG_COMP_CNT: 1
	.section	.text._ZL13mul_mat_vec_qIfLi256ELi8E11block_iq3_sLi1EXadL_ZL18vec_dot_iq3_s_q8_1PKvPK10block_q8_1RKiEEEvS2_S2_PT_iii,"axG",@progbits,_ZL13mul_mat_vec_qIfLi256ELi8E11block_iq3_sLi1EXadL_ZL18vec_dot_iq3_s_q8_1PKvPK10block_q8_1RKiEEEvS2_S2_PT_iii,comdat
	.globl	_ZL13mul_mat_vec_qIfLi256ELi8E11block_iq3_sLi1EXadL_ZL18vec_dot_iq3_s_q8_1PKvPK10block_q8_1RKiEEEvS2_S2_PT_iii ; -- Begin function _ZL13mul_mat_vec_qIfLi256ELi8E11block_iq3_sLi1EXadL_ZL18vec_dot_iq3_s_q8_1PKvPK10block_q8_1RKiEEEvS2_S2_PT_iii
	.p2align	8
	.type	_ZL13mul_mat_vec_qIfLi256ELi8E11block_iq3_sLi1EXadL_ZL18vec_dot_iq3_s_q8_1PKvPK10block_q8_1RKiEEEvS2_S2_PT_iii,@function
_ZL13mul_mat_vec_qIfLi256ELi8E11block_iq3_sLi1EXadL_ZL18vec_dot_iq3_s_q8_1PKvPK10block_q8_1RKiEEEvS2_S2_PT_iii: ; @_ZL13mul_mat_vec_qIfLi256ELi8E11block_iq3_sLi1EXadL_ZL18vec_dot_iq3_s_q8_1PKvPK10block_q8_1RKiEEEvS2_S2_PT_iii
; %bb.0:
	s_load_dword s0, s[4:5], 0x34
	s_load_dwordx4 s[8:11], s[4:5], 0x18
	s_waitcnt lgkmcnt(0)
	s_lshr_b32 s0, s0, 16
	s_mul_i32 s6, s6, s0
	v_add_u32_e32 v19, s6, v1
	s_cmp_lt_u32 s7, s10
	v_cmp_gt_u32_e32 vcc, s9, v19
	s_cselect_b64 s[0:1], -1, 0
	s_and_b64 s[0:1], s[0:1], vcc
	s_and_saveexec_b64 s[2:3], s[0:1]
	s_cbranch_execz .LBB73_9
; %bb.1:
	s_load_dwordx2 s[10:11], s[4:5], 0x10
	s_ashr_i32 s0, s8, 31
	s_lshr_b32 s0, s0, 24
	s_add_i32 s0, s8, s0
	s_ashr_i32 s6, s0, 8
	v_lshrrev_b32_e32 v21, 3, v0
	v_cmp_gt_u32_e32 vcc, s6, v21
	v_mov_b32_e32 v20, 0
	s_and_saveexec_b64 s[12:13], vcc
	s_cbranch_execz .LBB73_7
; %bb.2:
	s_load_dwordx4 s[0:3], s[4:5], 0x0
	v_and_b32_e32 v23, 7, v0
	v_lshlrev_b32_e32 v3, 2, v0
	v_and_b32_e32 v25, 4, v3
	v_lshlrev_b32_e32 v3, 2, v23
	s_waitcnt lgkmcnt(0)
	v_mad_u64_u32 v[1:2], s[2:3], v23, 36, s[2:3]
	v_mov_b32_e32 v4, s1
	v_add_co_u32_e32 v3, vcc, s0, v3
	s_add_i32 s4, s8, 0x1ff
	v_addc_co_u32_e32 v4, vcc, 0, v4, vcc
	s_movk_i32 s2, 0x4a
	s_ashr_i32 s5, s4, 31
	v_add_co_u32_e32 v3, vcc, s2, v3
	s_lshr_b32 s5, s5, 23
	v_mul_lo_u32 v22, v19, s6
	v_lshlrev_b32_e32 v5, 3, v23
	v_addc_co_u32_e32 v4, vcc, 0, v4, vcc
	s_add_i32 s4, s4, s5
	v_mov_b32_e32 v6, s1
	v_add_co_u32_e32 v5, vcc, s0, v5
	s_ashr_i32 s4, s4, 9
	v_addc_co_u32_e32 v6, vcc, 0, v6, vcc
	s_mul_i32 s4, s7, s4
	v_add_co_u32_e32 v5, vcc, 2, v5
	v_mov_b32_e32 v8, s1
	s_lshl_b32 s8, s4, 4
	v_mov_b32_e32 v20, 0
	v_bfe_u32 v24, v0, 1, 2
	v_add_u32_e32 v26, v21, v22
	v_addc_co_u32_e32 v6, vcc, 0, v6, vcc
	s_mov_b64 s[14:15], 0
	s_movk_i32 s16, 0x6e
	s_movk_i32 s17, 0x100
	s_mov_b32 s18, 0x1010101
	s_mov_b32 s19, 0x1000000
	;; [unrolled: 1-line block ×3, first 2 shown]
	v_mov_b32_e32 v7, s0
	v_mov_b32_e32 v27, 0xff0000
	;; [unrolled: 1-line block ×4, first 2 shown]
.LBB73_3:                               ; =>This Loop Header: Depth=1
                                        ;     Child Loop BB73_4 Depth 2
	v_add_u32_e32 v9, v21, v22
	v_mad_i64_i32 v[9:10], s[0:1], v9, s16, v[7:8]
	v_mad_i64_i32 v[13:14], s[0:1], v26, s16, v[3:4]
	v_add_co_u32_e32 v11, vcc, v9, v23
	v_addc_co_u32_e32 v12, vcc, 0, v10, vcc
	global_load_ubyte v31, v[11:12], off offset:66
	v_lshl_add_u32 v11, v21, 3, s8
	v_mad_i64_i32 v[11:12], s[0:1], v11, 36, v[1:2]
	v_mad_i64_i32 v[15:16], s[0:1], v26, s16, v[5:6]
	v_add_co_u32_e32 v17, vcc, 4, v11
	v_addc_co_u32_e32 v18, vcc, 0, v12, vcc
	s_mov_b32 s21, 7
	v_mov_b32_e32 v30, 0
.LBB73_4:                               ;   Parent Loop BB73_3 Depth=1
                                        ; =>  This Inner Loop Header: Depth=2
	global_load_ushort v32, v[15:16], off
	global_load_ubyte v34, v[13:14], off
	s_add_i32 s2, s21, 1
	s_waitcnt vmcnt(2)
	v_lshlrev_b32_e32 v33, s21, v31
	v_lshlrev_b32_e32 v35, s2, v31
	s_getpc_b64 s[0:1]
	s_add_u32 s0, s0, _ZL10iq3xs_grid@rel32@lo+4
	s_addc_u32 s1, s1, _ZL10iq3xs_grid@rel32@hi+12
	v_add_co_u32_e64 v15, s[2:3], 2, v15
	s_add_i32 s21, s21, -2
	s_cmp_lg_u32 s21, -1
	s_waitcnt vmcnt(1)
	v_and_b32_e32 v36, 0xff, v32
	v_lshrrev_b16_e32 v32, 8, v32
	v_and_or_b32 v35, v35, s17, v36
	v_and_or_b32 v32, v33, s17, v32
	v_lshlrev_b32_e32 v33, 2, v35
	v_lshlrev_b32_e32 v32, 2, v32
	global_load_dword v35, v33, s[0:1]
	global_load_dword v36, v32, s[0:1]
	s_nop 0
	global_load_dwordx2 v[32:33], v[17:18], off
	s_waitcnt vmcnt(3)
	v_and_b32_e32 v37, 15, v34
	v_lshrrev_b16_e32 v34, 4, v34
	v_and_b32_e32 v37, 0xffff, v37
	v_mul_lo_u32 v34, v34, s18
	v_mul_lo_u32 v37, v37, s18
	v_add_co_u32_e32 v17, vcc, 8, v17
	v_add_co_u32_e64 v13, s[0:1], 1, v13
	v_not_b32_e32 v34, v34
	v_addc_co_u32_e32 v18, vcc, 0, v18, vcc
	v_addc_co_u32_e64 v14, vcc, 0, v14, s[0:1]
	v_addc_co_u32_e64 v16, vcc, 0, v16, s[2:3]
	v_not_b32_e32 v37, v37
	v_and_b32_e32 v38, 0x8040201, v34
	v_and_b32_e32 v39, 0x40000, v34
	;; [unrolled: 1-line block ×8, first 2 shown]
	v_cmp_gt_u32_e32 vcc, s19, v38
	v_cmp_eq_u32_e64 s[2:3], 0, v40
	v_cmp_eq_u32_e64 s[4:5], 0, v34
	;; [unrolled: 1-line block ×3, first 2 shown]
	v_cndmask_b32_e64 v34, 0, -1, vcc
	v_cndmask_b32_e64 v39, 0, v28, s[2:3]
	v_cndmask_b32_e64 v40, 0, v29, s[4:5]
	v_cmp_gt_u32_e32 vcc, s19, v41
	v_cmp_eq_u32_e64 s[2:3], 0, v43
	v_cmp_eq_u32_e64 s[4:5], 0, v37
	v_cndmask_b32_e64 v38, 0, v27, s[0:1]
	v_cmp_eq_u32_e64 s[0:1], 0, v42
	v_cndmask_b32_e64 v37, 0, -1, vcc
	v_cndmask_b32_e64 v42, 0, v28, s[2:3]
	v_cndmask_b32_e64 v43, 0, v29, s[4:5]
	;; [unrolled: 1-line block ×3, first 2 shown]
	v_lshlrev_b32_e32 v37, 24, v37
	v_or_b32_e32 v45, v42, v43
	v_lshlrev_b32_e32 v34, 24, v34
	v_or_b32_e32 v44, v39, v40
	v_or3_b32 v45, v45, v41, v37
	v_or3_b32 v44, v44, v38, v34
	s_waitcnt vmcnt(2)
	v_xor_b32_e32 v35, v45, v35
	s_waitcnt vmcnt(1)
	v_xor_b32_e32 v36, v44, v36
	v_sub_u32_e32 v37, v35, v37
	v_sub_u32_e32 v41, v35, v41
	;; [unrolled: 1-line block ×8, first 2 shown]
	v_and_b32_e32 v37, 0xff000000, v37
	v_and_b32_e32 v40, 0xff00, v42
	v_perm_b32 v35, v41, v35, s20
	v_and_b32_e32 v34, 0xff000000, v34
	v_and_b32_e32 v39, 0xff00, v39
	v_perm_b32 v36, v38, v36, s20
	v_or3_b32 v35, v35, v37, v40
	v_or3_b32 v34, v36, v34, v39
	s_waitcnt vmcnt(0)
	v_dot4_i32_i8 v30, v35, v32, v30
	v_dot4_i32_i8 v30, v34, v33, v30
	s_cbranch_scc1 .LBB73_4
; %bb.5:                                ;   in Loop: Header=BB73_3 Depth=1
	global_load_ushort v13, v[9:10], off
	v_add_co_u32_e32 v9, vcc, v9, v24
	v_addc_co_u32_e32 v10, vcc, 0, v10, vcc
	global_load_dword v14, v[11:12], off
	global_load_ubyte v15, v[9:10], off offset:106
	v_cvt_f32_i32_e32 v9, v30
	v_add_u32_e32 v21, 8, v21
	v_cmp_le_u32_e32 vcc, s6, v21
	s_or_b64 s[14:15], vcc, s[14:15]
	v_add_u32_e32 v26, 8, v26
	s_waitcnt vmcnt(2)
	v_cvt_f32_f16_e32 v10, v13
	s_waitcnt vmcnt(1)
	v_cvt_f32_f16_e32 v11, v14
	s_waitcnt vmcnt(0)
	v_bfe_u32 v12, v15, v25, 4
	v_cvt_f32_ubyte0_e32 v12, v12
	v_add_f32_e32 v12, 0.5, v12
	v_mul_f32_e32 v10, v12, v10
	v_mul_f32_e32 v10, v10, v11
	v_mul_f32_e32 v10, 0.5, v10
	v_fmac_f32_e32 v20, v10, v9
	s_andn2_b64 exec, exec, s[14:15]
	s_cbranch_execnz .LBB73_3
; %bb.6:
	s_or_b64 exec, exec, s[14:15]
.LBB73_7:
	s_or_b64 exec, exec, s[12:13]
	v_mbcnt_lo_u32_b32 v1, -1, 0
	v_mbcnt_hi_u32_b32 v2, -1, v1
	v_and_b32_e32 v1, 64, v2
	v_add_u32_e32 v3, 64, v1
	v_xor_b32_e32 v1, 32, v2
	v_cmp_lt_i32_e32 vcc, v1, v3
	v_cndmask_b32_e32 v1, v2, v1, vcc
	v_lshlrev_b32_e32 v1, 2, v1
	ds_bpermute_b32 v1, v1, v20
	v_xor_b32_e32 v4, 16, v2
	v_cmp_lt_i32_e32 vcc, v4, v3
	v_cndmask_b32_e32 v4, v2, v4, vcc
	v_lshlrev_b32_e32 v4, 2, v4
	s_waitcnt lgkmcnt(0)
	v_add_f32_e32 v1, v20, v1
	ds_bpermute_b32 v4, v4, v1
	v_xor_b32_e32 v5, 8, v2
	v_cmp_lt_i32_e32 vcc, v5, v3
	s_waitcnt lgkmcnt(0)
	v_add_f32_e32 v1, v1, v4
	v_cndmask_b32_e32 v4, v2, v5, vcc
	v_lshlrev_b32_e32 v4, 2, v4
	ds_bpermute_b32 v4, v4, v1
	v_xor_b32_e32 v5, 4, v2
	v_cmp_lt_i32_e32 vcc, v5, v3
	s_waitcnt lgkmcnt(0)
	v_add_f32_e32 v1, v1, v4
	v_cndmask_b32_e32 v4, v2, v5, vcc
	v_lshlrev_b32_e32 v4, 2, v4
	;; [unrolled: 7-line block ×3, first 2 shown]
	ds_bpermute_b32 v4, v4, v1
	v_xor_b32_e32 v5, 1, v2
	v_cmp_lt_i32_e32 vcc, v5, v3
	v_cndmask_b32_e32 v2, v2, v5, vcc
	v_lshlrev_b32_e32 v2, 2, v2
	s_waitcnt lgkmcnt(0)
	v_add_f32_e32 v1, v1, v4
	ds_bpermute_b32 v2, v2, v1
	v_cmp_eq_u32_e32 vcc, 0, v0
	s_and_b64 exec, exec, vcc
	s_cbranch_execz .LBB73_9
; %bb.8:
	s_mul_i32 s0, s9, s7
	s_waitcnt lgkmcnt(0)
	v_add_f32_e32 v2, v1, v2
	v_add_u32_e32 v0, s0, v19
	v_mov_b32_e32 v1, 0
	v_lshlrev_b64 v[0:1], 2, v[0:1]
	v_mov_b32_e32 v3, s11
	v_add_co_u32_e32 v0, vcc, s10, v0
	v_addc_co_u32_e32 v1, vcc, v3, v1, vcc
	global_store_dword v[0:1], v2, off
.LBB73_9:
	s_endpgm
	.section	.rodata,"a",@progbits
	.p2align	6, 0x0
	.amdhsa_kernel _ZL13mul_mat_vec_qIfLi256ELi8E11block_iq3_sLi1EXadL_ZL18vec_dot_iq3_s_q8_1PKvPK10block_q8_1RKiEEEvS2_S2_PT_iii
		.amdhsa_group_segment_fixed_size 0
		.amdhsa_private_segment_fixed_size 0
		.amdhsa_kernarg_size 296
		.amdhsa_user_sgpr_count 6
		.amdhsa_user_sgpr_private_segment_buffer 1
		.amdhsa_user_sgpr_dispatch_ptr 0
		.amdhsa_user_sgpr_queue_ptr 0
		.amdhsa_user_sgpr_kernarg_segment_ptr 1
		.amdhsa_user_sgpr_dispatch_id 0
		.amdhsa_user_sgpr_flat_scratch_init 0
		.amdhsa_user_sgpr_private_segment_size 0
		.amdhsa_uses_dynamic_stack 0
		.amdhsa_system_sgpr_private_segment_wavefront_offset 0
		.amdhsa_system_sgpr_workgroup_id_x 1
		.amdhsa_system_sgpr_workgroup_id_y 1
		.amdhsa_system_sgpr_workgroup_id_z 0
		.amdhsa_system_sgpr_workgroup_info 0
		.amdhsa_system_vgpr_workitem_id 1
		.amdhsa_next_free_vgpr 46
		.amdhsa_next_free_sgpr 22
		.amdhsa_reserve_vcc 1
		.amdhsa_reserve_flat_scratch 0
		.amdhsa_float_round_mode_32 0
		.amdhsa_float_round_mode_16_64 0
		.amdhsa_float_denorm_mode_32 3
		.amdhsa_float_denorm_mode_16_64 3
		.amdhsa_dx10_clamp 1
		.amdhsa_ieee_mode 1
		.amdhsa_fp16_overflow 0
		.amdhsa_exception_fp_ieee_invalid_op 0
		.amdhsa_exception_fp_denorm_src 0
		.amdhsa_exception_fp_ieee_div_zero 0
		.amdhsa_exception_fp_ieee_overflow 0
		.amdhsa_exception_fp_ieee_underflow 0
		.amdhsa_exception_fp_ieee_inexact 0
		.amdhsa_exception_int_div_zero 0
	.end_amdhsa_kernel
	.section	.text._ZL13mul_mat_vec_qIfLi256ELi8E11block_iq3_sLi1EXadL_ZL18vec_dot_iq3_s_q8_1PKvPK10block_q8_1RKiEEEvS2_S2_PT_iii,"axG",@progbits,_ZL13mul_mat_vec_qIfLi256ELi8E11block_iq3_sLi1EXadL_ZL18vec_dot_iq3_s_q8_1PKvPK10block_q8_1RKiEEEvS2_S2_PT_iii,comdat
.Lfunc_end73:
	.size	_ZL13mul_mat_vec_qIfLi256ELi8E11block_iq3_sLi1EXadL_ZL18vec_dot_iq3_s_q8_1PKvPK10block_q8_1RKiEEEvS2_S2_PT_iii, .Lfunc_end73-_ZL13mul_mat_vec_qIfLi256ELi8E11block_iq3_sLi1EXadL_ZL18vec_dot_iq3_s_q8_1PKvPK10block_q8_1RKiEEEvS2_S2_PT_iii
                                        ; -- End function
	.set _ZL13mul_mat_vec_qIfLi256ELi8E11block_iq3_sLi1EXadL_ZL18vec_dot_iq3_s_q8_1PKvPK10block_q8_1RKiEEEvS2_S2_PT_iii.num_vgpr, 46
	.set _ZL13mul_mat_vec_qIfLi256ELi8E11block_iq3_sLi1EXadL_ZL18vec_dot_iq3_s_q8_1PKvPK10block_q8_1RKiEEEvS2_S2_PT_iii.num_agpr, 0
	.set _ZL13mul_mat_vec_qIfLi256ELi8E11block_iq3_sLi1EXadL_ZL18vec_dot_iq3_s_q8_1PKvPK10block_q8_1RKiEEEvS2_S2_PT_iii.numbered_sgpr, 22
	.set _ZL13mul_mat_vec_qIfLi256ELi8E11block_iq3_sLi1EXadL_ZL18vec_dot_iq3_s_q8_1PKvPK10block_q8_1RKiEEEvS2_S2_PT_iii.num_named_barrier, 0
	.set _ZL13mul_mat_vec_qIfLi256ELi8E11block_iq3_sLi1EXadL_ZL18vec_dot_iq3_s_q8_1PKvPK10block_q8_1RKiEEEvS2_S2_PT_iii.private_seg_size, 0
	.set _ZL13mul_mat_vec_qIfLi256ELi8E11block_iq3_sLi1EXadL_ZL18vec_dot_iq3_s_q8_1PKvPK10block_q8_1RKiEEEvS2_S2_PT_iii.uses_vcc, 1
	.set _ZL13mul_mat_vec_qIfLi256ELi8E11block_iq3_sLi1EXadL_ZL18vec_dot_iq3_s_q8_1PKvPK10block_q8_1RKiEEEvS2_S2_PT_iii.uses_flat_scratch, 0
	.set _ZL13mul_mat_vec_qIfLi256ELi8E11block_iq3_sLi1EXadL_ZL18vec_dot_iq3_s_q8_1PKvPK10block_q8_1RKiEEEvS2_S2_PT_iii.has_dyn_sized_stack, 0
	.set _ZL13mul_mat_vec_qIfLi256ELi8E11block_iq3_sLi1EXadL_ZL18vec_dot_iq3_s_q8_1PKvPK10block_q8_1RKiEEEvS2_S2_PT_iii.has_recursion, 0
	.set _ZL13mul_mat_vec_qIfLi256ELi8E11block_iq3_sLi1EXadL_ZL18vec_dot_iq3_s_q8_1PKvPK10block_q8_1RKiEEEvS2_S2_PT_iii.has_indirect_call, 0
	.section	.AMDGPU.csdata,"",@progbits
; Kernel info:
; codeLenInByte = 1332
; TotalNumSgprs: 26
; NumVgprs: 46
; ScratchSize: 0
; MemoryBound: 0
; FloatMode: 240
; IeeeMode: 1
; LDSByteSize: 0 bytes/workgroup (compile time only)
; SGPRBlocks: 3
; VGPRBlocks: 11
; NumSGPRsForWavesPerEU: 26
; NumVGPRsForWavesPerEU: 46
; Occupancy: 5
; WaveLimiterHint : 0
; COMPUTE_PGM_RSRC2:SCRATCH_EN: 0
; COMPUTE_PGM_RSRC2:USER_SGPR: 6
; COMPUTE_PGM_RSRC2:TRAP_HANDLER: 0
; COMPUTE_PGM_RSRC2:TGID_X_EN: 1
; COMPUTE_PGM_RSRC2:TGID_Y_EN: 1
; COMPUTE_PGM_RSRC2:TGID_Z_EN: 0
; COMPUTE_PGM_RSRC2:TIDIG_COMP_CNT: 1
	.section	.text._ZL13mul_mat_vec_qIfLi256ELi8E11block_iq2_sLi1EXadL_ZL18vec_dot_iq2_s_q8_1PKvPK10block_q8_1RKiEEEvS2_S2_PT_iii,"axG",@progbits,_ZL13mul_mat_vec_qIfLi256ELi8E11block_iq2_sLi1EXadL_ZL18vec_dot_iq2_s_q8_1PKvPK10block_q8_1RKiEEEvS2_S2_PT_iii,comdat
	.globl	_ZL13mul_mat_vec_qIfLi256ELi8E11block_iq2_sLi1EXadL_ZL18vec_dot_iq2_s_q8_1PKvPK10block_q8_1RKiEEEvS2_S2_PT_iii ; -- Begin function _ZL13mul_mat_vec_qIfLi256ELi8E11block_iq2_sLi1EXadL_ZL18vec_dot_iq2_s_q8_1PKvPK10block_q8_1RKiEEEvS2_S2_PT_iii
	.p2align	8
	.type	_ZL13mul_mat_vec_qIfLi256ELi8E11block_iq2_sLi1EXadL_ZL18vec_dot_iq2_s_q8_1PKvPK10block_q8_1RKiEEEvS2_S2_PT_iii,@function
_ZL13mul_mat_vec_qIfLi256ELi8E11block_iq2_sLi1EXadL_ZL18vec_dot_iq2_s_q8_1PKvPK10block_q8_1RKiEEEvS2_S2_PT_iii: ; @_ZL13mul_mat_vec_qIfLi256ELi8E11block_iq2_sLi1EXadL_ZL18vec_dot_iq2_s_q8_1PKvPK10block_q8_1RKiEEEvS2_S2_PT_iii
; %bb.0:
	s_load_dword s0, s[4:5], 0x34
	s_load_dwordx4 s[8:11], s[4:5], 0x18
	s_waitcnt lgkmcnt(0)
	s_lshr_b32 s0, s0, 16
	s_mul_i32 s6, s6, s0
	v_add_u32_e32 v11, s6, v1
	s_cmp_lt_u32 s7, s10
	v_cmp_gt_u32_e32 vcc, s9, v11
	s_cselect_b64 s[0:1], -1, 0
	s_and_b64 s[0:1], s[0:1], vcc
	s_and_saveexec_b64 s[2:3], s[0:1]
	s_cbranch_execz .LBB74_7
; %bb.1:
	s_load_dwordx2 s[2:3], s[4:5], 0x10
	s_ashr_i32 s0, s8, 31
	s_lshr_b32 s0, s0, 24
	s_add_i32 s0, s8, s0
	s_ashr_i32 s6, s0, 8
	v_lshrrev_b32_e32 v13, 3, v0
	v_cmp_gt_u32_e32 vcc, s6, v13
	v_mov_b32_e32 v12, 0
	s_and_saveexec_b64 s[10:11], vcc
	s_cbranch_execz .LBB74_5
; %bb.2:
	s_load_dwordx4 s[12:15], s[4:5], 0x0
	s_add_i32 s0, s8, 0x1ff
	s_ashr_i32 s1, s0, 31
	s_lshr_b32 s1, s1, 23
	s_add_i32 s0, s0, s1
	s_ashr_i32 s0, s0, 9
	v_and_b32_e32 v15, 7, v0
	s_mul_i32 s4, s7, s0
	v_mul_lo_u32 v14, v11, s6
	s_waitcnt lgkmcnt(0)
	v_mad_u64_u32 v[1:2], s[0:1], v15, 36, s[14:15]
	v_lshlrev_b32_e32 v3, 3, v13
	v_lshl_add_u32 v17, s4, 4, v3
	v_mov_b32_e32 v3, s12
	v_mov_b32_e32 v12, 0
	v_lshlrev_b32_e32 v16, 2, v15
	s_mov_b64 s[4:5], 0
	s_movk_i32 s8, 0x52
	v_mov_b32_e32 v4, s13
	s_movk_i32 s12, 0x300
	s_mov_b32 s13, 0x1010101
	s_mov_b32 s14, 0x1000000
	v_mov_b32_e32 v18, 0xff0000
	v_mov_b32_e32 v19, 0xff00
	;; [unrolled: 1-line block ×3, first 2 shown]
	s_mov_b32 s15, 0xc060c00
	v_mov_b32_e32 v21, 4
.LBB74_3:                               ; =>This Inner Loop Header: Depth=1
	v_add_u32_e32 v7, v14, v13
	v_mad_i64_i32 v[7:8], s[16:17], v7, s8, v[3:4]
	s_getpc_b64 s[0:1]
	s_add_u32 s0, s0, _ZL9iq2s_grid@rel32@lo+4
	s_addc_u32 s1, s1, _ZL9iq2s_grid@rel32@hi+12
	v_mad_i64_i32 v[5:6], s[16:17], v17, 36, v[1:2]
	v_add_co_u32_e32 v9, vcc, v7, v16
	v_addc_co_u32_e32 v10, vcc, 0, v8, vcc
	v_add_co_u32_e32 v24, vcc, v7, v15
	v_addc_co_u32_e32 v25, vcc, 0, v8, vcc
	global_load_ushort v23, v[7:8], off
	global_load_dword v26, v[9:10], off offset:2
	global_load_ubyte v27, v[24:25], off offset:66
	global_load_ubyte v22, v[24:25], off offset:74
	global_load_dword v28, v[9:10], off offset:34
	v_add_u32_e32 v13, 8, v13
	v_add_u32_e32 v17, 64, v17
	s_waitcnt vmcnt(4)
	v_cvt_f32_f16_e32 v23, v23
	s_waitcnt vmcnt(3)
	v_and_b32_e32 v7, 0xff, v26
	s_waitcnt vmcnt(2)
	v_lshlrev_b32_e32 v8, 8, v27
	v_bfe_u32 v9, v26, 8, 8
	v_lshlrev_b32_e32 v10, 6, v27
	s_waitcnt vmcnt(0)
	v_lshrrev_b16_e32 v25, 4, v28
	v_lshrrev_b32_e32 v30, 8, v28
	v_bfe_u32 v29, v28, 8, 4
	v_bfe_u32 v31, v26, 16, 8
	v_lshlrev_b32_e32 v32, 4, v27
	v_lshrrev_b32_e32 v26, 24, v26
	v_lshlrev_b32_e32 v27, 2, v27
	v_and_or_b32 v7, v8, s12, v7
	v_and_or_b32 v8, v10, s12, v9
	v_and_b32_e32 v9, 15, v25
	v_lshrrev_b16_e32 v10, 4, v30
	v_bfe_u32 v33, v28, 16, 4
	v_bfe_u32 v35, v28, 24, 4
	v_mul_lo_u32 v25, v29, s13
	v_and_or_b32 v29, v32, s12, v31
	v_and_or_b32 v26, v27, s12, v26
	v_and_b32_e32 v9, 0xffff, v9
	v_lshlrev_b32_e32 v7, 3, v7
	v_lshlrev_b32_e32 v8, 3, v8
	v_and_b32_e32 v10, 15, v10
	v_mul_lo_u32 v36, v33, s13
	v_mul_lo_u32 v27, v35, s13
	v_lshlrev_b32_e32 v29, 3, v29
	v_lshlrev_b32_e32 v26, 3, v26
	v_mul_lo_u32 v35, v9, s13
	v_and_b32_e32 v37, 0xffff, v10
	global_load_dwordx2 v[30:31], v7, s[0:1]
	global_load_dwordx2 v[32:33], v8, s[0:1]
	global_load_dwordx2 v[9:10], v29, s[0:1]
	s_nop 0
	global_load_dwordx2 v[7:8], v26, s[0:1]
	v_and_b32_e32 v24, 15, v28
	v_bfe_u32 v34, v28, 20, 4
	v_mul_lo_u32 v24, v24, s13
	v_mul_lo_u32 v34, v34, s13
	v_not_b32_e32 v26, v36
	v_not_b32_e32 v25, v25
	;; [unrolled: 1-line block ×4, first 2 shown]
	v_and_b32_e32 v34, 0x8040201, v24
	v_and_b32_e32 v36, 0x40000, v24
	v_cmp_gt_u32_e32 vcc, s14, v34
	v_and_b32_e32 v38, 0x200, v24
	v_cndmask_b32_e64 v34, 0, -1, vcc
	v_cmp_eq_u32_e32 vcc, 0, v36
	v_and_b32_e32 v24, 1, v24
	v_cndmask_b32_e32 v36, 0, v18, vcc
	v_cmp_eq_u32_e32 vcc, 0, v38
	v_and_b32_e32 v39, 0x8040201, v25
	v_cndmask_b32_e32 v38, 0, v19, vcc
	;; [unrolled: 3-line block ×3, first 2 shown]
	v_cmp_gt_u32_e32 vcc, s14, v39
	v_and_b32_e32 v41, 0x200, v25
	v_cndmask_b32_e64 v39, 0, -1, vcc
	v_cmp_eq_u32_e32 vcc, 0, v40
	v_and_b32_e32 v42, 1, v25
	v_cndmask_b32_e32 v24, 0, v18, vcc
	v_cmp_eq_u32_e32 vcc, 0, v41
	v_and_b32_e32 v49, 0x8040201, v26
	v_cndmask_b32_e32 v25, 0, v19, vcc
	v_cmp_eq_u32_e32 vcc, 0, v42
	v_and_b32_e32 v43, 0x40000, v26
	v_and_b32_e32 v44, 0x200, v26
	;; [unrolled: 1-line block ×4, first 2 shown]
	v_cndmask_b32_e32 v26, 0, v20, vcc
	v_cmp_gt_u32_e32 vcc, s14, v49
	v_cndmask_b32_e64 v40, 0, -1, vcc
	v_cmp_gt_u32_e32 vcc, s14, v46
	v_lshrrev_b16_sdwa v28, v21, v28 dst_sel:DWORD dst_unused:UNUSED_PAD src0_sel:DWORD src1_sel:BYTE_3
	v_cndmask_b32_e64 v41, 0, -1, vcc
	v_cmp_eq_u32_e32 vcc, 0, v43
	v_mul_lo_u32 v28, v28, s13
	v_cndmask_b32_e32 v42, 0, v18, vcc
	v_cmp_eq_u32_e32 vcc, 0, v44
	v_and_b32_e32 v47, 0x40000, v29
	v_cndmask_b32_e32 v43, 0, v19, vcc
	v_cmp_eq_u32_e32 vcc, 0, v45
	v_and_b32_e32 v48, 0x200, v29
	v_cndmask_b32_e32 v44, 0, v20, vcc
	v_cmp_eq_u32_e32 vcc, 0, v47
	v_not_b32_e32 v27, v27
	v_and_b32_e32 v29, 1, v29
	v_cndmask_b32_e32 v45, 0, v18, vcc
	v_cmp_eq_u32_e32 vcc, 0, v48
	v_not_b32_e32 v28, v28
	v_and_b32_e32 v50, 0x40000, v27
	v_and_b32_e32 v51, 0x200, v27
	;; [unrolled: 1-line block ×4, first 2 shown]
	v_cndmask_b32_e32 v46, 0, v19, vcc
	v_cmp_eq_u32_e32 vcc, 0, v29
	v_and_b32_e32 v53, 0x40000, v28
	v_and_b32_e32 v54, 0x200, v28
	;; [unrolled: 1-line block ×4, first 2 shown]
	v_cndmask_b32_e32 v47, 0, v20, vcc
	v_cmp_gt_u32_e32 vcc, s14, v27
	v_cndmask_b32_e64 v48, 0, -1, vcc
	v_cmp_gt_u32_e32 vcc, s14, v28
	v_cndmask_b32_e64 v49, 0, -1, vcc
	v_cmp_eq_u32_e32 vcc, 0, v50
	v_cndmask_b32_e32 v50, 0, v18, vcc
	v_cmp_eq_u32_e32 vcc, 0, v51
	v_cndmask_b32_e32 v51, 0, v19, vcc
	;; [unrolled: 2-line block ×3, first 2 shown]
	v_cmp_eq_u32_e32 vcc, 0, v53
	v_mul_lo_u32 v37, v37, s13
	v_not_b32_e32 v35, v35
	v_cndmask_b32_e32 v27, 0, v18, vcc
	v_cmp_eq_u32_e32 vcc, 0, v54
	v_cndmask_b32_e32 v28, 0, v19, vcc
	v_cmp_eq_u32_e32 vcc, 0, v55
	v_and_b32_e32 v53, 0x8040201, v35
	v_cndmask_b32_e32 v29, 0, v20, vcc
	v_and_b32_e32 v54, 0x40000, v35
	v_cmp_gt_u32_e32 vcc, s14, v53
	v_and_b32_e32 v55, 0x200, v35
	v_cndmask_b32_e64 v53, 0, -1, vcc
	v_cmp_eq_u32_e32 vcc, 0, v54
	v_and_b32_e32 v35, 1, v35
	v_not_b32_e32 v37, v37
	v_cndmask_b32_e32 v54, 0, v18, vcc
	v_cmp_eq_u32_e32 vcc, 0, v55
	v_cndmask_b32_e32 v55, 0, v19, vcc
	v_cmp_eq_u32_e32 vcc, 0, v35
	v_and_b32_e32 v59, 0x8040201, v37
	v_cndmask_b32_e32 v35, 0, v20, vcc
	v_and_b32_e32 v60, 0x40000, v37
	v_and_b32_e32 v61, 0x200, v37
	;; [unrolled: 1-line block ×3, first 2 shown]
	v_cmp_gt_u32_e64 s[0:1], s14, v59
	v_lshlrev_b32_e32 v53, 24, v53
	v_cmp_eq_u32_e32 vcc, 0, v37
	v_or_b32_e32 v37, v55, v35
	v_cndmask_b32_e64 v59, 0, -1, s[0:1]
	v_cmp_eq_u32_e64 s[0:1], 0, v60
	v_lshlrev_b32_e32 v34, 24, v34
	v_or_b32_e32 v57, v38, v56
	v_cndmask_b32_e64 v60, 0, v18, s[0:1]
	v_cmp_eq_u32_e64 s[0:1], 0, v61
	v_or3_b32 v37, v37, v54, v53
	v_lshlrev_b32_e32 v39, 24, v39
	v_or_b32_e32 v58, v25, v26
	v_or3_b32 v57, v57, v36, v34
	v_cndmask_b32_e64 v61, 0, v19, s[0:1]
	s_waitcnt vmcnt(3)
	v_xor_b32_e32 v31, v37, v31
	v_cndmask_b32_e32 v37, 0, v20, vcc
	v_or3_b32 v58, v58, v24, v39
	v_xor_b32_e32 v30, v57, v30
	v_lshlrev_b32_e32 v57, 24, v59
	v_or_b32_e32 v59, v61, v37
	v_lshlrev_b32_e32 v40, 24, v40
	v_or3_b32 v59, v59, v60, v57
	s_waitcnt vmcnt(2)
	v_xor_b32_e32 v58, v58, v32
	v_or_b32_e32 v32, v43, v44
	v_lshlrev_b32_e32 v41, 24, v41
	v_xor_b32_e32 v59, v59, v33
	v_or_b32_e32 v33, v46, v47
	v_or3_b32 v32, v32, v42, v40
	v_lshlrev_b32_e32 v48, 24, v48
	v_or3_b32 v33, v33, v45, v41
	s_waitcnt vmcnt(1)
	v_xor_b32_e32 v9, v32, v9
	v_or_b32_e32 v32, v51, v52
	v_lshlrev_b32_e32 v49, 24, v49
	v_xor_b32_e32 v10, v33, v10
	v_or_b32_e32 v33, v28, v29
	v_or3_b32 v32, v32, v50, v48
	v_or3_b32 v33, v33, v27, v49
	s_waitcnt vmcnt(0)
	v_xor_b32_e32 v32, v32, v7
	v_xor_b32_e32 v62, v33, v8
	v_sub_u32_e32 v40, v9, v40
	v_sub_u32_e32 v42, v9, v42
	;; [unrolled: 1-line block ×8, first 2 shown]
	global_load_dwordx4 v[7:10], v[5:6], off offset:16
	v_sub_u32_e32 v48, v32, v48
	v_sub_u32_e32 v50, v32, v50
	;; [unrolled: 1-line block ×12, first 2 shown]
	global_load_dwordx4 v[30:33], v[5:6], off
	global_load_dword v63, v[5:6], off offset:32
	v_sub_u32_e32 v6, v58, v24
	v_sub_u32_e32 v24, v58, v25
	;; [unrolled: 1-line block ×3, first 2 shown]
	v_perm_b32 v42, v42, v44, s15
	v_and_b32_e32 v40, 0xff000000, v40
	v_and_b32_e32 v43, 0xff00, v43
	v_perm_b32 v36, v36, v56, s15
	v_perm_b32 v6, v6, v25, s15
	v_and_b32_e32 v25, 0xff000000, v34
	v_and_b32_e32 v34, 0xff00, v38
	v_sub_u32_e32 v5, v58, v39
	v_perm_b32 v44, v45, v47, s15
	v_and_b32_e32 v41, 0xff000000, v41
	v_and_b32_e32 v45, 0xff00, v46
	v_perm_b32 v46, v50, v52, s15
	v_perm_b32 v35, v54, v35, s15
	v_and_b32_e32 v38, 0xff000000, v53
	v_and_b32_e32 v50, 0xff00, v55
	v_or3_b32 v40, v42, v40, v43
	v_or3_b32 v25, v36, v25, v34
	v_sub_u32_e32 v39, v59, v60
	v_sub_u32_e32 v37, v59, v37
	v_sub_u32_e32 v49, v62, v49
	v_sub_u32_e32 v27, v62, v27
	v_sub_u32_e32 v28, v62, v28
	v_sub_u32_e32 v29, v62, v29
	v_and_b32_e32 v47, 0xff000000, v48
	v_and_b32_e32 v48, 0xff00, v51
	;; [unrolled: 1-line block ×4, first 2 shown]
	v_or3_b32 v41, v44, v41, v45
	v_or3_b32 v34, v35, v38, v50
	v_perm_b32 v37, v39, v37, s15
	v_perm_b32 v27, v27, v29, s15
	v_and_b32_e32 v29, 0xff000000, v49
	v_and_b32_e32 v28, 0xff00, v28
	v_or3_b32 v42, v46, v47, v48
	v_or3_b32 v5, v6, v5, v24
	;; [unrolled: 1-line block ×3, first 2 shown]
	v_lshrrev_b16_e32 v58, 4, v22
	v_and_b32_e32 v22, 15, v22
	v_cvt_f32_ubyte0_e32 v58, v58
	v_cvt_f32_ubyte0_e32 v22, v22
	v_add_f32_e32 v58, 0.5, v58
	v_add_f32_e32 v22, 0.5, v22
	v_cmp_le_u32_e32 vcc, s6, v13
	s_or_b64 s[4:5], vcc, s[4:5]
	s_waitcnt vmcnt(2)
	v_dot4_i32_i8 v8, v40, v8, 0
	v_dot4_i32_i8 v8, v41, v9, v8
	;; [unrolled: 1-line block ×3, first 2 shown]
	s_waitcnt vmcnt(1)
	v_cvt_f32_f16_e32 v26, v30
	v_sub_u32_e32 v30, v59, v57
	v_sub_u32_e32 v57, v59, v61
	v_dot4_i32_i8 v25, v25, v31, 0
	v_and_b32_e32 v30, 0xff000000, v30
	v_and_b32_e32 v39, 0xff00, v57
	v_dot4_i32_i8 v9, v34, v32, v25
	v_or3_b32 v6, v37, v30, v39
	v_dot4_i32_i8 v5, v5, v33, v9
	v_dot4_i32_i8 v5, v6, v7, v5
	s_waitcnt vmcnt(0)
	v_dot4_i32_i8 v6, v24, v63, v8
	v_cvt_f32_i32_e32 v6, v6
	v_cvt_f32_i32_e32 v5, v5
	v_mul_f32_e32 v7, v23, v26
	v_mul_f32_e32 v7, 0x3e800000, v7
	;; [unrolled: 1-line block ×3, first 2 shown]
	v_fmac_f32_e32 v6, v22, v5
	v_fmac_f32_e32 v12, v7, v6
	s_andn2_b64 exec, exec, s[4:5]
	s_cbranch_execnz .LBB74_3
; %bb.4:
	s_or_b64 exec, exec, s[4:5]
.LBB74_5:
	s_or_b64 exec, exec, s[10:11]
	v_mbcnt_lo_u32_b32 v1, -1, 0
	v_mbcnt_hi_u32_b32 v2, -1, v1
	v_and_b32_e32 v1, 64, v2
	v_add_u32_e32 v3, 64, v1
	v_xor_b32_e32 v1, 32, v2
	v_cmp_lt_i32_e32 vcc, v1, v3
	v_cndmask_b32_e32 v1, v2, v1, vcc
	v_lshlrev_b32_e32 v1, 2, v1
	ds_bpermute_b32 v1, v1, v12
	v_xor_b32_e32 v4, 16, v2
	v_cmp_lt_i32_e32 vcc, v4, v3
	v_cndmask_b32_e32 v4, v2, v4, vcc
	v_lshlrev_b32_e32 v4, 2, v4
	s_waitcnt lgkmcnt(0)
	v_add_f32_e32 v1, v12, v1
	ds_bpermute_b32 v4, v4, v1
	v_xor_b32_e32 v5, 8, v2
	v_cmp_lt_i32_e32 vcc, v5, v3
	s_waitcnt lgkmcnt(0)
	v_add_f32_e32 v1, v1, v4
	v_cndmask_b32_e32 v4, v2, v5, vcc
	v_lshlrev_b32_e32 v4, 2, v4
	ds_bpermute_b32 v4, v4, v1
	v_xor_b32_e32 v5, 4, v2
	v_cmp_lt_i32_e32 vcc, v5, v3
	s_waitcnt lgkmcnt(0)
	v_add_f32_e32 v1, v1, v4
	v_cndmask_b32_e32 v4, v2, v5, vcc
	v_lshlrev_b32_e32 v4, 2, v4
	;; [unrolled: 7-line block ×3, first 2 shown]
	ds_bpermute_b32 v4, v4, v1
	v_xor_b32_e32 v5, 1, v2
	v_cmp_lt_i32_e32 vcc, v5, v3
	v_cndmask_b32_e32 v2, v2, v5, vcc
	v_lshlrev_b32_e32 v2, 2, v2
	s_waitcnt lgkmcnt(0)
	v_add_f32_e32 v1, v1, v4
	ds_bpermute_b32 v2, v2, v1
	v_cmp_eq_u32_e32 vcc, 0, v0
	s_and_b64 exec, exec, vcc
	s_cbranch_execz .LBB74_7
; %bb.6:
	s_mul_i32 s0, s9, s7
	s_waitcnt lgkmcnt(0)
	v_add_f32_e32 v2, v1, v2
	v_add_u32_e32 v0, s0, v11
	v_mov_b32_e32 v1, 0
	v_lshlrev_b64 v[0:1], 2, v[0:1]
	v_mov_b32_e32 v3, s3
	v_add_co_u32_e32 v0, vcc, s2, v0
	v_addc_co_u32_e32 v1, vcc, v3, v1, vcc
	global_store_dword v[0:1], v2, off
.LBB74_7:
	s_endpgm
	.section	.rodata,"a",@progbits
	.p2align	6, 0x0
	.amdhsa_kernel _ZL13mul_mat_vec_qIfLi256ELi8E11block_iq2_sLi1EXadL_ZL18vec_dot_iq2_s_q8_1PKvPK10block_q8_1RKiEEEvS2_S2_PT_iii
		.amdhsa_group_segment_fixed_size 0
		.amdhsa_private_segment_fixed_size 0
		.amdhsa_kernarg_size 296
		.amdhsa_user_sgpr_count 6
		.amdhsa_user_sgpr_private_segment_buffer 1
		.amdhsa_user_sgpr_dispatch_ptr 0
		.amdhsa_user_sgpr_queue_ptr 0
		.amdhsa_user_sgpr_kernarg_segment_ptr 1
		.amdhsa_user_sgpr_dispatch_id 0
		.amdhsa_user_sgpr_flat_scratch_init 0
		.amdhsa_user_sgpr_private_segment_size 0
		.amdhsa_uses_dynamic_stack 0
		.amdhsa_system_sgpr_private_segment_wavefront_offset 0
		.amdhsa_system_sgpr_workgroup_id_x 1
		.amdhsa_system_sgpr_workgroup_id_y 1
		.amdhsa_system_sgpr_workgroup_id_z 0
		.amdhsa_system_sgpr_workgroup_info 0
		.amdhsa_system_vgpr_workitem_id 1
		.amdhsa_next_free_vgpr 64
		.amdhsa_next_free_sgpr 18
		.amdhsa_reserve_vcc 1
		.amdhsa_reserve_flat_scratch 0
		.amdhsa_float_round_mode_32 0
		.amdhsa_float_round_mode_16_64 0
		.amdhsa_float_denorm_mode_32 3
		.amdhsa_float_denorm_mode_16_64 3
		.amdhsa_dx10_clamp 1
		.amdhsa_ieee_mode 1
		.amdhsa_fp16_overflow 0
		.amdhsa_exception_fp_ieee_invalid_op 0
		.amdhsa_exception_fp_denorm_src 0
		.amdhsa_exception_fp_ieee_div_zero 0
		.amdhsa_exception_fp_ieee_overflow 0
		.amdhsa_exception_fp_ieee_underflow 0
		.amdhsa_exception_fp_ieee_inexact 0
		.amdhsa_exception_int_div_zero 0
	.end_amdhsa_kernel
	.section	.text._ZL13mul_mat_vec_qIfLi256ELi8E11block_iq2_sLi1EXadL_ZL18vec_dot_iq2_s_q8_1PKvPK10block_q8_1RKiEEEvS2_S2_PT_iii,"axG",@progbits,_ZL13mul_mat_vec_qIfLi256ELi8E11block_iq2_sLi1EXadL_ZL18vec_dot_iq2_s_q8_1PKvPK10block_q8_1RKiEEEvS2_S2_PT_iii,comdat
.Lfunc_end74:
	.size	_ZL13mul_mat_vec_qIfLi256ELi8E11block_iq2_sLi1EXadL_ZL18vec_dot_iq2_s_q8_1PKvPK10block_q8_1RKiEEEvS2_S2_PT_iii, .Lfunc_end74-_ZL13mul_mat_vec_qIfLi256ELi8E11block_iq2_sLi1EXadL_ZL18vec_dot_iq2_s_q8_1PKvPK10block_q8_1RKiEEEvS2_S2_PT_iii
                                        ; -- End function
	.set _ZL13mul_mat_vec_qIfLi256ELi8E11block_iq2_sLi1EXadL_ZL18vec_dot_iq2_s_q8_1PKvPK10block_q8_1RKiEEEvS2_S2_PT_iii.num_vgpr, 64
	.set _ZL13mul_mat_vec_qIfLi256ELi8E11block_iq2_sLi1EXadL_ZL18vec_dot_iq2_s_q8_1PKvPK10block_q8_1RKiEEEvS2_S2_PT_iii.num_agpr, 0
	.set _ZL13mul_mat_vec_qIfLi256ELi8E11block_iq2_sLi1EXadL_ZL18vec_dot_iq2_s_q8_1PKvPK10block_q8_1RKiEEEvS2_S2_PT_iii.numbered_sgpr, 18
	.set _ZL13mul_mat_vec_qIfLi256ELi8E11block_iq2_sLi1EXadL_ZL18vec_dot_iq2_s_q8_1PKvPK10block_q8_1RKiEEEvS2_S2_PT_iii.num_named_barrier, 0
	.set _ZL13mul_mat_vec_qIfLi256ELi8E11block_iq2_sLi1EXadL_ZL18vec_dot_iq2_s_q8_1PKvPK10block_q8_1RKiEEEvS2_S2_PT_iii.private_seg_size, 0
	.set _ZL13mul_mat_vec_qIfLi256ELi8E11block_iq2_sLi1EXadL_ZL18vec_dot_iq2_s_q8_1PKvPK10block_q8_1RKiEEEvS2_S2_PT_iii.uses_vcc, 1
	.set _ZL13mul_mat_vec_qIfLi256ELi8E11block_iq2_sLi1EXadL_ZL18vec_dot_iq2_s_q8_1PKvPK10block_q8_1RKiEEEvS2_S2_PT_iii.uses_flat_scratch, 0
	.set _ZL13mul_mat_vec_qIfLi256ELi8E11block_iq2_sLi1EXadL_ZL18vec_dot_iq2_s_q8_1PKvPK10block_q8_1RKiEEEvS2_S2_PT_iii.has_dyn_sized_stack, 0
	.set _ZL13mul_mat_vec_qIfLi256ELi8E11block_iq2_sLi1EXadL_ZL18vec_dot_iq2_s_q8_1PKvPK10block_q8_1RKiEEEvS2_S2_PT_iii.has_recursion, 0
	.set _ZL13mul_mat_vec_qIfLi256ELi8E11block_iq2_sLi1EXadL_ZL18vec_dot_iq2_s_q8_1PKvPK10block_q8_1RKiEEEvS2_S2_PT_iii.has_indirect_call, 0
	.section	.AMDGPU.csdata,"",@progbits
; Kernel info:
; codeLenInByte = 2228
; TotalNumSgprs: 22
; NumVgprs: 64
; ScratchSize: 0
; MemoryBound: 0
; FloatMode: 240
; IeeeMode: 1
; LDSByteSize: 0 bytes/workgroup (compile time only)
; SGPRBlocks: 2
; VGPRBlocks: 15
; NumSGPRsForWavesPerEU: 22
; NumVGPRsForWavesPerEU: 64
; Occupancy: 4
; WaveLimiterHint : 0
; COMPUTE_PGM_RSRC2:SCRATCH_EN: 0
; COMPUTE_PGM_RSRC2:USER_SGPR: 6
; COMPUTE_PGM_RSRC2:TRAP_HANDLER: 0
; COMPUTE_PGM_RSRC2:TGID_X_EN: 1
; COMPUTE_PGM_RSRC2:TGID_Y_EN: 1
; COMPUTE_PGM_RSRC2:TGID_Z_EN: 0
; COMPUTE_PGM_RSRC2:TIDIG_COMP_CNT: 1
	.section	.text._ZL13mul_mat_vec_qIfLi256ELi8E12block_iq4_xsLi1EXadL_ZL19vec_dot_iq4_xs_q8_1PKvPK10block_q8_1RKiEEEvS2_S2_PT_iii,"axG",@progbits,_ZL13mul_mat_vec_qIfLi256ELi8E12block_iq4_xsLi1EXadL_ZL19vec_dot_iq4_xs_q8_1PKvPK10block_q8_1RKiEEEvS2_S2_PT_iii,comdat
	.globl	_ZL13mul_mat_vec_qIfLi256ELi8E12block_iq4_xsLi1EXadL_ZL19vec_dot_iq4_xs_q8_1PKvPK10block_q8_1RKiEEEvS2_S2_PT_iii ; -- Begin function _ZL13mul_mat_vec_qIfLi256ELi8E12block_iq4_xsLi1EXadL_ZL19vec_dot_iq4_xs_q8_1PKvPK10block_q8_1RKiEEEvS2_S2_PT_iii
	.p2align	8
	.type	_ZL13mul_mat_vec_qIfLi256ELi8E12block_iq4_xsLi1EXadL_ZL19vec_dot_iq4_xs_q8_1PKvPK10block_q8_1RKiEEEvS2_S2_PT_iii,@function
_ZL13mul_mat_vec_qIfLi256ELi8E12block_iq4_xsLi1EXadL_ZL19vec_dot_iq4_xs_q8_1PKvPK10block_q8_1RKiEEEvS2_S2_PT_iii: ; @_ZL13mul_mat_vec_qIfLi256ELi8E12block_iq4_xsLi1EXadL_ZL19vec_dot_iq4_xs_q8_1PKvPK10block_q8_1RKiEEEvS2_S2_PT_iii
; %bb.0:
	s_load_dword s8, s[4:5], 0x34
	s_load_dwordx4 s[0:3], s[4:5], 0x18
	s_waitcnt lgkmcnt(0)
	s_lshr_b32 s3, s8, 16
	s_mul_i32 s6, s6, s3
	v_add_u32_e32 v7, s6, v1
	s_cmp_lt_u32 s7, s2
	v_cmp_gt_u32_e32 vcc, s1, v7
	s_cselect_b64 s[2:3], -1, 0
	s_and_b64 s[2:3], s[2:3], vcc
	s_and_saveexec_b64 s[8:9], s[2:3]
	s_cbranch_execz .LBB75_7
; %bb.1:
	s_load_dwordx2 s[2:3], s[4:5], 0x10
	s_ashr_i32 s6, s0, 31
	s_lshr_b32 s6, s6, 24
	s_add_i32 s6, s0, s6
	s_ashr_i32 s6, s6, 8
	v_lshrrev_b32_e32 v9, 3, v0
	v_cmp_gt_u32_e32 vcc, s6, v9
	v_mov_b32_e32 v8, 0
	s_and_saveexec_b64 s[8:9], vcc
	s_cbranch_execz .LBB75_5
; %bb.2:
	s_load_dwordx4 s[12:15], s[4:5], 0x0
	s_addk_i32 s0, 0x1ff
	s_ashr_i32 s4, s0, 31
	s_lshr_b32 s4, s4, 23
	s_add_i32 s0, s0, s4
	v_and_b32_e32 v3, 7, v0
	s_ashr_i32 s0, s0, 9
	v_mul_lo_u32 v10, v7, s6
	s_waitcnt lgkmcnt(0)
	v_mad_u64_u32 v[1:2], s[4:5], v3, 36, s[14:15]
	s_mul_i32 s0, s7, s0
	v_lshlrev_b32_e32 v5, 2, v3
	v_lshlrev_b32_e32 v4, 2, v0
	;; [unrolled: 1-line block ×4, first 2 shown]
	v_and_b32_e32 v12, 4, v4
	v_lshl_add_u32 v14, s0, 4, v3
	v_mov_b32_e32 v3, s12
	v_mov_b32_e32 v8, 0
	v_bfe_u32 v11, v0, 1, 2
	s_mov_b64 s[4:5], 0
	s_movk_i32 s0, 0x88
	v_mov_b32_e32 v4, s13
	v_lshlrev_b32_e32 v15, 2, v5
	s_getpc_b64 s[10:11]
	s_add_u32 s10, s10, _ZL13kvalues_iq4nl@rel32@lo+4
	s_addc_u32 s11, s11, _ZL13kvalues_iq4nl@rel32@hi+12
.LBB75_3:                               ; =>This Inner Loop Header: Depth=1
	v_add_u32_e32 v5, v10, v9
	v_mad_i64_i32 v[5:6], s[12:13], v5, s0, v[3:4]
	v_mad_i64_i32 v[28:29], s[12:13], v14, 36, v[1:2]
	v_add_co_u32_e32 v16, vcc, v5, v15
	v_addc_co_u32_e32 v17, vcc, 0, v6, vcc
	global_load_dwordx4 v[16:19], v[16:17], off offset:8
	v_add_u32_e32 v9, 8, v9
	v_add_u32_e32 v14, 64, v14
	s_waitcnt vmcnt(0)
	v_and_b32_e32 v21, 15, v16
	v_bfe_u32 v22, v16, 8, 4
	global_load_ubyte v23, v21, s[10:11]
	global_load_ubyte v24, v22, s[10:11]
	v_bfe_u32 v20, v16, 24, 4
	v_bfe_u32 v22, v16, 16, 4
	s_waitcnt vmcnt(0)
	v_lshl_or_b32 v21, v24, 8, v23
	global_load_ubyte v23, v20, s[10:11]
	global_load_ubyte v24, v22, s[10:11]
	s_waitcnt vmcnt(1)
	v_lshlrev_b32_e32 v20, 24, v23
	s_waitcnt vmcnt(0)
	v_lshlrev_b32_e32 v22, 16, v24
	v_or3_b32 v24, v21, v22, v20
	v_bfe_u32 v20, v16, 4, 4
	v_bfe_u32 v21, v16, 12, 4
	global_load_ubyte v22, v20, s[10:11]
	global_load_ubyte v23, v21, s[10:11]
	v_lshrrev_b32_e32 v21, 28, v16
	v_bfe_u32 v16, v16, 20, 4
	global_load_ubyte v21, v21, s[10:11]
	s_waitcnt vmcnt(1)
	v_lshl_or_b32 v20, v23, 8, v22
	v_bfe_u32 v22, v17, 16, 4
	global_load_ubyte v22, v22, s[10:11]
	s_waitcnt vmcnt(0)
	v_lshlrev_b32_e32 v22, 16, v22
	global_load_ubyte v16, v16, s[10:11]
	v_lshlrev_b32_e32 v21, 24, v21
	s_waitcnt vmcnt(0)
	v_lshlrev_b32_e32 v16, 16, v16
	v_or3_b32 v16, v20, v16, v21
	v_and_b32_e32 v20, 15, v17
	v_bfe_u32 v21, v17, 8, 4
	global_load_ubyte v20, v20, s[10:11]
	s_nop 0
	global_load_ubyte v21, v21, s[10:11]
	s_waitcnt vmcnt(0)
	v_lshl_or_b32 v20, v21, 8, v20
	v_bfe_u32 v21, v17, 24, 4
	global_load_ubyte v21, v21, s[10:11]
	s_waitcnt vmcnt(0)
	v_lshlrev_b32_e32 v21, 24, v21
	v_or3_b32 v25, v20, v22, v21
	v_bfe_u32 v20, v17, 4, 4
	v_bfe_u32 v21, v17, 12, 4
	global_load_ubyte v20, v20, s[10:11]
	v_bfe_u32 v22, v18, 16, 4
	global_load_ubyte v21, v21, s[10:11]
	s_nop 0
	global_load_ubyte v22, v22, s[10:11]
	s_waitcnt vmcnt(1)
	v_lshl_or_b32 v20, v21, 8, v20
	v_lshrrev_b32_e32 v21, 28, v17
	v_bfe_u32 v17, v17, 20, 4
	global_load_ubyte v21, v21, s[10:11]
	s_waitcnt vmcnt(1)
	v_lshlrev_b32_e32 v22, 16, v22
	global_load_ubyte v17, v17, s[10:11]
	s_waitcnt vmcnt(1)
	v_lshlrev_b32_e32 v21, 24, v21
	s_waitcnt vmcnt(0)
	v_lshlrev_b32_e32 v17, 16, v17
	v_or3_b32 v17, v20, v17, v21
	v_and_b32_e32 v20, 15, v18
	v_bfe_u32 v21, v18, 8, 4
	global_load_ubyte v20, v20, s[10:11]
	s_nop 0
	global_load_ubyte v21, v21, s[10:11]
	s_waitcnt vmcnt(0)
	v_lshl_or_b32 v20, v21, 8, v20
	v_bfe_u32 v21, v18, 24, 4
	global_load_ubyte v21, v21, s[10:11]
	s_waitcnt vmcnt(0)
	v_lshlrev_b32_e32 v21, 24, v21
	v_or3_b32 v30, v20, v22, v21
	v_bfe_u32 v20, v18, 4, 4
	v_bfe_u32 v21, v18, 12, 4
	global_load_ubyte v20, v20, s[10:11]
	v_bfe_u32 v22, v19, 16, 4
	global_load_ubyte v21, v21, s[10:11]
	s_nop 0
	global_load_ubyte v22, v22, s[10:11]
	s_waitcnt vmcnt(1)
	v_lshl_or_b32 v20, v21, 8, v20
	v_lshrrev_b32_e32 v21, 28, v18
	v_bfe_u32 v18, v18, 20, 4
	global_load_ubyte v21, v21, s[10:11]
	s_waitcnt vmcnt(1)
	v_lshlrev_b32_e32 v22, 16, v22
	global_load_ubyte v18, v18, s[10:11]
	s_waitcnt vmcnt(1)
	v_lshlrev_b32_e32 v21, 24, v21
	s_waitcnt vmcnt(0)
	v_lshlrev_b32_e32 v18, 16, v18
	v_or3_b32 v18, v20, v18, v21
	v_and_b32_e32 v20, 15, v19
	v_bfe_u32 v21, v19, 8, 4
	global_load_ubyte v20, v20, s[10:11]
	s_nop 0
	global_load_ubyte v21, v21, s[10:11]
	s_waitcnt vmcnt(0)
	v_lshl_or_b32 v20, v21, 8, v20
	v_bfe_u32 v21, v19, 24, 4
	global_load_ubyte v21, v21, s[10:11]
	s_waitcnt vmcnt(0)
	v_lshlrev_b32_e32 v21, 24, v21
	v_or3_b32 v31, v20, v22, v21
	global_load_dwordx4 v[20:23], v[28:29], off
	s_waitcnt vmcnt(0)
	v_dot4_i32_i8 v21, v24, v21, 0
	v_dot4_i32_i8 v21, v25, v22, v21
	global_load_dwordx4 v[24:27], v[28:29], off offset:16
	v_dot4_i32_i8 v21, v30, v23, v21
	v_bfe_u32 v22, v19, 4, 4
	v_bfe_u32 v23, v19, 12, 4
	s_waitcnt vmcnt(0)
	v_dot4_i32_i8 v16, v16, v25, 0
	v_dot4_i32_i8 v16, v17, v26, v16
	v_add_co_u32_e32 v25, vcc, v5, v11
	v_dot4_i32_i8 v17, v18, v27, v16
	v_dot4_i32_i8 v18, v31, v24, v21
	v_cvt_f32_f16_e32 v16, v20
	v_bfe_u32 v20, v19, 20, 4
	v_lshrrev_b32_e32 v21, 28, v19
	global_load_dword v19, v[28:29], off offset:32
	v_addc_co_u32_e32 v26, vcc, 0, v6, vcc
	global_load_dword v24, v[5:6], off
	global_load_ubyte v27, v[25:26], off offset:4
	v_cmp_le_u32_e32 vcc, s6, v9
	s_or_b64 s[4:5], vcc, s[4:5]
	s_waitcnt vmcnt(1)
	v_lshrrev_b32_sdwa v5, v13, v24 dst_sel:DWORD dst_unused:UNUSED_PAD src0_sel:DWORD src1_sel:WORD_1
	v_lshlrev_b32_e32 v5, 4, v5
	s_waitcnt vmcnt(0)
	v_bfe_u32 v6, v27, v12, 4
	v_and_or_b32 v5, v5, 48, v6
	global_load_ubyte v6, v22, s[10:11]
	global_load_ubyte v25, v23, s[10:11]
	s_nop 0
	global_load_ubyte v22, v21, s[10:11]
	global_load_ubyte v23, v20, s[10:11]
	v_subrev_u32_e32 v5, 32, v5
	v_cvt_f32_f16_e32 v20, v24
	v_cvt_f32_i32_e32 v5, v5
	v_mul_f32_e32 v5, v20, v5
	v_mul_f32_e32 v5, v5, v16
	s_waitcnt vmcnt(2)
	v_lshl_or_b32 v6, v25, 8, v6
	s_waitcnt vmcnt(1)
	v_lshlrev_b32_e32 v21, 24, v22
	s_waitcnt vmcnt(0)
	v_lshlrev_b32_e32 v22, 16, v23
	v_or3_b32 v6, v6, v22, v21
	v_dot4_i32_i8 v6, v6, v19, v17
	v_add_u32_e32 v6, v6, v18
	v_cvt_f32_i32_e32 v6, v6
	v_fmac_f32_e32 v8, v5, v6
	s_andn2_b64 exec, exec, s[4:5]
	s_cbranch_execnz .LBB75_3
; %bb.4:
	s_or_b64 exec, exec, s[4:5]
.LBB75_5:
	s_or_b64 exec, exec, s[8:9]
	v_mbcnt_lo_u32_b32 v1, -1, 0
	v_mbcnt_hi_u32_b32 v2, -1, v1
	v_and_b32_e32 v1, 64, v2
	v_add_u32_e32 v3, 64, v1
	v_xor_b32_e32 v1, 32, v2
	v_cmp_lt_i32_e32 vcc, v1, v3
	v_cndmask_b32_e32 v1, v2, v1, vcc
	v_lshlrev_b32_e32 v1, 2, v1
	ds_bpermute_b32 v1, v1, v8
	v_xor_b32_e32 v4, 16, v2
	v_cmp_lt_i32_e32 vcc, v4, v3
	v_cndmask_b32_e32 v4, v2, v4, vcc
	v_lshlrev_b32_e32 v4, 2, v4
	s_waitcnt lgkmcnt(0)
	v_add_f32_e32 v1, v8, v1
	ds_bpermute_b32 v4, v4, v1
	v_xor_b32_e32 v5, 8, v2
	v_cmp_lt_i32_e32 vcc, v5, v3
	s_waitcnt lgkmcnt(0)
	v_add_f32_e32 v1, v1, v4
	v_cndmask_b32_e32 v4, v2, v5, vcc
	v_lshlrev_b32_e32 v4, 2, v4
	ds_bpermute_b32 v4, v4, v1
	v_xor_b32_e32 v5, 4, v2
	v_cmp_lt_i32_e32 vcc, v5, v3
	s_waitcnt lgkmcnt(0)
	v_add_f32_e32 v1, v1, v4
	v_cndmask_b32_e32 v4, v2, v5, vcc
	v_lshlrev_b32_e32 v4, 2, v4
	;; [unrolled: 7-line block ×3, first 2 shown]
	ds_bpermute_b32 v4, v4, v1
	v_xor_b32_e32 v5, 1, v2
	v_cmp_lt_i32_e32 vcc, v5, v3
	v_cndmask_b32_e32 v2, v2, v5, vcc
	v_lshlrev_b32_e32 v2, 2, v2
	s_waitcnt lgkmcnt(0)
	v_add_f32_e32 v1, v1, v4
	ds_bpermute_b32 v2, v2, v1
	v_cmp_eq_u32_e32 vcc, 0, v0
	s_and_b64 exec, exec, vcc
	s_cbranch_execz .LBB75_7
; %bb.6:
	s_mul_i32 s0, s1, s7
	s_waitcnt lgkmcnt(0)
	v_add_f32_e32 v2, v1, v2
	v_add_u32_e32 v0, s0, v7
	v_mov_b32_e32 v1, 0
	v_lshlrev_b64 v[0:1], 2, v[0:1]
	v_mov_b32_e32 v3, s3
	v_add_co_u32_e32 v0, vcc, s2, v0
	v_addc_co_u32_e32 v1, vcc, v3, v1, vcc
	global_store_dword v[0:1], v2, off
.LBB75_7:
	s_endpgm
	.section	.rodata,"a",@progbits
	.p2align	6, 0x0
	.amdhsa_kernel _ZL13mul_mat_vec_qIfLi256ELi8E12block_iq4_xsLi1EXadL_ZL19vec_dot_iq4_xs_q8_1PKvPK10block_q8_1RKiEEEvS2_S2_PT_iii
		.amdhsa_group_segment_fixed_size 0
		.amdhsa_private_segment_fixed_size 0
		.amdhsa_kernarg_size 296
		.amdhsa_user_sgpr_count 6
		.amdhsa_user_sgpr_private_segment_buffer 1
		.amdhsa_user_sgpr_dispatch_ptr 0
		.amdhsa_user_sgpr_queue_ptr 0
		.amdhsa_user_sgpr_kernarg_segment_ptr 1
		.amdhsa_user_sgpr_dispatch_id 0
		.amdhsa_user_sgpr_flat_scratch_init 0
		.amdhsa_user_sgpr_private_segment_size 0
		.amdhsa_uses_dynamic_stack 0
		.amdhsa_system_sgpr_private_segment_wavefront_offset 0
		.amdhsa_system_sgpr_workgroup_id_x 1
		.amdhsa_system_sgpr_workgroup_id_y 1
		.amdhsa_system_sgpr_workgroup_id_z 0
		.amdhsa_system_sgpr_workgroup_info 0
		.amdhsa_system_vgpr_workitem_id 1
		.amdhsa_next_free_vgpr 32
		.amdhsa_next_free_sgpr 16
		.amdhsa_reserve_vcc 1
		.amdhsa_reserve_flat_scratch 0
		.amdhsa_float_round_mode_32 0
		.amdhsa_float_round_mode_16_64 0
		.amdhsa_float_denorm_mode_32 3
		.amdhsa_float_denorm_mode_16_64 3
		.amdhsa_dx10_clamp 1
		.amdhsa_ieee_mode 1
		.amdhsa_fp16_overflow 0
		.amdhsa_exception_fp_ieee_invalid_op 0
		.amdhsa_exception_fp_denorm_src 0
		.amdhsa_exception_fp_ieee_div_zero 0
		.amdhsa_exception_fp_ieee_overflow 0
		.amdhsa_exception_fp_ieee_underflow 0
		.amdhsa_exception_fp_ieee_inexact 0
		.amdhsa_exception_int_div_zero 0
	.end_amdhsa_kernel
	.section	.text._ZL13mul_mat_vec_qIfLi256ELi8E12block_iq4_xsLi1EXadL_ZL19vec_dot_iq4_xs_q8_1PKvPK10block_q8_1RKiEEEvS2_S2_PT_iii,"axG",@progbits,_ZL13mul_mat_vec_qIfLi256ELi8E12block_iq4_xsLi1EXadL_ZL19vec_dot_iq4_xs_q8_1PKvPK10block_q8_1RKiEEEvS2_S2_PT_iii,comdat
.Lfunc_end75:
	.size	_ZL13mul_mat_vec_qIfLi256ELi8E12block_iq4_xsLi1EXadL_ZL19vec_dot_iq4_xs_q8_1PKvPK10block_q8_1RKiEEEvS2_S2_PT_iii, .Lfunc_end75-_ZL13mul_mat_vec_qIfLi256ELi8E12block_iq4_xsLi1EXadL_ZL19vec_dot_iq4_xs_q8_1PKvPK10block_q8_1RKiEEEvS2_S2_PT_iii
                                        ; -- End function
	.set _ZL13mul_mat_vec_qIfLi256ELi8E12block_iq4_xsLi1EXadL_ZL19vec_dot_iq4_xs_q8_1PKvPK10block_q8_1RKiEEEvS2_S2_PT_iii.num_vgpr, 32
	.set _ZL13mul_mat_vec_qIfLi256ELi8E12block_iq4_xsLi1EXadL_ZL19vec_dot_iq4_xs_q8_1PKvPK10block_q8_1RKiEEEvS2_S2_PT_iii.num_agpr, 0
	.set _ZL13mul_mat_vec_qIfLi256ELi8E12block_iq4_xsLi1EXadL_ZL19vec_dot_iq4_xs_q8_1PKvPK10block_q8_1RKiEEEvS2_S2_PT_iii.numbered_sgpr, 16
	.set _ZL13mul_mat_vec_qIfLi256ELi8E12block_iq4_xsLi1EXadL_ZL19vec_dot_iq4_xs_q8_1PKvPK10block_q8_1RKiEEEvS2_S2_PT_iii.num_named_barrier, 0
	.set _ZL13mul_mat_vec_qIfLi256ELi8E12block_iq4_xsLi1EXadL_ZL19vec_dot_iq4_xs_q8_1PKvPK10block_q8_1RKiEEEvS2_S2_PT_iii.private_seg_size, 0
	.set _ZL13mul_mat_vec_qIfLi256ELi8E12block_iq4_xsLi1EXadL_ZL19vec_dot_iq4_xs_q8_1PKvPK10block_q8_1RKiEEEvS2_S2_PT_iii.uses_vcc, 1
	.set _ZL13mul_mat_vec_qIfLi256ELi8E12block_iq4_xsLi1EXadL_ZL19vec_dot_iq4_xs_q8_1PKvPK10block_q8_1RKiEEEvS2_S2_PT_iii.uses_flat_scratch, 0
	.set _ZL13mul_mat_vec_qIfLi256ELi8E12block_iq4_xsLi1EXadL_ZL19vec_dot_iq4_xs_q8_1PKvPK10block_q8_1RKiEEEvS2_S2_PT_iii.has_dyn_sized_stack, 0
	.set _ZL13mul_mat_vec_qIfLi256ELi8E12block_iq4_xsLi1EXadL_ZL19vec_dot_iq4_xs_q8_1PKvPK10block_q8_1RKiEEEvS2_S2_PT_iii.has_recursion, 0
	.set _ZL13mul_mat_vec_qIfLi256ELi8E12block_iq4_xsLi1EXadL_ZL19vec_dot_iq4_xs_q8_1PKvPK10block_q8_1RKiEEEvS2_S2_PT_iii.has_indirect_call, 0
	.section	.AMDGPU.csdata,"",@progbits
; Kernel info:
; codeLenInByte = 1560
; TotalNumSgprs: 20
; NumVgprs: 32
; ScratchSize: 0
; MemoryBound: 0
; FloatMode: 240
; IeeeMode: 1
; LDSByteSize: 0 bytes/workgroup (compile time only)
; SGPRBlocks: 2
; VGPRBlocks: 7
; NumSGPRsForWavesPerEU: 20
; NumVGPRsForWavesPerEU: 32
; Occupancy: 8
; WaveLimiterHint : 0
; COMPUTE_PGM_RSRC2:SCRATCH_EN: 0
; COMPUTE_PGM_RSRC2:USER_SGPR: 6
; COMPUTE_PGM_RSRC2:TRAP_HANDLER: 0
; COMPUTE_PGM_RSRC2:TGID_X_EN: 1
; COMPUTE_PGM_RSRC2:TGID_Y_EN: 1
; COMPUTE_PGM_RSRC2:TGID_Z_EN: 0
; COMPUTE_PGM_RSRC2:TIDIG_COMP_CNT: 1
	.section	.text._ZL13mul_mat_vec_qIfLi256ELi8E11block_iq1_mLi1EXadL_ZL18vec_dot_iq1_m_q8_1PKvPK10block_q8_1RKiEEEvS2_S2_PT_iii,"axG",@progbits,_ZL13mul_mat_vec_qIfLi256ELi8E11block_iq1_mLi1EXadL_ZL18vec_dot_iq1_m_q8_1PKvPK10block_q8_1RKiEEEvS2_S2_PT_iii,comdat
	.globl	_ZL13mul_mat_vec_qIfLi256ELi8E11block_iq1_mLi1EXadL_ZL18vec_dot_iq1_m_q8_1PKvPK10block_q8_1RKiEEEvS2_S2_PT_iii ; -- Begin function _ZL13mul_mat_vec_qIfLi256ELi8E11block_iq1_mLi1EXadL_ZL18vec_dot_iq1_m_q8_1PKvPK10block_q8_1RKiEEEvS2_S2_PT_iii
	.p2align	8
	.type	_ZL13mul_mat_vec_qIfLi256ELi8E11block_iq1_mLi1EXadL_ZL18vec_dot_iq1_m_q8_1PKvPK10block_q8_1RKiEEEvS2_S2_PT_iii,@function
_ZL13mul_mat_vec_qIfLi256ELi8E11block_iq1_mLi1EXadL_ZL18vec_dot_iq1_m_q8_1PKvPK10block_q8_1RKiEEEvS2_S2_PT_iii: ; @_ZL13mul_mat_vec_qIfLi256ELi8E11block_iq1_mLi1EXadL_ZL18vec_dot_iq1_m_q8_1PKvPK10block_q8_1RKiEEEvS2_S2_PT_iii
; %bb.0:
	s_load_dword s8, s[4:5], 0x34
	s_load_dwordx4 s[0:3], s[4:5], 0x18
	s_waitcnt lgkmcnt(0)
	s_lshr_b32 s3, s8, 16
	s_mul_i32 s6, s6, s3
	v_add_u32_e32 v13, s6, v1
	s_cmp_lt_u32 s7, s2
	v_cmp_gt_u32_e32 vcc, s1, v13
	s_cselect_b64 s[2:3], -1, 0
	s_and_b64 s[2:3], s[2:3], vcc
	s_and_saveexec_b64 s[8:9], s[2:3]
	s_cbranch_execz .LBB76_7
; %bb.1:
	s_load_dwordx2 s[2:3], s[4:5], 0x10
	s_ashr_i32 s6, s0, 31
	s_lshr_b32 s6, s6, 24
	s_add_i32 s6, s0, s6
	s_ashr_i32 s6, s6, 8
	v_lshrrev_b32_e32 v15, 3, v0
	v_cmp_gt_u32_e32 vcc, s6, v15
	v_mov_b32_e32 v14, 0
	s_and_saveexec_b64 s[12:13], vcc
	s_cbranch_execz .LBB76_5
; %bb.2:
	s_load_dwordx4 s[8:11], s[4:5], 0x0
	s_addk_i32 s0, 0x1ff
	s_ashr_i32 s4, s0, 31
	s_lshr_b32 s4, s4, 23
	v_and_b32_e32 v1, 7, v0
	s_add_i32 s0, s0, s4
	v_mul_lo_u32 v16, v13, s6
	s_waitcnt lgkmcnt(0)
	v_mad_u64_u32 v[9:10], s[4:5], v1, 36, s[10:11]
	s_ashr_i32 s0, s0, 9
	v_and_b32_e32 v3, 1, v0
	s_mul_i32 s0, s7, s0
	v_bfe_u32 v2, v0, 1, 2
	v_cmp_eq_u32_e32 vcc, 1, v3
	v_lshlrev_b32_e32 v3, 3, v15
	v_mov_b32_e32 v14, 0
	v_lshlrev_b32_e32 v17, 1, v1
	v_cndmask_b32_e64 v18, 0, 6, vcc
	v_lshl_add_u32 v19, s0, 4, v3
	s_mov_b64 s[4:5], 0
	v_lshlrev_b32_e32 v20, 2, v1
	s_mov_b32 s0, 0x1010101
	s_mov_b32 s14, 0x8000c
	s_movk_i32 s15, 0xf0
	v_lshlrev_b32_e32 v21, 1, v2
	s_movk_i32 s16, 0x700
	v_mov_b32_e32 v22, 4
	v_mov_b32_e32 v23, 8
.LBB76_3:                               ; =>This Inner Loop Header: Depth=1
	v_add_u32_e32 v1, v16, v15
	v_mad_i64_i32 v[11:12], s[10:11], v1, 56, s[8:9]
	v_mad_i64_i32 v[27:28], s[10:11], v19, 36, v[9:10]
	v_add_co_u32_e32 v1, vcc, v11, v20
	v_addc_co_u32_e32 v2, vcc, 0, v12, vcc
	v_add_co_u32_e32 v3, vcc, v11, v17
	v_addc_co_u32_e32 v4, vcc, 0, v12, vcc
	global_load_dword v26, v[1:2], off
	global_load_ushort v24, v[3:4], off offset:32
	s_nop 0
	global_load_dwordx4 v[1:4], v[27:28], off offset:16
	global_load_dword v25, v[27:28], off offset:32
	global_load_dwordx4 v[5:8], v[27:28], off
	v_add_co_u32_e32 v27, vcc, v11, v21
	v_addc_co_u32_e32 v28, vcc, 0, v12, vcc
	global_load_dwordx2 v[11:12], v[11:12], off offset:48
	s_nop 0
	global_load_ushort v27, v[27:28], off offset:48
	v_mov_b32_e32 v29, 0xbf600000
	s_getpc_b64 s[10:11]
	s_add_u32 s10, s10, _ZL13iq1s_grid_gpu@rel32@lo+4
	s_addc_u32 s11, s11, _ZL13iq1s_grid_gpu@rel32@hi+12
	v_mov_b32_e32 v30, 0xbf600000
	v_add_u32_e32 v15, 8, v15
	v_cmp_le_u32_e32 vcc, s6, v15
	v_add_u32_e32 v19, 64, v19
	s_or_b64 s[4:5], vcc, s[4:5]
	s_waitcnt vmcnt(6)
	v_and_b32_e32 v28, 0xff, v26
	s_waitcnt vmcnt(5)
	v_lshlrev_b32_e32 v31, 8, v24
	v_bfe_u32 v32, v26, 8, 8
	v_lshlrev_b32_e32 v33, 4, v24
	v_and_or_b32 v28, v31, s16, v28
	v_bfe_u32 v31, v26, 16, 8
	v_and_or_b32 v32, v33, s16, v32
	v_lshlrev_b32_sdwa v33, v23, v24 dst_sel:DWORD dst_unused:UNUSED_PAD src0_sel:DWORD src1_sel:BYTE_1
	v_and_or_b32 v31, v33, s16, v31
	v_and_b32_sdwa v33, v24, v23 dst_sel:DWORD dst_unused:UNUSED_PAD src0_sel:BYTE_1 src1_sel:DWORD
	v_cvt_f32_ubyte0_e32 v33, v33
	v_fmac_f32_e32 v29, 0xbd000000, v33
	v_lshrrev_b32_sdwa v33, v22, v24 dst_sel:DWORD dst_unused:UNUSED_PAD src0_sel:DWORD src1_sel:BYTE_1
	v_alignbit_b32 v26, v33, v26, 24
	v_lshlrev_b32_e32 v28, 3, v28
	v_and_b32_e32 v26, 0x7ff, v26
	global_load_dword v28, v28, s[10:11]
	v_lshlrev_b32_e32 v31, 3, v31
	v_lshlrev_b32_e32 v32, 3, v32
	;; [unrolled: 1-line block ×3, first 2 shown]
	global_load_dword v31, v31, s[10:11]
	s_nop 0
	global_load_dword v26, v26, s[10:11]
	s_nop 0
	global_load_dword v32, v32, s[10:11]
	v_and_b32_e32 v33, 8, v33
	v_cvt_f32_ubyte0_e32 v33, v33
	v_fmac_f32_e32 v30, 0xbd000000, v33
	s_waitcnt vmcnt(8)
	v_dot4_i32_i8 v33, v2, s0, 0
	v_dot4_i32_i8 v33, v3, s0, v33
	v_cvt_f32_i32_e32 v33, v33
	s_waitcnt vmcnt(5)
	v_pk_lshrrev_b16 v11, s14, v11
	s_waitcnt vmcnt(4)
	v_lshrrev_b32_e32 v27, v18, v27
	v_pk_lshrrev_b16 v12, 4, v12
	v_fma_f32 v29, v29, v33, 0
	v_dot4_i32_i8 v33, v4, s0, 0
	v_dot4_i32_i8 v33, v25, s0, v33
	v_cvt_f32_i32_e32 v33, v33
	v_and_b32_e32 v12, 0xf0000f00, v12
	v_cvt_f32_f16_e32 v5, v5
	v_fmac_f32_e32 v29, v30, v33
	v_and_b32_e32 v33, 8, v24
	v_bfe_u32 v24, v24, 4, 4
	v_mov_b32_e32 v30, 0xbf600000
	v_cvt_f32_ubyte0_e32 v33, v33
	v_and_b32_e32 v24, 8, v24
	v_fmac_f32_e32 v30, 0xbd000000, v33
	v_mov_b32_e32 v33, 0xbf600000
	v_cvt_f32_ubyte0_e32 v24, v24
	v_fmac_f32_e32 v33, 0xbd000000, v24
	v_dot4_i32_i8 v24, v6, s0, 0
	v_dot4_i32_i8 v24, v7, s0, v24
	v_cvt_f32_i32_e32 v24, v24
	v_fma_f32 v24, v30, v24, 0
	v_dot4_i32_i8 v30, v8, s0, 0
	v_dot4_i32_i8 v30, v1, s0, v30
	v_cvt_f32_i32_e32 v30, v30
	v_fmac_f32_e32 v24, v33, v30
	v_and_b32_sdwa v30, v11, s15 dst_sel:DWORD dst_unused:UNUSED_PAD src0_sel:WORD_1 src1_sel:DWORD
	v_or_b32_e32 v11, v30, v11
	v_lshlrev_b32_e32 v30, 1, v27
	v_and_b32_e32 v30, 14, v30
	v_or_b32_e32 v11, v11, v12
	v_or_b32_e32 v30, 1, v30
	v_or_b32_sdwa v11, v11, v12 dst_sel:DWORD dst_unused:UNUSED_PAD src0_sel:DWORD src1_sel:WORD_1
	v_cvt_f32_ubyte0_e32 v12, v30
	v_lshrrev_b32_e32 v27, 2, v27
	v_and_b32_e32 v27, 14, v27
	v_cvt_f32_f16_e32 v11, v11
	v_or_b32_e32 v27, 1, v27
	v_cvt_f32_ubyte0_e32 v27, v27
	s_waitcnt vmcnt(3)
	v_and_b32_e32 v30, 0xf0f0f0f, v28
	v_lshrrev_b32_e32 v28, 4, v28
	v_and_b32_e32 v28, 0xf0f0f0f, v28
	v_dot4_i32_i8 v6, v30, v6, 0
	v_dot4_i32_i8 v6, v28, v7, v6
	s_waitcnt vmcnt(0)
	v_and_b32_e32 v7, 0xf0f0f0f, v32
	v_dot4_i32_i8 v6, v7, v8, v6
	v_and_b32_e32 v7, 0xf0f0f0f, v31
	v_lshrrev_b32_e32 v8, 4, v31
	v_and_b32_e32 v8, 0xf0f0f0f, v8
	v_dot4_i32_i8 v2, v7, v2, 0
	v_and_b32_e32 v7, 0xf0f0f0f, v26
	v_lshrrev_b32_e32 v26, 4, v26
	v_dot4_i32_i8 v2, v8, v3, v2
	v_lshrrev_b32_e32 v28, 4, v32
	v_and_b32_e32 v8, 0xf0f0f0f, v26
	v_dot4_i32_i8 v2, v7, v4, v2
	v_and_b32_e32 v3, 0xf0f0f0f, v28
	v_dot4_i32_i8 v2, v8, v25, v2
	v_dot4_i32_i8 v1, v3, v1, v6
	v_cvt_f32_i32_e32 v2, v2
	v_cvt_f32_i32_e32 v1, v1
	v_mul_f32_e32 v3, v5, v11
	v_add_f32_e32 v2, v29, v2
	v_add_f32_e32 v1, v24, v1
	v_mul_f32_e32 v2, v2, v27
	v_fmac_f32_e32 v2, v1, v12
	v_fmac_f32_e32 v14, v3, v2
	s_andn2_b64 exec, exec, s[4:5]
	s_cbranch_execnz .LBB76_3
; %bb.4:
	s_or_b64 exec, exec, s[4:5]
.LBB76_5:
	s_or_b64 exec, exec, s[12:13]
	v_mbcnt_lo_u32_b32 v1, -1, 0
	v_mbcnt_hi_u32_b32 v2, -1, v1
	v_and_b32_e32 v1, 64, v2
	v_add_u32_e32 v3, 64, v1
	v_xor_b32_e32 v1, 32, v2
	v_cmp_lt_i32_e32 vcc, v1, v3
	v_cndmask_b32_e32 v1, v2, v1, vcc
	v_lshlrev_b32_e32 v1, 2, v1
	ds_bpermute_b32 v1, v1, v14
	v_xor_b32_e32 v4, 16, v2
	v_cmp_lt_i32_e32 vcc, v4, v3
	v_cndmask_b32_e32 v4, v2, v4, vcc
	v_lshlrev_b32_e32 v4, 2, v4
	s_waitcnt lgkmcnt(0)
	v_add_f32_e32 v1, v14, v1
	ds_bpermute_b32 v4, v4, v1
	v_xor_b32_e32 v5, 8, v2
	v_cmp_lt_i32_e32 vcc, v5, v3
	s_waitcnt lgkmcnt(0)
	v_add_f32_e32 v1, v1, v4
	v_cndmask_b32_e32 v4, v2, v5, vcc
	v_lshlrev_b32_e32 v4, 2, v4
	ds_bpermute_b32 v4, v4, v1
	v_xor_b32_e32 v5, 4, v2
	v_cmp_lt_i32_e32 vcc, v5, v3
	s_waitcnt lgkmcnt(0)
	v_add_f32_e32 v1, v1, v4
	v_cndmask_b32_e32 v4, v2, v5, vcc
	v_lshlrev_b32_e32 v4, 2, v4
	;; [unrolled: 7-line block ×3, first 2 shown]
	ds_bpermute_b32 v4, v4, v1
	v_xor_b32_e32 v5, 1, v2
	v_cmp_lt_i32_e32 vcc, v5, v3
	v_cndmask_b32_e32 v2, v2, v5, vcc
	v_lshlrev_b32_e32 v2, 2, v2
	s_waitcnt lgkmcnt(0)
	v_add_f32_e32 v1, v1, v4
	ds_bpermute_b32 v2, v2, v1
	v_cmp_eq_u32_e32 vcc, 0, v0
	s_and_b64 exec, exec, vcc
	s_cbranch_execz .LBB76_7
; %bb.6:
	s_mul_i32 s0, s1, s7
	s_waitcnt lgkmcnt(0)
	v_add_f32_e32 v2, v1, v2
	v_add_u32_e32 v0, s0, v13
	v_mov_b32_e32 v1, 0
	v_lshlrev_b64 v[0:1], 2, v[0:1]
	v_mov_b32_e32 v3, s3
	v_add_co_u32_e32 v0, vcc, s2, v0
	v_addc_co_u32_e32 v1, vcc, v3, v1, vcc
	global_store_dword v[0:1], v2, off
.LBB76_7:
	s_endpgm
	.section	.rodata,"a",@progbits
	.p2align	6, 0x0
	.amdhsa_kernel _ZL13mul_mat_vec_qIfLi256ELi8E11block_iq1_mLi1EXadL_ZL18vec_dot_iq1_m_q8_1PKvPK10block_q8_1RKiEEEvS2_S2_PT_iii
		.amdhsa_group_segment_fixed_size 0
		.amdhsa_private_segment_fixed_size 0
		.amdhsa_kernarg_size 296
		.amdhsa_user_sgpr_count 6
		.amdhsa_user_sgpr_private_segment_buffer 1
		.amdhsa_user_sgpr_dispatch_ptr 0
		.amdhsa_user_sgpr_queue_ptr 0
		.amdhsa_user_sgpr_kernarg_segment_ptr 1
		.amdhsa_user_sgpr_dispatch_id 0
		.amdhsa_user_sgpr_flat_scratch_init 0
		.amdhsa_user_sgpr_private_segment_size 0
		.amdhsa_uses_dynamic_stack 0
		.amdhsa_system_sgpr_private_segment_wavefront_offset 0
		.amdhsa_system_sgpr_workgroup_id_x 1
		.amdhsa_system_sgpr_workgroup_id_y 1
		.amdhsa_system_sgpr_workgroup_id_z 0
		.amdhsa_system_sgpr_workgroup_info 0
		.amdhsa_system_vgpr_workitem_id 1
		.amdhsa_next_free_vgpr 34
		.amdhsa_next_free_sgpr 17
		.amdhsa_reserve_vcc 1
		.amdhsa_reserve_flat_scratch 0
		.amdhsa_float_round_mode_32 0
		.amdhsa_float_round_mode_16_64 0
		.amdhsa_float_denorm_mode_32 3
		.amdhsa_float_denorm_mode_16_64 3
		.amdhsa_dx10_clamp 1
		.amdhsa_ieee_mode 1
		.amdhsa_fp16_overflow 0
		.amdhsa_exception_fp_ieee_invalid_op 0
		.amdhsa_exception_fp_denorm_src 0
		.amdhsa_exception_fp_ieee_div_zero 0
		.amdhsa_exception_fp_ieee_overflow 0
		.amdhsa_exception_fp_ieee_underflow 0
		.amdhsa_exception_fp_ieee_inexact 0
		.amdhsa_exception_int_div_zero 0
	.end_amdhsa_kernel
	.section	.text._ZL13mul_mat_vec_qIfLi256ELi8E11block_iq1_mLi1EXadL_ZL18vec_dot_iq1_m_q8_1PKvPK10block_q8_1RKiEEEvS2_S2_PT_iii,"axG",@progbits,_ZL13mul_mat_vec_qIfLi256ELi8E11block_iq1_mLi1EXadL_ZL18vec_dot_iq1_m_q8_1PKvPK10block_q8_1RKiEEEvS2_S2_PT_iii,comdat
.Lfunc_end76:
	.size	_ZL13mul_mat_vec_qIfLi256ELi8E11block_iq1_mLi1EXadL_ZL18vec_dot_iq1_m_q8_1PKvPK10block_q8_1RKiEEEvS2_S2_PT_iii, .Lfunc_end76-_ZL13mul_mat_vec_qIfLi256ELi8E11block_iq1_mLi1EXadL_ZL18vec_dot_iq1_m_q8_1PKvPK10block_q8_1RKiEEEvS2_S2_PT_iii
                                        ; -- End function
	.set _ZL13mul_mat_vec_qIfLi256ELi8E11block_iq1_mLi1EXadL_ZL18vec_dot_iq1_m_q8_1PKvPK10block_q8_1RKiEEEvS2_S2_PT_iii.num_vgpr, 34
	.set _ZL13mul_mat_vec_qIfLi256ELi8E11block_iq1_mLi1EXadL_ZL18vec_dot_iq1_m_q8_1PKvPK10block_q8_1RKiEEEvS2_S2_PT_iii.num_agpr, 0
	.set _ZL13mul_mat_vec_qIfLi256ELi8E11block_iq1_mLi1EXadL_ZL18vec_dot_iq1_m_q8_1PKvPK10block_q8_1RKiEEEvS2_S2_PT_iii.numbered_sgpr, 17
	.set _ZL13mul_mat_vec_qIfLi256ELi8E11block_iq1_mLi1EXadL_ZL18vec_dot_iq1_m_q8_1PKvPK10block_q8_1RKiEEEvS2_S2_PT_iii.num_named_barrier, 0
	.set _ZL13mul_mat_vec_qIfLi256ELi8E11block_iq1_mLi1EXadL_ZL18vec_dot_iq1_m_q8_1PKvPK10block_q8_1RKiEEEvS2_S2_PT_iii.private_seg_size, 0
	.set _ZL13mul_mat_vec_qIfLi256ELi8E11block_iq1_mLi1EXadL_ZL18vec_dot_iq1_m_q8_1PKvPK10block_q8_1RKiEEEvS2_S2_PT_iii.uses_vcc, 1
	.set _ZL13mul_mat_vec_qIfLi256ELi8E11block_iq1_mLi1EXadL_ZL18vec_dot_iq1_m_q8_1PKvPK10block_q8_1RKiEEEvS2_S2_PT_iii.uses_flat_scratch, 0
	.set _ZL13mul_mat_vec_qIfLi256ELi8E11block_iq1_mLi1EXadL_ZL18vec_dot_iq1_m_q8_1PKvPK10block_q8_1RKiEEEvS2_S2_PT_iii.has_dyn_sized_stack, 0
	.set _ZL13mul_mat_vec_qIfLi256ELi8E11block_iq1_mLi1EXadL_ZL18vec_dot_iq1_m_q8_1PKvPK10block_q8_1RKiEEEvS2_S2_PT_iii.has_recursion, 0
	.set _ZL13mul_mat_vec_qIfLi256ELi8E11block_iq1_mLi1EXadL_ZL18vec_dot_iq1_m_q8_1PKvPK10block_q8_1RKiEEEvS2_S2_PT_iii.has_indirect_call, 0
	.section	.AMDGPU.csdata,"",@progbits
; Kernel info:
; codeLenInByte = 1328
; TotalNumSgprs: 21
; NumVgprs: 34
; ScratchSize: 0
; MemoryBound: 0
; FloatMode: 240
; IeeeMode: 1
; LDSByteSize: 0 bytes/workgroup (compile time only)
; SGPRBlocks: 2
; VGPRBlocks: 8
; NumSGPRsForWavesPerEU: 21
; NumVGPRsForWavesPerEU: 34
; Occupancy: 7
; WaveLimiterHint : 0
; COMPUTE_PGM_RSRC2:SCRATCH_EN: 0
; COMPUTE_PGM_RSRC2:USER_SGPR: 6
; COMPUTE_PGM_RSRC2:TRAP_HANDLER: 0
; COMPUTE_PGM_RSRC2:TGID_X_EN: 1
; COMPUTE_PGM_RSRC2:TGID_Y_EN: 1
; COMPUTE_PGM_RSRC2:TGID_Z_EN: 0
; COMPUTE_PGM_RSRC2:TIDIG_COMP_CNT: 1
	.section	.text._ZL13quantize_q8_1IN3c104HalfEEvPKT_Pvii,"axG",@progbits,_ZL13quantize_q8_1IN3c104HalfEEvPKT_Pvii,comdat
	.globl	_ZL13quantize_q8_1IN3c104HalfEEvPKT_Pvii ; -- Begin function _ZL13quantize_q8_1IN3c104HalfEEvPKT_Pvii
	.p2align	8
	.type	_ZL13quantize_q8_1IN3c104HalfEEvPKT_Pvii,@function
_ZL13quantize_q8_1IN3c104HalfEEvPKT_Pvii: ; @_ZL13quantize_q8_1IN3c104HalfEEvPKT_Pvii
; %bb.0:
	s_load_dword s2, s[4:5], 0x24
	s_load_dwordx2 s[0:1], s[4:5], 0x10
	s_add_u32 s8, s4, 24
	s_addc_u32 s9, s5, 0
	s_waitcnt lgkmcnt(0)
	s_and_b32 s2, s2, 0xffff
	s_mul_i32 s6, s6, s2
	v_add_u32_e32 v0, s6, v0
	v_cmp_gt_u32_e32 vcc, s1, v0
	s_and_saveexec_b64 s[2:3], vcc
	s_cbranch_execz .LBB77_7
; %bb.1:
	s_load_dword s6, s[8:9], 0xc
	s_load_dwordx2 s[2:3], s[4:5], 0x8
	v_cmp_gt_u32_e32 vcc, s0, v0
	v_mov_b32_e32 v2, 0
	v_mov_b32_e32 v3, 0
	s_waitcnt lgkmcnt(0)
	s_lshr_b32 s6, s6, 16
	s_mul_i32 s7, s7, s6
	v_add_u32_e32 v1, s7, v1
	s_and_saveexec_b64 s[6:7], vcc
	s_cbranch_execz .LBB77_3
; %bb.2:
	v_mad_u64_u32 v[3:4], s[8:9], v1, s0, v[0:1]
	s_load_dwordx2 s[4:5], s[4:5], 0x0
	v_mov_b32_e32 v4, 0
	v_lshlrev_b64 v[3:4], 1, v[3:4]
	s_waitcnt lgkmcnt(0)
	v_mov_b32_e32 v5, s5
	v_add_co_u32_e32 v3, vcc, s4, v3
	v_addc_co_u32_e32 v4, vcc, v5, v4, vcc
	global_load_ushort v3, v[3:4], off
	s_waitcnt vmcnt(0)
	v_cvt_f32_f16_e32 v3, v3
.LBB77_3:
	s_or_b64 exec, exec, s[6:7]
	v_mbcnt_lo_u32_b32 v5, -1, 0
	v_mbcnt_hi_u32_b32 v5, -1, v5
	v_and_b32_e32 v6, 0x60, v5
	v_add_u32_e32 v6, 32, v6
	v_xor_b32_e32 v7, 16, v5
	v_cmp_lt_i32_e32 vcc, v7, v6
	v_cndmask_b32_e32 v7, v5, v7, vcc
	v_and_b32_e32 v4, 0x7fffffff, v3
	v_lshlrev_b32_e32 v7, 2, v7
	ds_bpermute_b32 v4, v7, v4
	v_max_f32_e64 v8, |v3|, |v3|
	s_mov_b32 s6, 0x42fe0000
	ds_bpermute_b32 v7, v7, v3
	s_brev_b32 s0, -2
	s_waitcnt lgkmcnt(1)
	v_max_f32_e32 v4, v4, v4
	v_max_f32_e32 v4, v8, v4
	v_xor_b32_e32 v8, 8, v5
	v_cmp_lt_i32_e32 vcc, v8, v6
	v_cndmask_b32_e32 v8, v5, v8, vcc
	v_lshlrev_b32_e32 v8, 2, v8
	ds_bpermute_b32 v9, v8, v4
	s_waitcnt lgkmcnt(1)
	v_add_f32_e32 v7, v3, v7
	ds_bpermute_b32 v8, v8, v7
	s_waitcnt lgkmcnt(1)
	v_max_f32_e32 v9, v9, v9
	v_max_f32_e32 v4, v4, v9
	v_xor_b32_e32 v9, 4, v5
	v_cmp_lt_i32_e32 vcc, v9, v6
	v_cndmask_b32_e32 v9, v5, v9, vcc
	v_lshlrev_b32_e32 v9, 2, v9
	ds_bpermute_b32 v10, v9, v4
	s_waitcnt lgkmcnt(1)
	v_add_f32_e32 v7, v7, v8
	s_waitcnt lgkmcnt(0)
	v_max_f32_e32 v10, v10, v10
	v_max_f32_e32 v4, v4, v10
	v_xor_b32_e32 v10, 2, v5
	v_cmp_lt_i32_e32 vcc, v10, v6
	v_cndmask_b32_e32 v10, v5, v10, vcc
	v_lshlrev_b32_e32 v10, 2, v10
	ds_bpermute_b32 v11, v10, v4
	s_waitcnt lgkmcnt(0)
	v_max_f32_e32 v11, v11, v11
	v_max_f32_e32 v4, v4, v11
	v_xor_b32_e32 v11, 1, v5
	v_cmp_lt_i32_e32 vcc, v11, v6
	v_cndmask_b32_e32 v5, v5, v11, vcc
	v_lshlrev_b32_e32 v5, 2, v5
	ds_bpermute_b32 v6, v5, v4
	s_waitcnt lgkmcnt(0)
	v_max_f32_e32 v6, v6, v6
	v_max_f32_e32 v11, v4, v6
	v_div_scale_f32 v4, s[4:5], s6, s6, v11
	v_div_scale_f32 v6, vcc, v11, s6, v11
	v_rcp_f32_e32 v12, v4
	v_fma_f32 v8, -v4, v12, 1.0
	v_fmac_f32_e32 v12, v8, v12
	v_mul_f32_e32 v8, v6, v12
	v_fma_f32 v13, -v4, v8, v6
	v_fmac_f32_e32 v8, v13, v12
	v_fma_f32 v4, -v4, v8, v6
	v_div_fmas_f32 v6, v4, v12, v8
	ds_bpermute_b32 v4, v9, v7
	v_cmp_neq_f32_e32 vcc, 0, v11
	s_waitcnt lgkmcnt(0)
	v_add_f32_e32 v4, v7, v4
	ds_bpermute_b32 v7, v10, v4
	s_waitcnt lgkmcnt(0)
	v_add_f32_e32 v4, v4, v7
	ds_bpermute_b32 v5, v5, v4
	v_div_fixup_f32 v6, v6, s6, v11
	s_and_saveexec_b64 s[4:5], vcc
	s_cbranch_execz .LBB77_5
; %bb.4:
	v_div_scale_f32 v2, s[6:7], v6, v6, v3
	v_div_scale_f32 v7, vcc, v3, v6, v3
	v_rcp_f32_e32 v8, v2
	v_fma_f32 v9, -v2, v8, 1.0
	v_fmac_f32_e32 v8, v9, v8
	v_mul_f32_e32 v9, v7, v8
	v_fma_f32 v10, -v2, v9, v7
	v_fmac_f32_e32 v9, v10, v8
	v_fma_f32 v2, -v2, v9, v7
	v_div_fmas_f32 v2, v2, v8, v9
	v_div_fixup_f32 v2, v2, v6, v3
	v_trunc_f32_e32 v3, v2
	v_sub_f32_e32 v7, v2, v3
	v_cmp_ge_f32_e64 s[6:7], |v7|, 0.5
	v_cndmask_b32_e64 v7, 0, 1.0, s[6:7]
	v_bfi_b32 v2, s0, v7, v2
	v_add_f32_e32 v2, v3, v2
	v_cvt_i32_f32_e32 v2, v2
.LBB77_5:
	s_or_b64 exec, exec, s[4:5]
	v_mad_u64_u32 v[7:8], s[0:1], v1, s1, v[0:1]
	v_ashrrev_i32_e32 v0, 31, v7
	v_lshrrev_b32_e32 v0, 27, v0
	v_add_u32_e32 v0, v7, v0
	v_ashrrev_i32_e32 v1, 5, v0
	v_and_b32_e32 v3, 0xffffffe0, v0
	v_mad_i64_i32 v[0:1], s[0:1], v1, 36, s[2:3]
	v_sub_u32_e32 v3, v7, v3
	v_ashrrev_i32_e32 v8, 31, v3
	v_add_co_u32_e32 v7, vcc, v0, v3
	v_addc_co_u32_e32 v8, vcc, v1, v8, vcc
	v_cmp_gt_i32_e32 vcc, 1, v3
	global_store_byte v[7:8], v2, off offset:4
	s_and_b64 exec, exec, vcc
	s_cbranch_execz .LBB77_7
; %bb.6:
	s_waitcnt lgkmcnt(0)
	v_add_f32_e32 v2, v4, v5
	v_cvt_f16_f32_e32 v2, v2
	v_cvt_f16_f32_e32 v3, v6
	v_pack_b32_f16 v2, v3, v2
	global_store_dword v[0:1], v2, off
.LBB77_7:
	s_endpgm
	.section	.rodata,"a",@progbits
	.p2align	6, 0x0
	.amdhsa_kernel _ZL13quantize_q8_1IN3c104HalfEEvPKT_Pvii
		.amdhsa_group_segment_fixed_size 0
		.amdhsa_private_segment_fixed_size 0
		.amdhsa_kernarg_size 280
		.amdhsa_user_sgpr_count 6
		.amdhsa_user_sgpr_private_segment_buffer 1
		.amdhsa_user_sgpr_dispatch_ptr 0
		.amdhsa_user_sgpr_queue_ptr 0
		.amdhsa_user_sgpr_kernarg_segment_ptr 1
		.amdhsa_user_sgpr_dispatch_id 0
		.amdhsa_user_sgpr_flat_scratch_init 0
		.amdhsa_user_sgpr_private_segment_size 0
		.amdhsa_uses_dynamic_stack 0
		.amdhsa_system_sgpr_private_segment_wavefront_offset 0
		.amdhsa_system_sgpr_workgroup_id_x 1
		.amdhsa_system_sgpr_workgroup_id_y 1
		.amdhsa_system_sgpr_workgroup_id_z 0
		.amdhsa_system_sgpr_workgroup_info 0
		.amdhsa_system_vgpr_workitem_id 1
		.amdhsa_next_free_vgpr 14
		.amdhsa_next_free_sgpr 10
		.amdhsa_reserve_vcc 1
		.amdhsa_reserve_flat_scratch 0
		.amdhsa_float_round_mode_32 0
		.amdhsa_float_round_mode_16_64 0
		.amdhsa_float_denorm_mode_32 3
		.amdhsa_float_denorm_mode_16_64 3
		.amdhsa_dx10_clamp 1
		.amdhsa_ieee_mode 1
		.amdhsa_fp16_overflow 0
		.amdhsa_exception_fp_ieee_invalid_op 0
		.amdhsa_exception_fp_denorm_src 0
		.amdhsa_exception_fp_ieee_div_zero 0
		.amdhsa_exception_fp_ieee_overflow 0
		.amdhsa_exception_fp_ieee_underflow 0
		.amdhsa_exception_fp_ieee_inexact 0
		.amdhsa_exception_int_div_zero 0
	.end_amdhsa_kernel
	.section	.text._ZL13quantize_q8_1IN3c104HalfEEvPKT_Pvii,"axG",@progbits,_ZL13quantize_q8_1IN3c104HalfEEvPKT_Pvii,comdat
.Lfunc_end77:
	.size	_ZL13quantize_q8_1IN3c104HalfEEvPKT_Pvii, .Lfunc_end77-_ZL13quantize_q8_1IN3c104HalfEEvPKT_Pvii
                                        ; -- End function
	.set _ZL13quantize_q8_1IN3c104HalfEEvPKT_Pvii.num_vgpr, 14
	.set _ZL13quantize_q8_1IN3c104HalfEEvPKT_Pvii.num_agpr, 0
	.set _ZL13quantize_q8_1IN3c104HalfEEvPKT_Pvii.numbered_sgpr, 10
	.set _ZL13quantize_q8_1IN3c104HalfEEvPKT_Pvii.num_named_barrier, 0
	.set _ZL13quantize_q8_1IN3c104HalfEEvPKT_Pvii.private_seg_size, 0
	.set _ZL13quantize_q8_1IN3c104HalfEEvPKT_Pvii.uses_vcc, 1
	.set _ZL13quantize_q8_1IN3c104HalfEEvPKT_Pvii.uses_flat_scratch, 0
	.set _ZL13quantize_q8_1IN3c104HalfEEvPKT_Pvii.has_dyn_sized_stack, 0
	.set _ZL13quantize_q8_1IN3c104HalfEEvPKT_Pvii.has_recursion, 0
	.set _ZL13quantize_q8_1IN3c104HalfEEvPKT_Pvii.has_indirect_call, 0
	.section	.AMDGPU.csdata,"",@progbits
; Kernel info:
; codeLenInByte = 792
; TotalNumSgprs: 14
; NumVgprs: 14
; ScratchSize: 0
; MemoryBound: 0
; FloatMode: 240
; IeeeMode: 1
; LDSByteSize: 0 bytes/workgroup (compile time only)
; SGPRBlocks: 1
; VGPRBlocks: 3
; NumSGPRsForWavesPerEU: 14
; NumVGPRsForWavesPerEU: 14
; Occupancy: 10
; WaveLimiterHint : 0
; COMPUTE_PGM_RSRC2:SCRATCH_EN: 0
; COMPUTE_PGM_RSRC2:USER_SGPR: 6
; COMPUTE_PGM_RSRC2:TRAP_HANDLER: 0
; COMPUTE_PGM_RSRC2:TGID_X_EN: 1
; COMPUTE_PGM_RSRC2:TGID_Y_EN: 1
; COMPUTE_PGM_RSRC2:TGID_Z_EN: 0
; COMPUTE_PGM_RSRC2:TIDIG_COMP_CNT: 1
	.section	.text._ZL13mul_mat_vec_qIN3c104HalfELi32ELi4E10block_q4_0Li2EXadL_ZL17vec_dot_q4_0_q8_1PKvPK10block_q8_1RKiEEEvS4_S4_PT_iii,"axG",@progbits,_ZL13mul_mat_vec_qIN3c104HalfELi32ELi4E10block_q4_0Li2EXadL_ZL17vec_dot_q4_0_q8_1PKvPK10block_q8_1RKiEEEvS4_S4_PT_iii,comdat
	.globl	_ZL13mul_mat_vec_qIN3c104HalfELi32ELi4E10block_q4_0Li2EXadL_ZL17vec_dot_q4_0_q8_1PKvPK10block_q8_1RKiEEEvS4_S4_PT_iii ; -- Begin function _ZL13mul_mat_vec_qIN3c104HalfELi32ELi4E10block_q4_0Li2EXadL_ZL17vec_dot_q4_0_q8_1PKvPK10block_q8_1RKiEEEvS4_S4_PT_iii
	.p2align	8
	.type	_ZL13mul_mat_vec_qIN3c104HalfELi32ELi4E10block_q4_0Li2EXadL_ZL17vec_dot_q4_0_q8_1PKvPK10block_q8_1RKiEEEvS4_S4_PT_iii,@function
_ZL13mul_mat_vec_qIN3c104HalfELi32ELi4E10block_q4_0Li2EXadL_ZL17vec_dot_q4_0_q8_1PKvPK10block_q8_1RKiEEEvS4_S4_PT_iii: ; @_ZL13mul_mat_vec_qIN3c104HalfELi32ELi4E10block_q4_0Li2EXadL_ZL17vec_dot_q4_0_q8_1PKvPK10block_q8_1RKiEEEvS4_S4_PT_iii
; %bb.0:
	s_load_dword s8, s[4:5], 0x34
	s_load_dwordx4 s[0:3], s[4:5], 0x18
	s_waitcnt lgkmcnt(0)
	s_lshr_b32 s3, s8, 16
	s_mul_i32 s6, s6, s3
	v_add_u32_e32 v1, s6, v1
	s_cmp_lt_u32 s7, s2
	v_cmp_gt_u32_e32 vcc, s1, v1
	s_cselect_b64 s[2:3], -1, 0
	s_and_b64 s[2:3], s[2:3], vcc
	s_and_saveexec_b64 s[8:9], s[2:3]
	s_cbranch_execz .LBB78_7
; %bb.1:
	s_load_dwordx2 s[2:3], s[4:5], 0x10
	s_ashr_i32 s6, s0, 31
	s_lshr_b32 s6, s6, 27
	s_add_i32 s6, s0, s6
	s_ashr_i32 s6, s6, 5
	v_lshrrev_b32_e32 v3, 1, v0
	v_cmp_gt_u32_e32 vcc, s6, v3
	v_mov_b32_e32 v2, 0
	s_and_saveexec_b64 s[12:13], vcc
	s_cbranch_execz .LBB78_5
; %bb.2:
	s_addk_i32 s0, 0x1ff
	s_load_dwordx4 s[8:11], s[4:5], 0x0
	s_ashr_i32 s4, s0, 31
	s_lshr_b32 s4, s4, 23
	s_add_i32 s0, s0, s4
	v_mul_lo_u32 v4, v1, s6
	s_ashr_i32 s0, s0, 9
	s_mul_i32 s0, s7, s0
	v_lshlrev_b32_e32 v2, 3, v0
	s_lshl_b32 s0, s0, 4
	v_and_b32_e32 v5, 8, v2
	v_mov_b32_e32 v2, 0
	s_mov_b64 s[4:5], 0
.LBB78_3:                               ; =>This Inner Loop Header: Depth=1
	v_add_u32_e32 v6, v4, v3
	s_waitcnt lgkmcnt(0)
	v_mad_i64_i32 v[6:7], s[14:15], v6, 18, s[8:9]
	v_add_u32_e32 v8, s0, v3
	v_mad_i64_i32 v[8:9], s[14:15], v8, 36, s[10:11]
	v_add_co_u32_e32 v10, vcc, v6, v5
	v_addc_co_u32_e32 v11, vcc, 0, v7, vcc
	v_add_co_u32_e32 v12, vcc, v8, v5
	v_addc_co_u32_e32 v13, vcc, 0, v9, vcc
	global_load_dwordx2 v[14:15], v[10:11], off offset:2
	global_load_dwordx2 v[16:17], v[12:13], off offset:4
	;; [unrolled: 1-line block ×3, first 2 shown]
	global_load_dword v20, v[8:9], off
	global_load_ushort v21, v[6:7], off
	v_add_u32_e32 v3, 32, v3
	v_cmp_le_u32_e32 vcc, s6, v3
	s_or_b64 s[4:5], vcc, s[4:5]
	s_waitcnt vmcnt(4)
	v_and_b32_e32 v7, 0xf0f0f0f, v14
	v_lshrrev_b32_e32 v8, 4, v14
	v_and_b32_e32 v8, 0xf0f0f0f, v8
	s_waitcnt vmcnt(3)
	v_dot4_i32_i8 v7, v7, v16, 0
	v_and_b32_e32 v9, 0xf0f0f0f, v15
	v_lshrrev_b32_e32 v10, 4, v15
	s_waitcnt vmcnt(2)
	v_dot4_i32_i8 v7, v8, v18, v7
	v_and_b32_e32 v10, 0xf0f0f0f, v10
	v_dot4_i32_i8 v7, v9, v17, v7
	s_waitcnt vmcnt(1)
	v_cvt_f32_f16_sdwa v6, v20 dst_sel:DWORD dst_unused:UNUSED_PAD src0_sel:WORD_1
	v_dot4_i32_i8 v7, v10, v19, v7
	v_cvt_f32_i32_e32 v7, v7
	v_mul_f32_e32 v6, -4.0, v6
	v_fma_mix_f32 v6, v7, v20, v6 op_sel_hi:[0,1,0]
	s_waitcnt vmcnt(0)
	v_fma_mix_f32 v2, v6, v21, v2 op_sel_hi:[0,1,0]
	s_andn2_b64 exec, exec, s[4:5]
	s_cbranch_execnz .LBB78_3
; %bb.4:
	s_or_b64 exec, exec, s[4:5]
.LBB78_5:
	s_or_b64 exec, exec, s[12:13]
	v_mbcnt_lo_u32_b32 v3, -1, 0
	v_mbcnt_hi_u32_b32 v3, -1, v3
	v_and_b32_e32 v4, 64, v3
	v_add_u32_e32 v4, 64, v4
	v_xor_b32_e32 v5, 32, v3
	v_cmp_lt_i32_e32 vcc, v5, v4
	v_cndmask_b32_e32 v5, v3, v5, vcc
	v_lshlrev_b32_e32 v5, 2, v5
	ds_bpermute_b32 v5, v5, v2
	v_xor_b32_e32 v6, 16, v3
	v_cmp_lt_i32_e32 vcc, v6, v4
	s_waitcnt lgkmcnt(0)
	v_add_f32_e32 v2, v2, v5
	v_cndmask_b32_e32 v5, v3, v6, vcc
	v_lshlrev_b32_e32 v5, 2, v5
	ds_bpermute_b32 v5, v5, v2
	v_xor_b32_e32 v6, 8, v3
	v_cmp_lt_i32_e32 vcc, v6, v4
	s_waitcnt lgkmcnt(0)
	v_add_f32_e32 v2, v2, v5
	;; [unrolled: 7-line block ×4, first 2 shown]
	v_cndmask_b32_e32 v5, v3, v6, vcc
	v_lshlrev_b32_e32 v5, 2, v5
	ds_bpermute_b32 v5, v5, v2
	v_xor_b32_e32 v6, 1, v3
	v_cmp_lt_i32_e32 vcc, v6, v4
	v_cndmask_b32_e32 v3, v3, v6, vcc
	v_lshlrev_b32_e32 v3, 2, v3
	s_waitcnt lgkmcnt(0)
	v_add_f32_e32 v2, v2, v5
	ds_bpermute_b32 v3, v3, v2
	v_cmp_eq_u32_e32 vcc, 0, v0
	s_and_b64 exec, exec, vcc
	s_cbranch_execz .LBB78_7
; %bb.6:
	s_waitcnt lgkmcnt(0)
	v_add_f32_e32 v0, v2, v3
	s_mul_i32 s0, s1, s7
	v_cvt_f16_f32_e32 v2, v0
	v_add_u32_e32 v0, s0, v1
	v_mov_b32_e32 v1, 0
	v_lshlrev_b64 v[0:1], 1, v[0:1]
	v_mov_b32_e32 v3, s3
	v_add_co_u32_e32 v0, vcc, s2, v0
	v_addc_co_u32_e32 v1, vcc, v3, v1, vcc
	global_store_short v[0:1], v2, off
.LBB78_7:
	s_endpgm
	.section	.rodata,"a",@progbits
	.p2align	6, 0x0
	.amdhsa_kernel _ZL13mul_mat_vec_qIN3c104HalfELi32ELi4E10block_q4_0Li2EXadL_ZL17vec_dot_q4_0_q8_1PKvPK10block_q8_1RKiEEEvS4_S4_PT_iii
		.amdhsa_group_segment_fixed_size 0
		.amdhsa_private_segment_fixed_size 0
		.amdhsa_kernarg_size 296
		.amdhsa_user_sgpr_count 6
		.amdhsa_user_sgpr_private_segment_buffer 1
		.amdhsa_user_sgpr_dispatch_ptr 0
		.amdhsa_user_sgpr_queue_ptr 0
		.amdhsa_user_sgpr_kernarg_segment_ptr 1
		.amdhsa_user_sgpr_dispatch_id 0
		.amdhsa_user_sgpr_flat_scratch_init 0
		.amdhsa_user_sgpr_private_segment_size 0
		.amdhsa_uses_dynamic_stack 0
		.amdhsa_system_sgpr_private_segment_wavefront_offset 0
		.amdhsa_system_sgpr_workgroup_id_x 1
		.amdhsa_system_sgpr_workgroup_id_y 1
		.amdhsa_system_sgpr_workgroup_id_z 0
		.amdhsa_system_sgpr_workgroup_info 0
		.amdhsa_system_vgpr_workitem_id 1
		.amdhsa_next_free_vgpr 22
		.amdhsa_next_free_sgpr 16
		.amdhsa_reserve_vcc 1
		.amdhsa_reserve_flat_scratch 0
		.amdhsa_float_round_mode_32 0
		.amdhsa_float_round_mode_16_64 0
		.amdhsa_float_denorm_mode_32 3
		.amdhsa_float_denorm_mode_16_64 3
		.amdhsa_dx10_clamp 1
		.amdhsa_ieee_mode 1
		.amdhsa_fp16_overflow 0
		.amdhsa_exception_fp_ieee_invalid_op 0
		.amdhsa_exception_fp_denorm_src 0
		.amdhsa_exception_fp_ieee_div_zero 0
		.amdhsa_exception_fp_ieee_overflow 0
		.amdhsa_exception_fp_ieee_underflow 0
		.amdhsa_exception_fp_ieee_inexact 0
		.amdhsa_exception_int_div_zero 0
	.end_amdhsa_kernel
	.section	.text._ZL13mul_mat_vec_qIN3c104HalfELi32ELi4E10block_q4_0Li2EXadL_ZL17vec_dot_q4_0_q8_1PKvPK10block_q8_1RKiEEEvS4_S4_PT_iii,"axG",@progbits,_ZL13mul_mat_vec_qIN3c104HalfELi32ELi4E10block_q4_0Li2EXadL_ZL17vec_dot_q4_0_q8_1PKvPK10block_q8_1RKiEEEvS4_S4_PT_iii,comdat
.Lfunc_end78:
	.size	_ZL13mul_mat_vec_qIN3c104HalfELi32ELi4E10block_q4_0Li2EXadL_ZL17vec_dot_q4_0_q8_1PKvPK10block_q8_1RKiEEEvS4_S4_PT_iii, .Lfunc_end78-_ZL13mul_mat_vec_qIN3c104HalfELi32ELi4E10block_q4_0Li2EXadL_ZL17vec_dot_q4_0_q8_1PKvPK10block_q8_1RKiEEEvS4_S4_PT_iii
                                        ; -- End function
	.set _ZL13mul_mat_vec_qIN3c104HalfELi32ELi4E10block_q4_0Li2EXadL_ZL17vec_dot_q4_0_q8_1PKvPK10block_q8_1RKiEEEvS4_S4_PT_iii.num_vgpr, 22
	.set _ZL13mul_mat_vec_qIN3c104HalfELi32ELi4E10block_q4_0Li2EXadL_ZL17vec_dot_q4_0_q8_1PKvPK10block_q8_1RKiEEEvS4_S4_PT_iii.num_agpr, 0
	.set _ZL13mul_mat_vec_qIN3c104HalfELi32ELi4E10block_q4_0Li2EXadL_ZL17vec_dot_q4_0_q8_1PKvPK10block_q8_1RKiEEEvS4_S4_PT_iii.numbered_sgpr, 16
	.set _ZL13mul_mat_vec_qIN3c104HalfELi32ELi4E10block_q4_0Li2EXadL_ZL17vec_dot_q4_0_q8_1PKvPK10block_q8_1RKiEEEvS4_S4_PT_iii.num_named_barrier, 0
	.set _ZL13mul_mat_vec_qIN3c104HalfELi32ELi4E10block_q4_0Li2EXadL_ZL17vec_dot_q4_0_q8_1PKvPK10block_q8_1RKiEEEvS4_S4_PT_iii.private_seg_size, 0
	.set _ZL13mul_mat_vec_qIN3c104HalfELi32ELi4E10block_q4_0Li2EXadL_ZL17vec_dot_q4_0_q8_1PKvPK10block_q8_1RKiEEEvS4_S4_PT_iii.uses_vcc, 1
	.set _ZL13mul_mat_vec_qIN3c104HalfELi32ELi4E10block_q4_0Li2EXadL_ZL17vec_dot_q4_0_q8_1PKvPK10block_q8_1RKiEEEvS4_S4_PT_iii.uses_flat_scratch, 0
	.set _ZL13mul_mat_vec_qIN3c104HalfELi32ELi4E10block_q4_0Li2EXadL_ZL17vec_dot_q4_0_q8_1PKvPK10block_q8_1RKiEEEvS4_S4_PT_iii.has_dyn_sized_stack, 0
	.set _ZL13mul_mat_vec_qIN3c104HalfELi32ELi4E10block_q4_0Li2EXadL_ZL17vec_dot_q4_0_q8_1PKvPK10block_q8_1RKiEEEvS4_S4_PT_iii.has_recursion, 0
	.set _ZL13mul_mat_vec_qIN3c104HalfELi32ELi4E10block_q4_0Li2EXadL_ZL17vec_dot_q4_0_q8_1PKvPK10block_q8_1RKiEEEvS4_S4_PT_iii.has_indirect_call, 0
	.section	.AMDGPU.csdata,"",@progbits
; Kernel info:
; codeLenInByte = 672
; TotalNumSgprs: 20
; NumVgprs: 22
; ScratchSize: 0
; MemoryBound: 0
; FloatMode: 240
; IeeeMode: 1
; LDSByteSize: 0 bytes/workgroup (compile time only)
; SGPRBlocks: 2
; VGPRBlocks: 5
; NumSGPRsForWavesPerEU: 20
; NumVGPRsForWavesPerEU: 22
; Occupancy: 10
; WaveLimiterHint : 0
; COMPUTE_PGM_RSRC2:SCRATCH_EN: 0
; COMPUTE_PGM_RSRC2:USER_SGPR: 6
; COMPUTE_PGM_RSRC2:TRAP_HANDLER: 0
; COMPUTE_PGM_RSRC2:TGID_X_EN: 1
; COMPUTE_PGM_RSRC2:TGID_Y_EN: 1
; COMPUTE_PGM_RSRC2:TGID_Z_EN: 0
; COMPUTE_PGM_RSRC2:TIDIG_COMP_CNT: 1
	.section	.text._ZL13mul_mat_vec_qIN3c104HalfELi32ELi4E10block_q4_1Li2EXadL_ZL17vec_dot_q4_1_q8_1PKvPK10block_q8_1RKiEEEvS4_S4_PT_iii,"axG",@progbits,_ZL13mul_mat_vec_qIN3c104HalfELi32ELi4E10block_q4_1Li2EXadL_ZL17vec_dot_q4_1_q8_1PKvPK10block_q8_1RKiEEEvS4_S4_PT_iii,comdat
	.globl	_ZL13mul_mat_vec_qIN3c104HalfELi32ELi4E10block_q4_1Li2EXadL_ZL17vec_dot_q4_1_q8_1PKvPK10block_q8_1RKiEEEvS4_S4_PT_iii ; -- Begin function _ZL13mul_mat_vec_qIN3c104HalfELi32ELi4E10block_q4_1Li2EXadL_ZL17vec_dot_q4_1_q8_1PKvPK10block_q8_1RKiEEEvS4_S4_PT_iii
	.p2align	8
	.type	_ZL13mul_mat_vec_qIN3c104HalfELi32ELi4E10block_q4_1Li2EXadL_ZL17vec_dot_q4_1_q8_1PKvPK10block_q8_1RKiEEEvS4_S4_PT_iii,@function
_ZL13mul_mat_vec_qIN3c104HalfELi32ELi4E10block_q4_1Li2EXadL_ZL17vec_dot_q4_1_q8_1PKvPK10block_q8_1RKiEEEvS4_S4_PT_iii: ; @_ZL13mul_mat_vec_qIN3c104HalfELi32ELi4E10block_q4_1Li2EXadL_ZL17vec_dot_q4_1_q8_1PKvPK10block_q8_1RKiEEEvS4_S4_PT_iii
; %bb.0:
	s_load_dword s8, s[4:5], 0x34
	s_load_dwordx4 s[0:3], s[4:5], 0x18
	s_waitcnt lgkmcnt(0)
	s_lshr_b32 s3, s8, 16
	s_mul_i32 s6, s6, s3
	v_add_u32_e32 v1, s6, v1
	s_cmp_lt_u32 s7, s2
	v_cmp_gt_u32_e32 vcc, s1, v1
	s_cselect_b64 s[2:3], -1, 0
	s_and_b64 s[2:3], s[2:3], vcc
	s_and_saveexec_b64 s[8:9], s[2:3]
	s_cbranch_execz .LBB79_7
; %bb.1:
	s_load_dwordx2 s[2:3], s[4:5], 0x10
	s_ashr_i32 s6, s0, 31
	s_lshr_b32 s6, s6, 27
	s_add_i32 s6, s0, s6
	s_ashr_i32 s6, s6, 5
	v_lshrrev_b32_e32 v3, 1, v0
	v_cmp_gt_u32_e32 vcc, s6, v3
	v_mov_b32_e32 v2, 0
	s_and_saveexec_b64 s[12:13], vcc
	s_cbranch_execz .LBB79_5
; %bb.2:
	s_addk_i32 s0, 0x1ff
	s_load_dwordx4 s[8:11], s[4:5], 0x0
	s_ashr_i32 s4, s0, 31
	s_lshr_b32 s4, s4, 23
	s_add_i32 s0, s0, s4
	v_mul_lo_u32 v4, v1, s6
	s_ashr_i32 s0, s0, 9
	s_mul_i32 s0, s7, s0
	v_lshlrev_b32_e32 v2, 3, v0
	s_lshl_b32 s0, s0, 4
	v_and_b32_e32 v5, 8, v2
	v_mov_b32_e32 v2, 0
	s_mov_b64 s[4:5], 0
.LBB79_3:                               ; =>This Inner Loop Header: Depth=1
	v_add_u32_e32 v6, v4, v3
	s_waitcnt lgkmcnt(0)
	v_mad_i64_i32 v[6:7], s[14:15], v6, 20, s[8:9]
	v_add_u32_e32 v8, s0, v3
	v_mad_i64_i32 v[8:9], s[14:15], v8, 36, s[10:11]
	v_add_co_u32_e32 v10, vcc, v6, v5
	v_addc_co_u32_e32 v11, vcc, 0, v7, vcc
	v_add_co_u32_e32 v12, vcc, v8, v5
	v_addc_co_u32_e32 v13, vcc, 0, v9, vcc
	global_load_dword v20, v[6:7], off
	global_load_dwordx2 v[14:15], v[10:11], off offset:4
	global_load_dwordx2 v[16:17], v[12:13], off offset:4
	;; [unrolled: 1-line block ×3, first 2 shown]
	global_load_dword v21, v[8:9], off
	v_add_u32_e32 v3, 32, v3
	v_cmp_le_u32_e32 vcc, s6, v3
	s_or_b64 s[4:5], vcc, s[4:5]
	s_waitcnt vmcnt(3)
	v_and_b32_e32 v7, 0xf0f0f0f, v14
	v_lshrrev_b32_e32 v8, 4, v14
	v_and_b32_e32 v8, 0xf0f0f0f, v8
	s_waitcnt vmcnt(2)
	v_dot4_i32_i8 v7, v7, v16, 0
	v_and_b32_e32 v9, 0xf0f0f0f, v15
	v_lshrrev_b32_e32 v10, 4, v15
	s_waitcnt vmcnt(1)
	v_dot4_i32_i8 v7, v8, v18, v7
	s_waitcnt vmcnt(0)
	v_pk_mul_f16 v6, v20, v21
	v_and_b32_e32 v10, 0xf0f0f0f, v10
	v_dot4_i32_i8 v7, v9, v17, v7
	v_cvt_f32_f16_sdwa v11, v6 dst_sel:DWORD dst_unused:UNUSED_PAD src0_sel:WORD_1
	v_dot4_i32_i8 v7, v10, v19, v7
	v_cvt_f32_i32_e32 v7, v7
	v_mul_f32_e32 v8, 0.5, v11
	v_fma_mix_f32 v6, v7, v6, v8 op_sel_hi:[0,1,0]
	v_add_f32_e32 v2, v2, v6
	s_andn2_b64 exec, exec, s[4:5]
	s_cbranch_execnz .LBB79_3
; %bb.4:
	s_or_b64 exec, exec, s[4:5]
.LBB79_5:
	s_or_b64 exec, exec, s[12:13]
	v_mbcnt_lo_u32_b32 v3, -1, 0
	v_mbcnt_hi_u32_b32 v3, -1, v3
	v_and_b32_e32 v4, 64, v3
	v_add_u32_e32 v4, 64, v4
	v_xor_b32_e32 v5, 32, v3
	v_cmp_lt_i32_e32 vcc, v5, v4
	v_cndmask_b32_e32 v5, v3, v5, vcc
	v_lshlrev_b32_e32 v5, 2, v5
	ds_bpermute_b32 v5, v5, v2
	v_xor_b32_e32 v6, 16, v3
	v_cmp_lt_i32_e32 vcc, v6, v4
	s_waitcnt lgkmcnt(0)
	v_add_f32_e32 v2, v2, v5
	v_cndmask_b32_e32 v5, v3, v6, vcc
	v_lshlrev_b32_e32 v5, 2, v5
	ds_bpermute_b32 v5, v5, v2
	v_xor_b32_e32 v6, 8, v3
	v_cmp_lt_i32_e32 vcc, v6, v4
	s_waitcnt lgkmcnt(0)
	v_add_f32_e32 v2, v2, v5
	;; [unrolled: 7-line block ×4, first 2 shown]
	v_cndmask_b32_e32 v5, v3, v6, vcc
	v_lshlrev_b32_e32 v5, 2, v5
	ds_bpermute_b32 v5, v5, v2
	v_xor_b32_e32 v6, 1, v3
	v_cmp_lt_i32_e32 vcc, v6, v4
	v_cndmask_b32_e32 v3, v3, v6, vcc
	v_lshlrev_b32_e32 v3, 2, v3
	s_waitcnt lgkmcnt(0)
	v_add_f32_e32 v2, v2, v5
	ds_bpermute_b32 v3, v3, v2
	v_cmp_eq_u32_e32 vcc, 0, v0
	s_and_b64 exec, exec, vcc
	s_cbranch_execz .LBB79_7
; %bb.6:
	s_waitcnt lgkmcnt(0)
	v_add_f32_e32 v0, v2, v3
	s_mul_i32 s0, s1, s7
	v_cvt_f16_f32_e32 v2, v0
	v_add_u32_e32 v0, s0, v1
	v_mov_b32_e32 v1, 0
	v_lshlrev_b64 v[0:1], 1, v[0:1]
	v_mov_b32_e32 v3, s3
	v_add_co_u32_e32 v0, vcc, s2, v0
	v_addc_co_u32_e32 v1, vcc, v3, v1, vcc
	global_store_short v[0:1], v2, off
.LBB79_7:
	s_endpgm
	.section	.rodata,"a",@progbits
	.p2align	6, 0x0
	.amdhsa_kernel _ZL13mul_mat_vec_qIN3c104HalfELi32ELi4E10block_q4_1Li2EXadL_ZL17vec_dot_q4_1_q8_1PKvPK10block_q8_1RKiEEEvS4_S4_PT_iii
		.amdhsa_group_segment_fixed_size 0
		.amdhsa_private_segment_fixed_size 0
		.amdhsa_kernarg_size 296
		.amdhsa_user_sgpr_count 6
		.amdhsa_user_sgpr_private_segment_buffer 1
		.amdhsa_user_sgpr_dispatch_ptr 0
		.amdhsa_user_sgpr_queue_ptr 0
		.amdhsa_user_sgpr_kernarg_segment_ptr 1
		.amdhsa_user_sgpr_dispatch_id 0
		.amdhsa_user_sgpr_flat_scratch_init 0
		.amdhsa_user_sgpr_private_segment_size 0
		.amdhsa_uses_dynamic_stack 0
		.amdhsa_system_sgpr_private_segment_wavefront_offset 0
		.amdhsa_system_sgpr_workgroup_id_x 1
		.amdhsa_system_sgpr_workgroup_id_y 1
		.amdhsa_system_sgpr_workgroup_id_z 0
		.amdhsa_system_sgpr_workgroup_info 0
		.amdhsa_system_vgpr_workitem_id 1
		.amdhsa_next_free_vgpr 22
		.amdhsa_next_free_sgpr 16
		.amdhsa_reserve_vcc 1
		.amdhsa_reserve_flat_scratch 0
		.amdhsa_float_round_mode_32 0
		.amdhsa_float_round_mode_16_64 0
		.amdhsa_float_denorm_mode_32 3
		.amdhsa_float_denorm_mode_16_64 3
		.amdhsa_dx10_clamp 1
		.amdhsa_ieee_mode 1
		.amdhsa_fp16_overflow 0
		.amdhsa_exception_fp_ieee_invalid_op 0
		.amdhsa_exception_fp_denorm_src 0
		.amdhsa_exception_fp_ieee_div_zero 0
		.amdhsa_exception_fp_ieee_overflow 0
		.amdhsa_exception_fp_ieee_underflow 0
		.amdhsa_exception_fp_ieee_inexact 0
		.amdhsa_exception_int_div_zero 0
	.end_amdhsa_kernel
	.section	.text._ZL13mul_mat_vec_qIN3c104HalfELi32ELi4E10block_q4_1Li2EXadL_ZL17vec_dot_q4_1_q8_1PKvPK10block_q8_1RKiEEEvS4_S4_PT_iii,"axG",@progbits,_ZL13mul_mat_vec_qIN3c104HalfELi32ELi4E10block_q4_1Li2EXadL_ZL17vec_dot_q4_1_q8_1PKvPK10block_q8_1RKiEEEvS4_S4_PT_iii,comdat
.Lfunc_end79:
	.size	_ZL13mul_mat_vec_qIN3c104HalfELi32ELi4E10block_q4_1Li2EXadL_ZL17vec_dot_q4_1_q8_1PKvPK10block_q8_1RKiEEEvS4_S4_PT_iii, .Lfunc_end79-_ZL13mul_mat_vec_qIN3c104HalfELi32ELi4E10block_q4_1Li2EXadL_ZL17vec_dot_q4_1_q8_1PKvPK10block_q8_1RKiEEEvS4_S4_PT_iii
                                        ; -- End function
	.set _ZL13mul_mat_vec_qIN3c104HalfELi32ELi4E10block_q4_1Li2EXadL_ZL17vec_dot_q4_1_q8_1PKvPK10block_q8_1RKiEEEvS4_S4_PT_iii.num_vgpr, 22
	.set _ZL13mul_mat_vec_qIN3c104HalfELi32ELi4E10block_q4_1Li2EXadL_ZL17vec_dot_q4_1_q8_1PKvPK10block_q8_1RKiEEEvS4_S4_PT_iii.num_agpr, 0
	.set _ZL13mul_mat_vec_qIN3c104HalfELi32ELi4E10block_q4_1Li2EXadL_ZL17vec_dot_q4_1_q8_1PKvPK10block_q8_1RKiEEEvS4_S4_PT_iii.numbered_sgpr, 16
	.set _ZL13mul_mat_vec_qIN3c104HalfELi32ELi4E10block_q4_1Li2EXadL_ZL17vec_dot_q4_1_q8_1PKvPK10block_q8_1RKiEEEvS4_S4_PT_iii.num_named_barrier, 0
	.set _ZL13mul_mat_vec_qIN3c104HalfELi32ELi4E10block_q4_1Li2EXadL_ZL17vec_dot_q4_1_q8_1PKvPK10block_q8_1RKiEEEvS4_S4_PT_iii.private_seg_size, 0
	.set _ZL13mul_mat_vec_qIN3c104HalfELi32ELi4E10block_q4_1Li2EXadL_ZL17vec_dot_q4_1_q8_1PKvPK10block_q8_1RKiEEEvS4_S4_PT_iii.uses_vcc, 1
	.set _ZL13mul_mat_vec_qIN3c104HalfELi32ELi4E10block_q4_1Li2EXadL_ZL17vec_dot_q4_1_q8_1PKvPK10block_q8_1RKiEEEvS4_S4_PT_iii.uses_flat_scratch, 0
	.set _ZL13mul_mat_vec_qIN3c104HalfELi32ELi4E10block_q4_1Li2EXadL_ZL17vec_dot_q4_1_q8_1PKvPK10block_q8_1RKiEEEvS4_S4_PT_iii.has_dyn_sized_stack, 0
	.set _ZL13mul_mat_vec_qIN3c104HalfELi32ELi4E10block_q4_1Li2EXadL_ZL17vec_dot_q4_1_q8_1PKvPK10block_q8_1RKiEEEvS4_S4_PT_iii.has_recursion, 0
	.set _ZL13mul_mat_vec_qIN3c104HalfELi32ELi4E10block_q4_1Li2EXadL_ZL17vec_dot_q4_1_q8_1PKvPK10block_q8_1RKiEEEvS4_S4_PT_iii.has_indirect_call, 0
	.section	.AMDGPU.csdata,"",@progbits
; Kernel info:
; codeLenInByte = 672
; TotalNumSgprs: 20
; NumVgprs: 22
; ScratchSize: 0
; MemoryBound: 0
; FloatMode: 240
; IeeeMode: 1
; LDSByteSize: 0 bytes/workgroup (compile time only)
; SGPRBlocks: 2
; VGPRBlocks: 5
; NumSGPRsForWavesPerEU: 20
; NumVGPRsForWavesPerEU: 22
; Occupancy: 10
; WaveLimiterHint : 0
; COMPUTE_PGM_RSRC2:SCRATCH_EN: 0
; COMPUTE_PGM_RSRC2:USER_SGPR: 6
; COMPUTE_PGM_RSRC2:TRAP_HANDLER: 0
; COMPUTE_PGM_RSRC2:TGID_X_EN: 1
; COMPUTE_PGM_RSRC2:TGID_Y_EN: 1
; COMPUTE_PGM_RSRC2:TGID_Z_EN: 0
; COMPUTE_PGM_RSRC2:TIDIG_COMP_CNT: 1
	.section	.text._ZL13mul_mat_vec_qIN3c104HalfELi32ELi4E10block_q5_0Li2EXadL_ZL17vec_dot_q5_0_q8_1PKvPK10block_q8_1RKiEEEvS4_S4_PT_iii,"axG",@progbits,_ZL13mul_mat_vec_qIN3c104HalfELi32ELi4E10block_q5_0Li2EXadL_ZL17vec_dot_q5_0_q8_1PKvPK10block_q8_1RKiEEEvS4_S4_PT_iii,comdat
	.globl	_ZL13mul_mat_vec_qIN3c104HalfELi32ELi4E10block_q5_0Li2EXadL_ZL17vec_dot_q5_0_q8_1PKvPK10block_q8_1RKiEEEvS4_S4_PT_iii ; -- Begin function _ZL13mul_mat_vec_qIN3c104HalfELi32ELi4E10block_q5_0Li2EXadL_ZL17vec_dot_q5_0_q8_1PKvPK10block_q8_1RKiEEEvS4_S4_PT_iii
	.p2align	8
	.type	_ZL13mul_mat_vec_qIN3c104HalfELi32ELi4E10block_q5_0Li2EXadL_ZL17vec_dot_q5_0_q8_1PKvPK10block_q8_1RKiEEEvS4_S4_PT_iii,@function
_ZL13mul_mat_vec_qIN3c104HalfELi32ELi4E10block_q5_0Li2EXadL_ZL17vec_dot_q5_0_q8_1PKvPK10block_q8_1RKiEEEvS4_S4_PT_iii: ; @_ZL13mul_mat_vec_qIN3c104HalfELi32ELi4E10block_q5_0Li2EXadL_ZL17vec_dot_q5_0_q8_1PKvPK10block_q8_1RKiEEEvS4_S4_PT_iii
; %bb.0:
	s_load_dword s8, s[4:5], 0x34
	s_load_dwordx4 s[0:3], s[4:5], 0x18
	s_waitcnt lgkmcnt(0)
	s_lshr_b32 s3, s8, 16
	s_mul_i32 s6, s6, s3
	v_add_u32_e32 v1, s6, v1
	s_cmp_lt_u32 s7, s2
	v_cmp_gt_u32_e32 vcc, s1, v1
	s_cselect_b64 s[2:3], -1, 0
	s_and_b64 s[2:3], s[2:3], vcc
	s_and_saveexec_b64 s[8:9], s[2:3]
	s_cbranch_execz .LBB80_7
; %bb.1:
	s_load_dwordx2 s[2:3], s[4:5], 0x10
	s_ashr_i32 s6, s0, 31
	s_lshr_b32 s6, s6, 27
	s_add_i32 s6, s0, s6
	s_ashr_i32 s6, s6, 5
	v_lshrrev_b32_e32 v3, 1, v0
	v_cmp_gt_u32_e32 vcc, s6, v3
	v_mov_b32_e32 v2, 0
	s_and_saveexec_b64 s[12:13], vcc
	s_cbranch_execz .LBB80_5
; %bb.2:
	s_addk_i32 s0, 0x1ff
	s_load_dwordx4 s[8:11], s[4:5], 0x0
	s_ashr_i32 s4, s0, 31
	s_lshr_b32 s4, s4, 23
	s_add_i32 s0, s0, s4
	v_mul_lo_u32 v4, v1, s6
	s_ashr_i32 s0, s0, 9
	v_lshlrev_b32_e32 v2, 3, v0
	s_mul_i32 s0, s7, s0
	v_and_b32_e32 v5, 8, v2
	s_lshl_b32 s0, s0, 4
	v_mov_b32_e32 v2, 0
	v_or_b32_e32 v6, 4, v5
	s_mov_b64 s[4:5], 0
.LBB80_3:                               ; =>This Inner Loop Header: Depth=1
	v_add_u32_e32 v7, v4, v3
	s_waitcnt lgkmcnt(0)
	v_mad_i64_i32 v[7:8], s[14:15], v7, 22, s[8:9]
	v_add_u32_e32 v9, s0, v3
	v_mad_i64_i32 v[9:10], s[14:15], v9, 36, s[10:11]
	v_add_co_u32_e32 v11, vcc, v7, v5
	v_addc_co_u32_e32 v12, vcc, 0, v8, vcc
	global_load_dword v17, v[7:8], off offset:2
	global_load_ushort v18, v[7:8], off
	global_load_dwordx2 v[15:16], v[11:12], off offset:6
	v_add_co_u32_e32 v13, vcc, v9, v5
	v_addc_co_u32_e32 v14, vcc, 0, v10, vcc
	v_add_u32_e32 v3, 32, v3
	v_cmp_le_u32_e32 vcc, s6, v3
	s_or_b64 s[4:5], vcc, s[4:5]
	s_waitcnt vmcnt(2)
	v_ashrrev_i32_e32 v19, v5, v17
	v_lshlrev_b32_e32 v8, 4, v19
	v_lshlrev_b32_e32 v11, 11, v19
	v_lshrrev_b32_e32 v12, 12, v19
	v_lshrrev_b32_e32 v20, 5, v19
	v_lshlrev_b32_e32 v21, 2, v19
	v_ashrrev_i32_e32 v17, v6, v17
	s_waitcnt vmcnt(0)
	v_and_b32_e32 v7, 0xf0f0f0f, v15
	v_and_b32_e32 v8, 16, v8
	;; [unrolled: 1-line block ×6, first 2 shown]
	v_or3_b32 v7, v8, v7, v11
	v_lshlrev_b32_e32 v8, 4, v17
	v_lshlrev_b32_e32 v11, 11, v17
	v_or3_b32 v20, v20, v12, v21
	v_lshlrev_b32_e32 v12, 18, v17
	v_and_b32_e32 v8, 16, v8
	v_and_b32_e32 v11, 0x1000, v11
	;; [unrolled: 1-line block ×3, first 2 shown]
	v_lshrrev_b32_e32 v21, 12, v17
	v_or3_b32 v22, v11, v8, v12
	v_lshrrev_b32_e32 v8, 5, v17
	v_lshlrev_b32_e32 v11, 2, v17
	v_and_b32_e32 v12, 16, v21
	v_and_b32_e32 v8, 0x1000, v8
	;; [unrolled: 1-line block ×3, first 2 shown]
	v_or3_b32 v21, v8, v12, v11
	v_lshlrev_b32_e32 v8, 18, v19
	v_lshlrev_b32_e32 v11, 25, v19
	v_and_b32_e32 v8, 0x100000, v8
	v_and_b32_e32 v11, 0x10000000, v11
	v_or3_b32 v23, v7, v8, v11
	global_load_dwordx2 v[7:8], v[13:14], off offset:4
	global_load_dwordx2 v[11:12], v[13:14], off offset:20
                                        ; kill: killed $vgpr13 killed $vgpr14
	s_nop 0
	global_load_dword v9, v[9:10], off
	v_lshrrev_b32_e32 v10, 4, v15
	v_lshlrev_b32_e32 v13, 9, v19
	v_and_b32_e32 v10, 0xf0f0f0f, v10
	v_and_b32_e32 v13, 0x10000000, v13
	;; [unrolled: 1-line block ×3, first 2 shown]
	v_lshrrev_b32_e32 v15, 4, v16
	v_lshlrev_b32_e32 v16, 25, v17
	v_or3_b32 v10, v20, v13, v10
	v_lshlrev_b32_e32 v17, 9, v17
	v_and_b32_e32 v16, 0x10000000, v16
	v_and_b32_e32 v15, 0xf0f0f0f, v15
	;; [unrolled: 1-line block ×3, first 2 shown]
	v_or3_b32 v14, v22, v16, v14
	v_or3_b32 v15, v21, v17, v15
	s_waitcnt vmcnt(2)
	v_dot4_i32_i8 v7, v23, v7, 0
	s_waitcnt vmcnt(1)
	v_dot4_i32_i8 v7, v10, v11, v7
	v_dot4_i32_i8 v7, v14, v8, v7
	s_waitcnt vmcnt(0)
	v_cvt_f32_f16_sdwa v13, v9 dst_sel:DWORD dst_unused:UNUSED_PAD src0_sel:WORD_1
	v_dot4_i32_i8 v7, v15, v12, v7
	v_cvt_f32_i32_e32 v7, v7
	v_mul_f32_e32 v8, 0xc1000000, v13
	v_fma_mix_f32 v7, v9, v7, v8 op_sel_hi:[1,0,0]
	v_fma_mix_f32 v2, v7, v18, v2 op_sel_hi:[0,1,0]
	s_andn2_b64 exec, exec, s[4:5]
	s_cbranch_execnz .LBB80_3
; %bb.4:
	s_or_b64 exec, exec, s[4:5]
.LBB80_5:
	s_or_b64 exec, exec, s[12:13]
	v_mbcnt_lo_u32_b32 v3, -1, 0
	v_mbcnt_hi_u32_b32 v3, -1, v3
	v_and_b32_e32 v4, 64, v3
	v_add_u32_e32 v4, 64, v4
	v_xor_b32_e32 v5, 32, v3
	v_cmp_lt_i32_e32 vcc, v5, v4
	v_cndmask_b32_e32 v5, v3, v5, vcc
	v_lshlrev_b32_e32 v5, 2, v5
	ds_bpermute_b32 v5, v5, v2
	v_xor_b32_e32 v6, 16, v3
	v_cmp_lt_i32_e32 vcc, v6, v4
	s_waitcnt lgkmcnt(0)
	v_add_f32_e32 v2, v2, v5
	v_cndmask_b32_e32 v5, v3, v6, vcc
	v_lshlrev_b32_e32 v5, 2, v5
	ds_bpermute_b32 v5, v5, v2
	v_xor_b32_e32 v6, 8, v3
	v_cmp_lt_i32_e32 vcc, v6, v4
	s_waitcnt lgkmcnt(0)
	v_add_f32_e32 v2, v2, v5
	;; [unrolled: 7-line block ×4, first 2 shown]
	v_cndmask_b32_e32 v5, v3, v6, vcc
	v_lshlrev_b32_e32 v5, 2, v5
	ds_bpermute_b32 v5, v5, v2
	v_xor_b32_e32 v6, 1, v3
	v_cmp_lt_i32_e32 vcc, v6, v4
	v_cndmask_b32_e32 v3, v3, v6, vcc
	v_lshlrev_b32_e32 v3, 2, v3
	s_waitcnt lgkmcnt(0)
	v_add_f32_e32 v2, v2, v5
	ds_bpermute_b32 v3, v3, v2
	v_cmp_eq_u32_e32 vcc, 0, v0
	s_and_b64 exec, exec, vcc
	s_cbranch_execz .LBB80_7
; %bb.6:
	s_waitcnt lgkmcnt(0)
	v_add_f32_e32 v0, v2, v3
	s_mul_i32 s0, s1, s7
	v_cvt_f16_f32_e32 v2, v0
	v_add_u32_e32 v0, s0, v1
	v_mov_b32_e32 v1, 0
	v_lshlrev_b64 v[0:1], 1, v[0:1]
	v_mov_b32_e32 v3, s3
	v_add_co_u32_e32 v0, vcc, s2, v0
	v_addc_co_u32_e32 v1, vcc, v3, v1, vcc
	global_store_short v[0:1], v2, off
.LBB80_7:
	s_endpgm
	.section	.rodata,"a",@progbits
	.p2align	6, 0x0
	.amdhsa_kernel _ZL13mul_mat_vec_qIN3c104HalfELi32ELi4E10block_q5_0Li2EXadL_ZL17vec_dot_q5_0_q8_1PKvPK10block_q8_1RKiEEEvS4_S4_PT_iii
		.amdhsa_group_segment_fixed_size 0
		.amdhsa_private_segment_fixed_size 0
		.amdhsa_kernarg_size 296
		.amdhsa_user_sgpr_count 6
		.amdhsa_user_sgpr_private_segment_buffer 1
		.amdhsa_user_sgpr_dispatch_ptr 0
		.amdhsa_user_sgpr_queue_ptr 0
		.amdhsa_user_sgpr_kernarg_segment_ptr 1
		.amdhsa_user_sgpr_dispatch_id 0
		.amdhsa_user_sgpr_flat_scratch_init 0
		.amdhsa_user_sgpr_private_segment_size 0
		.amdhsa_uses_dynamic_stack 0
		.amdhsa_system_sgpr_private_segment_wavefront_offset 0
		.amdhsa_system_sgpr_workgroup_id_x 1
		.amdhsa_system_sgpr_workgroup_id_y 1
		.amdhsa_system_sgpr_workgroup_id_z 0
		.amdhsa_system_sgpr_workgroup_info 0
		.amdhsa_system_vgpr_workitem_id 1
		.amdhsa_next_free_vgpr 24
		.amdhsa_next_free_sgpr 16
		.amdhsa_reserve_vcc 1
		.amdhsa_reserve_flat_scratch 0
		.amdhsa_float_round_mode_32 0
		.amdhsa_float_round_mode_16_64 0
		.amdhsa_float_denorm_mode_32 3
		.amdhsa_float_denorm_mode_16_64 3
		.amdhsa_dx10_clamp 1
		.amdhsa_ieee_mode 1
		.amdhsa_fp16_overflow 0
		.amdhsa_exception_fp_ieee_invalid_op 0
		.amdhsa_exception_fp_denorm_src 0
		.amdhsa_exception_fp_ieee_div_zero 0
		.amdhsa_exception_fp_ieee_overflow 0
		.amdhsa_exception_fp_ieee_underflow 0
		.amdhsa_exception_fp_ieee_inexact 0
		.amdhsa_exception_int_div_zero 0
	.end_amdhsa_kernel
	.section	.text._ZL13mul_mat_vec_qIN3c104HalfELi32ELi4E10block_q5_0Li2EXadL_ZL17vec_dot_q5_0_q8_1PKvPK10block_q8_1RKiEEEvS4_S4_PT_iii,"axG",@progbits,_ZL13mul_mat_vec_qIN3c104HalfELi32ELi4E10block_q5_0Li2EXadL_ZL17vec_dot_q5_0_q8_1PKvPK10block_q8_1RKiEEEvS4_S4_PT_iii,comdat
.Lfunc_end80:
	.size	_ZL13mul_mat_vec_qIN3c104HalfELi32ELi4E10block_q5_0Li2EXadL_ZL17vec_dot_q5_0_q8_1PKvPK10block_q8_1RKiEEEvS4_S4_PT_iii, .Lfunc_end80-_ZL13mul_mat_vec_qIN3c104HalfELi32ELi4E10block_q5_0Li2EXadL_ZL17vec_dot_q5_0_q8_1PKvPK10block_q8_1RKiEEEvS4_S4_PT_iii
                                        ; -- End function
	.set _ZL13mul_mat_vec_qIN3c104HalfELi32ELi4E10block_q5_0Li2EXadL_ZL17vec_dot_q5_0_q8_1PKvPK10block_q8_1RKiEEEvS4_S4_PT_iii.num_vgpr, 24
	.set _ZL13mul_mat_vec_qIN3c104HalfELi32ELi4E10block_q5_0Li2EXadL_ZL17vec_dot_q5_0_q8_1PKvPK10block_q8_1RKiEEEvS4_S4_PT_iii.num_agpr, 0
	.set _ZL13mul_mat_vec_qIN3c104HalfELi32ELi4E10block_q5_0Li2EXadL_ZL17vec_dot_q5_0_q8_1PKvPK10block_q8_1RKiEEEvS4_S4_PT_iii.numbered_sgpr, 16
	.set _ZL13mul_mat_vec_qIN3c104HalfELi32ELi4E10block_q5_0Li2EXadL_ZL17vec_dot_q5_0_q8_1PKvPK10block_q8_1RKiEEEvS4_S4_PT_iii.num_named_barrier, 0
	.set _ZL13mul_mat_vec_qIN3c104HalfELi32ELi4E10block_q5_0Li2EXadL_ZL17vec_dot_q5_0_q8_1PKvPK10block_q8_1RKiEEEvS4_S4_PT_iii.private_seg_size, 0
	.set _ZL13mul_mat_vec_qIN3c104HalfELi32ELi4E10block_q5_0Li2EXadL_ZL17vec_dot_q5_0_q8_1PKvPK10block_q8_1RKiEEEvS4_S4_PT_iii.uses_vcc, 1
	.set _ZL13mul_mat_vec_qIN3c104HalfELi32ELi4E10block_q5_0Li2EXadL_ZL17vec_dot_q5_0_q8_1PKvPK10block_q8_1RKiEEEvS4_S4_PT_iii.uses_flat_scratch, 0
	.set _ZL13mul_mat_vec_qIN3c104HalfELi32ELi4E10block_q5_0Li2EXadL_ZL17vec_dot_q5_0_q8_1PKvPK10block_q8_1RKiEEEvS4_S4_PT_iii.has_dyn_sized_stack, 0
	.set _ZL13mul_mat_vec_qIN3c104HalfELi32ELi4E10block_q5_0Li2EXadL_ZL17vec_dot_q5_0_q8_1PKvPK10block_q8_1RKiEEEvS4_S4_PT_iii.has_recursion, 0
	.set _ZL13mul_mat_vec_qIN3c104HalfELi32ELi4E10block_q5_0Li2EXadL_ZL17vec_dot_q5_0_q8_1PKvPK10block_q8_1RKiEEEvS4_S4_PT_iii.has_indirect_call, 0
	.section	.AMDGPU.csdata,"",@progbits
; Kernel info:
; codeLenInByte = 940
; TotalNumSgprs: 20
; NumVgprs: 24
; ScratchSize: 0
; MemoryBound: 0
; FloatMode: 240
; IeeeMode: 1
; LDSByteSize: 0 bytes/workgroup (compile time only)
; SGPRBlocks: 2
; VGPRBlocks: 5
; NumSGPRsForWavesPerEU: 20
; NumVGPRsForWavesPerEU: 24
; Occupancy: 10
; WaveLimiterHint : 0
; COMPUTE_PGM_RSRC2:SCRATCH_EN: 0
; COMPUTE_PGM_RSRC2:USER_SGPR: 6
; COMPUTE_PGM_RSRC2:TRAP_HANDLER: 0
; COMPUTE_PGM_RSRC2:TGID_X_EN: 1
; COMPUTE_PGM_RSRC2:TGID_Y_EN: 1
; COMPUTE_PGM_RSRC2:TGID_Z_EN: 0
; COMPUTE_PGM_RSRC2:TIDIG_COMP_CNT: 1
	.section	.text._ZL13mul_mat_vec_qIN3c104HalfELi32ELi4E10block_q5_1Li2EXadL_ZL17vec_dot_q5_1_q8_1PKvPK10block_q8_1RKiEEEvS4_S4_PT_iii,"axG",@progbits,_ZL13mul_mat_vec_qIN3c104HalfELi32ELi4E10block_q5_1Li2EXadL_ZL17vec_dot_q5_1_q8_1PKvPK10block_q8_1RKiEEEvS4_S4_PT_iii,comdat
	.globl	_ZL13mul_mat_vec_qIN3c104HalfELi32ELi4E10block_q5_1Li2EXadL_ZL17vec_dot_q5_1_q8_1PKvPK10block_q8_1RKiEEEvS4_S4_PT_iii ; -- Begin function _ZL13mul_mat_vec_qIN3c104HalfELi32ELi4E10block_q5_1Li2EXadL_ZL17vec_dot_q5_1_q8_1PKvPK10block_q8_1RKiEEEvS4_S4_PT_iii
	.p2align	8
	.type	_ZL13mul_mat_vec_qIN3c104HalfELi32ELi4E10block_q5_1Li2EXadL_ZL17vec_dot_q5_1_q8_1PKvPK10block_q8_1RKiEEEvS4_S4_PT_iii,@function
_ZL13mul_mat_vec_qIN3c104HalfELi32ELi4E10block_q5_1Li2EXadL_ZL17vec_dot_q5_1_q8_1PKvPK10block_q8_1RKiEEEvS4_S4_PT_iii: ; @_ZL13mul_mat_vec_qIN3c104HalfELi32ELi4E10block_q5_1Li2EXadL_ZL17vec_dot_q5_1_q8_1PKvPK10block_q8_1RKiEEEvS4_S4_PT_iii
; %bb.0:
	s_load_dword s8, s[4:5], 0x34
	s_load_dwordx4 s[0:3], s[4:5], 0x18
	s_waitcnt lgkmcnt(0)
	s_lshr_b32 s3, s8, 16
	s_mul_i32 s6, s6, s3
	v_add_u32_e32 v1, s6, v1
	s_cmp_lt_u32 s7, s2
	v_cmp_gt_u32_e32 vcc, s1, v1
	s_cselect_b64 s[2:3], -1, 0
	s_and_b64 s[2:3], s[2:3], vcc
	s_and_saveexec_b64 s[8:9], s[2:3]
	s_cbranch_execz .LBB81_7
; %bb.1:
	s_load_dwordx2 s[2:3], s[4:5], 0x10
	s_ashr_i32 s6, s0, 31
	s_lshr_b32 s6, s6, 27
	s_add_i32 s6, s0, s6
	s_ashr_i32 s6, s6, 5
	v_lshrrev_b32_e32 v3, 1, v0
	v_cmp_gt_u32_e32 vcc, s6, v3
	v_mov_b32_e32 v2, 0
	s_and_saveexec_b64 s[12:13], vcc
	s_cbranch_execz .LBB81_5
; %bb.2:
	s_addk_i32 s0, 0x1ff
	s_load_dwordx4 s[8:11], s[4:5], 0x0
	s_ashr_i32 s4, s0, 31
	s_lshr_b32 s4, s4, 23
	s_add_i32 s0, s0, s4
	v_mul_lo_u32 v4, v1, s6
	s_ashr_i32 s0, s0, 9
	v_lshlrev_b32_e32 v2, 3, v0
	s_mul_i32 s0, s7, s0
	v_and_b32_e32 v5, 8, v2
	s_lshl_b32 s0, s0, 4
	v_mov_b32_e32 v2, 0
	v_or_b32_e32 v6, 4, v5
	s_mov_b64 s[4:5], 0
.LBB81_3:                               ; =>This Inner Loop Header: Depth=1
	v_add_u32_e32 v7, v4, v3
	s_waitcnt lgkmcnt(0)
	v_mad_i64_i32 v[7:8], s[14:15], v7, 24, s[8:9]
	v_add_u32_e32 v9, s0, v3
	v_mad_i64_i32 v[9:10], s[14:15], v9, 36, s[10:11]
	global_load_dwordx2 v[11:12], v[7:8], off
	v_add_co_u32_e32 v7, vcc, v7, v5
	v_addc_co_u32_e32 v8, vcc, 0, v8, vcc
	v_add_co_u32_e32 v13, vcc, v9, v5
	v_addc_co_u32_e32 v14, vcc, 0, v10, vcc
	global_load_dwordx2 v[15:16], v[7:8], off offset:8
	global_load_dwordx2 v[17:18], v[13:14], off offset:4
	;; [unrolled: 1-line block ×3, first 2 shown]
	global_load_dword v21, v[9:10], off
	v_add_u32_e32 v3, 32, v3
	v_cmp_le_u32_e32 vcc, s6, v3
	s_or_b64 s[4:5], vcc, s[4:5]
	s_waitcnt vmcnt(4)
	v_ashrrev_i32_e32 v7, v5, v12
	v_ashrrev_i32_e32 v8, v6, v12
	v_lshlrev_b32_e32 v12, 11, v7
	v_lshrrev_b32_e32 v13, 12, v7
	v_lshrrev_b32_e32 v14, 5, v7
	v_and_b32_e32 v12, 0x1000, v12
	s_waitcnt vmcnt(3)
	v_and_b32_e32 v10, 0xf0f0f0f, v15
	v_and_b32_e32 v13, 16, v13
	;; [unrolled: 1-line block ×3, first 2 shown]
	s_waitcnt vmcnt(0)
	v_pk_mul_f16 v9, v11, v21
	v_lshlrev_b32_e32 v11, 4, v7
	v_lshlrev_b32_e32 v21, 2, v7
	v_and_b32_e32 v11, 16, v11
	v_and_b32_e32 v21, 0x100000, v21
	v_or3_b32 v10, v11, v10, v12
	v_lshlrev_b32_e32 v11, 4, v8
	v_lshlrev_b32_e32 v12, 11, v8
	v_or3_b32 v13, v14, v13, v21
	v_lshlrev_b32_e32 v14, 18, v8
	v_and_b32_e32 v11, 16, v11
	v_and_b32_e32 v12, 0x1000, v12
	;; [unrolled: 1-line block ×3, first 2 shown]
	v_lshrrev_b32_e32 v21, 12, v8
	v_or3_b32 v11, v12, v11, v14
	v_lshrrev_b32_e32 v12, 5, v8
	v_lshlrev_b32_e32 v14, 2, v8
	v_and_b32_e32 v21, 16, v21
	v_and_b32_e32 v12, 0x1000, v12
	;; [unrolled: 1-line block ×3, first 2 shown]
	v_or3_b32 v12, v12, v21, v14
	v_lshlrev_b32_e32 v14, 18, v7
	v_lshlrev_b32_e32 v21, 25, v7
	v_and_b32_e32 v14, 0x100000, v14
	v_and_b32_e32 v21, 0x10000000, v21
	v_or3_b32 v10, v10, v14, v21
	v_lshrrev_b32_e32 v14, 4, v15
	v_lshlrev_b32_e32 v7, 9, v7
	v_lshlrev_b32_e32 v21, 25, v8
	v_and_b32_e32 v14, 0xf0f0f0f, v14
	v_and_b32_e32 v7, 0x10000000, v7
	;; [unrolled: 1-line block ×3, first 2 shown]
	v_lshrrev_b32_e32 v16, 4, v16
	v_lshlrev_b32_e32 v8, 9, v8
	v_or3_b32 v7, v13, v7, v14
	v_and_b32_e32 v14, 0x10000000, v21
	v_dot4_i32_i8 v10, v10, v17, 0
	v_and_b32_e32 v16, 0xf0f0f0f, v16
	v_and_b32_e32 v8, 0x10000000, v8
	v_or3_b32 v11, v11, v14, v15
	v_dot4_i32_i8 v7, v7, v19, v10
	v_or3_b32 v8, v12, v8, v16
	v_dot4_i32_i8 v7, v11, v18, v7
	v_cvt_f32_f16_sdwa v13, v9 dst_sel:DWORD dst_unused:UNUSED_PAD src0_sel:WORD_1
	v_dot4_i32_i8 v7, v8, v20, v7
	v_cvt_f32_i32_e32 v7, v7
	v_mul_f32_e32 v8, 0.5, v13
	v_fma_mix_f32 v7, v7, v9, v8 op_sel_hi:[0,1,0]
	v_add_f32_e32 v2, v2, v7
	s_andn2_b64 exec, exec, s[4:5]
	s_cbranch_execnz .LBB81_3
; %bb.4:
	s_or_b64 exec, exec, s[4:5]
.LBB81_5:
	s_or_b64 exec, exec, s[12:13]
	v_mbcnt_lo_u32_b32 v3, -1, 0
	v_mbcnt_hi_u32_b32 v3, -1, v3
	v_and_b32_e32 v4, 64, v3
	v_add_u32_e32 v4, 64, v4
	v_xor_b32_e32 v5, 32, v3
	v_cmp_lt_i32_e32 vcc, v5, v4
	v_cndmask_b32_e32 v5, v3, v5, vcc
	v_lshlrev_b32_e32 v5, 2, v5
	ds_bpermute_b32 v5, v5, v2
	v_xor_b32_e32 v6, 16, v3
	v_cmp_lt_i32_e32 vcc, v6, v4
	s_waitcnt lgkmcnt(0)
	v_add_f32_e32 v2, v2, v5
	v_cndmask_b32_e32 v5, v3, v6, vcc
	v_lshlrev_b32_e32 v5, 2, v5
	ds_bpermute_b32 v5, v5, v2
	v_xor_b32_e32 v6, 8, v3
	v_cmp_lt_i32_e32 vcc, v6, v4
	s_waitcnt lgkmcnt(0)
	v_add_f32_e32 v2, v2, v5
	;; [unrolled: 7-line block ×4, first 2 shown]
	v_cndmask_b32_e32 v5, v3, v6, vcc
	v_lshlrev_b32_e32 v5, 2, v5
	ds_bpermute_b32 v5, v5, v2
	v_xor_b32_e32 v6, 1, v3
	v_cmp_lt_i32_e32 vcc, v6, v4
	v_cndmask_b32_e32 v3, v3, v6, vcc
	v_lshlrev_b32_e32 v3, 2, v3
	s_waitcnt lgkmcnt(0)
	v_add_f32_e32 v2, v2, v5
	ds_bpermute_b32 v3, v3, v2
	v_cmp_eq_u32_e32 vcc, 0, v0
	s_and_b64 exec, exec, vcc
	s_cbranch_execz .LBB81_7
; %bb.6:
	s_waitcnt lgkmcnt(0)
	v_add_f32_e32 v0, v2, v3
	s_mul_i32 s0, s1, s7
	v_cvt_f16_f32_e32 v2, v0
	v_add_u32_e32 v0, s0, v1
	v_mov_b32_e32 v1, 0
	v_lshlrev_b64 v[0:1], 1, v[0:1]
	v_mov_b32_e32 v3, s3
	v_add_co_u32_e32 v0, vcc, s2, v0
	v_addc_co_u32_e32 v1, vcc, v3, v1, vcc
	global_store_short v[0:1], v2, off
.LBB81_7:
	s_endpgm
	.section	.rodata,"a",@progbits
	.p2align	6, 0x0
	.amdhsa_kernel _ZL13mul_mat_vec_qIN3c104HalfELi32ELi4E10block_q5_1Li2EXadL_ZL17vec_dot_q5_1_q8_1PKvPK10block_q8_1RKiEEEvS4_S4_PT_iii
		.amdhsa_group_segment_fixed_size 0
		.amdhsa_private_segment_fixed_size 0
		.amdhsa_kernarg_size 296
		.amdhsa_user_sgpr_count 6
		.amdhsa_user_sgpr_private_segment_buffer 1
		.amdhsa_user_sgpr_dispatch_ptr 0
		.amdhsa_user_sgpr_queue_ptr 0
		.amdhsa_user_sgpr_kernarg_segment_ptr 1
		.amdhsa_user_sgpr_dispatch_id 0
		.amdhsa_user_sgpr_flat_scratch_init 0
		.amdhsa_user_sgpr_private_segment_size 0
		.amdhsa_uses_dynamic_stack 0
		.amdhsa_system_sgpr_private_segment_wavefront_offset 0
		.amdhsa_system_sgpr_workgroup_id_x 1
		.amdhsa_system_sgpr_workgroup_id_y 1
		.amdhsa_system_sgpr_workgroup_id_z 0
		.amdhsa_system_sgpr_workgroup_info 0
		.amdhsa_system_vgpr_workitem_id 1
		.amdhsa_next_free_vgpr 22
		.amdhsa_next_free_sgpr 16
		.amdhsa_reserve_vcc 1
		.amdhsa_reserve_flat_scratch 0
		.amdhsa_float_round_mode_32 0
		.amdhsa_float_round_mode_16_64 0
		.amdhsa_float_denorm_mode_32 3
		.amdhsa_float_denorm_mode_16_64 3
		.amdhsa_dx10_clamp 1
		.amdhsa_ieee_mode 1
		.amdhsa_fp16_overflow 0
		.amdhsa_exception_fp_ieee_invalid_op 0
		.amdhsa_exception_fp_denorm_src 0
		.amdhsa_exception_fp_ieee_div_zero 0
		.amdhsa_exception_fp_ieee_overflow 0
		.amdhsa_exception_fp_ieee_underflow 0
		.amdhsa_exception_fp_ieee_inexact 0
		.amdhsa_exception_int_div_zero 0
	.end_amdhsa_kernel
	.section	.text._ZL13mul_mat_vec_qIN3c104HalfELi32ELi4E10block_q5_1Li2EXadL_ZL17vec_dot_q5_1_q8_1PKvPK10block_q8_1RKiEEEvS4_S4_PT_iii,"axG",@progbits,_ZL13mul_mat_vec_qIN3c104HalfELi32ELi4E10block_q5_1Li2EXadL_ZL17vec_dot_q5_1_q8_1PKvPK10block_q8_1RKiEEEvS4_S4_PT_iii,comdat
.Lfunc_end81:
	.size	_ZL13mul_mat_vec_qIN3c104HalfELi32ELi4E10block_q5_1Li2EXadL_ZL17vec_dot_q5_1_q8_1PKvPK10block_q8_1RKiEEEvS4_S4_PT_iii, .Lfunc_end81-_ZL13mul_mat_vec_qIN3c104HalfELi32ELi4E10block_q5_1Li2EXadL_ZL17vec_dot_q5_1_q8_1PKvPK10block_q8_1RKiEEEvS4_S4_PT_iii
                                        ; -- End function
	.set _ZL13mul_mat_vec_qIN3c104HalfELi32ELi4E10block_q5_1Li2EXadL_ZL17vec_dot_q5_1_q8_1PKvPK10block_q8_1RKiEEEvS4_S4_PT_iii.num_vgpr, 22
	.set _ZL13mul_mat_vec_qIN3c104HalfELi32ELi4E10block_q5_1Li2EXadL_ZL17vec_dot_q5_1_q8_1PKvPK10block_q8_1RKiEEEvS4_S4_PT_iii.num_agpr, 0
	.set _ZL13mul_mat_vec_qIN3c104HalfELi32ELi4E10block_q5_1Li2EXadL_ZL17vec_dot_q5_1_q8_1PKvPK10block_q8_1RKiEEEvS4_S4_PT_iii.numbered_sgpr, 16
	.set _ZL13mul_mat_vec_qIN3c104HalfELi32ELi4E10block_q5_1Li2EXadL_ZL17vec_dot_q5_1_q8_1PKvPK10block_q8_1RKiEEEvS4_S4_PT_iii.num_named_barrier, 0
	.set _ZL13mul_mat_vec_qIN3c104HalfELi32ELi4E10block_q5_1Li2EXadL_ZL17vec_dot_q5_1_q8_1PKvPK10block_q8_1RKiEEEvS4_S4_PT_iii.private_seg_size, 0
	.set _ZL13mul_mat_vec_qIN3c104HalfELi32ELi4E10block_q5_1Li2EXadL_ZL17vec_dot_q5_1_q8_1PKvPK10block_q8_1RKiEEEvS4_S4_PT_iii.uses_vcc, 1
	.set _ZL13mul_mat_vec_qIN3c104HalfELi32ELi4E10block_q5_1Li2EXadL_ZL17vec_dot_q5_1_q8_1PKvPK10block_q8_1RKiEEEvS4_S4_PT_iii.uses_flat_scratch, 0
	.set _ZL13mul_mat_vec_qIN3c104HalfELi32ELi4E10block_q5_1Li2EXadL_ZL17vec_dot_q5_1_q8_1PKvPK10block_q8_1RKiEEEvS4_S4_PT_iii.has_dyn_sized_stack, 0
	.set _ZL13mul_mat_vec_qIN3c104HalfELi32ELi4E10block_q5_1Li2EXadL_ZL17vec_dot_q5_1_q8_1PKvPK10block_q8_1RKiEEEvS4_S4_PT_iii.has_recursion, 0
	.set _ZL13mul_mat_vec_qIN3c104HalfELi32ELi4E10block_q5_1Li2EXadL_ZL17vec_dot_q5_1_q8_1PKvPK10block_q8_1RKiEEEvS4_S4_PT_iii.has_indirect_call, 0
	.section	.AMDGPU.csdata,"",@progbits
; Kernel info:
; codeLenInByte = 920
; TotalNumSgprs: 20
; NumVgprs: 22
; ScratchSize: 0
; MemoryBound: 0
; FloatMode: 240
; IeeeMode: 1
; LDSByteSize: 0 bytes/workgroup (compile time only)
; SGPRBlocks: 2
; VGPRBlocks: 5
; NumSGPRsForWavesPerEU: 20
; NumVGPRsForWavesPerEU: 22
; Occupancy: 10
; WaveLimiterHint : 0
; COMPUTE_PGM_RSRC2:SCRATCH_EN: 0
; COMPUTE_PGM_RSRC2:USER_SGPR: 6
; COMPUTE_PGM_RSRC2:TRAP_HANDLER: 0
; COMPUTE_PGM_RSRC2:TGID_X_EN: 1
; COMPUTE_PGM_RSRC2:TGID_Y_EN: 1
; COMPUTE_PGM_RSRC2:TGID_Z_EN: 0
; COMPUTE_PGM_RSRC2:TIDIG_COMP_CNT: 1
	.section	.text._ZL13mul_mat_vec_qIN3c104HalfELi32ELi8E10block_q8_0Li2EXadL_ZL17vec_dot_q8_0_q8_1PKvPK10block_q8_1RKiEEEvS4_S4_PT_iii,"axG",@progbits,_ZL13mul_mat_vec_qIN3c104HalfELi32ELi8E10block_q8_0Li2EXadL_ZL17vec_dot_q8_0_q8_1PKvPK10block_q8_1RKiEEEvS4_S4_PT_iii,comdat
	.globl	_ZL13mul_mat_vec_qIN3c104HalfELi32ELi8E10block_q8_0Li2EXadL_ZL17vec_dot_q8_0_q8_1PKvPK10block_q8_1RKiEEEvS4_S4_PT_iii ; -- Begin function _ZL13mul_mat_vec_qIN3c104HalfELi32ELi8E10block_q8_0Li2EXadL_ZL17vec_dot_q8_0_q8_1PKvPK10block_q8_1RKiEEEvS4_S4_PT_iii
	.p2align	8
	.type	_ZL13mul_mat_vec_qIN3c104HalfELi32ELi8E10block_q8_0Li2EXadL_ZL17vec_dot_q8_0_q8_1PKvPK10block_q8_1RKiEEEvS4_S4_PT_iii,@function
_ZL13mul_mat_vec_qIN3c104HalfELi32ELi8E10block_q8_0Li2EXadL_ZL17vec_dot_q8_0_q8_1PKvPK10block_q8_1RKiEEEvS4_S4_PT_iii: ; @_ZL13mul_mat_vec_qIN3c104HalfELi32ELi8E10block_q8_0Li2EXadL_ZL17vec_dot_q8_0_q8_1PKvPK10block_q8_1RKiEEEvS4_S4_PT_iii
; %bb.0:
	s_load_dword s8, s[4:5], 0x34
	s_load_dwordx4 s[0:3], s[4:5], 0x18
	s_waitcnt lgkmcnt(0)
	s_lshr_b32 s3, s8, 16
	s_mul_i32 s6, s6, s3
	v_add_u32_e32 v1, s6, v1
	s_cmp_lt_u32 s7, s2
	v_cmp_gt_u32_e32 vcc, s1, v1
	s_cselect_b64 s[2:3], -1, 0
	s_and_b64 s[2:3], s[2:3], vcc
	s_and_saveexec_b64 s[8:9], s[2:3]
	s_cbranch_execz .LBB82_7
; %bb.1:
	s_load_dwordx2 s[2:3], s[4:5], 0x10
	s_ashr_i32 s6, s0, 31
	s_lshr_b32 s6, s6, 27
	s_add_i32 s6, s0, s6
	s_ashr_i32 s6, s6, 5
	v_lshrrev_b32_e32 v3, 2, v0
	v_cmp_gt_u32_e32 vcc, s6, v3
	v_mov_b32_e32 v2, 0
	s_and_saveexec_b64 s[12:13], vcc
	s_cbranch_execz .LBB82_5
; %bb.2:
	s_addk_i32 s0, 0x1ff
	s_load_dwordx4 s[8:11], s[4:5], 0x0
	s_ashr_i32 s4, s0, 31
	s_lshr_b32 s4, s4, 23
	s_add_i32 s0, s0, s4
	v_mul_lo_u32 v4, v1, s6
	s_ashr_i32 s0, s0, 9
	s_mul_i32 s0, s7, s0
	v_lshlrev_b32_e32 v2, 3, v0
	s_lshl_b32 s0, s0, 4
	v_and_b32_e32 v5, 24, v2
	v_mov_b32_e32 v2, 0
	s_mov_b64 s[4:5], 0
.LBB82_3:                               ; =>This Inner Loop Header: Depth=1
	v_add_u32_e32 v6, v4, v3
	s_waitcnt lgkmcnt(0)
	v_mad_i64_i32 v[6:7], s[14:15], v6, 34, s[8:9]
	v_add_u32_e32 v8, s0, v3
	v_mad_i64_i32 v[8:9], s[14:15], v8, 36, s[10:11]
	v_add_co_u32_e32 v10, vcc, v6, v5
	v_addc_co_u32_e32 v11, vcc, 0, v7, vcc
	v_add_co_u32_e32 v12, vcc, v8, v5
	v_addc_co_u32_e32 v13, vcc, 0, v9, vcc
	global_load_ushort v18, v[6:7], off
	global_load_dwordx2 v[14:15], v[10:11], off offset:2
	global_load_dwordx2 v[16:17], v[12:13], off offset:4
	global_load_dword v19, v[8:9], off
	v_add_u32_e32 v3, 16, v3
	v_cmp_le_u32_e32 vcc, s6, v3
	s_or_b64 s[4:5], vcc, s[4:5]
	s_waitcnt vmcnt(3)
	v_cvt_f32_f16_e32 v6, v18
	s_waitcnt vmcnt(1)
	v_dot4_i32_i8 v8, v14, v16, 0
	s_waitcnt vmcnt(0)
	v_cvt_f32_f16_e32 v7, v19
	v_dot4_i32_i8 v8, v15, v17, v8
	v_cvt_f32_i32_e32 v8, v8
	v_mul_f32_e32 v6, v6, v7
	v_fmac_f32_e32 v2, v6, v8
	s_andn2_b64 exec, exec, s[4:5]
	s_cbranch_execnz .LBB82_3
; %bb.4:
	s_or_b64 exec, exec, s[4:5]
.LBB82_5:
	s_or_b64 exec, exec, s[12:13]
	v_mbcnt_lo_u32_b32 v3, -1, 0
	v_mbcnt_hi_u32_b32 v3, -1, v3
	v_and_b32_e32 v4, 64, v3
	v_add_u32_e32 v4, 64, v4
	v_xor_b32_e32 v5, 32, v3
	v_cmp_lt_i32_e32 vcc, v5, v4
	v_cndmask_b32_e32 v5, v3, v5, vcc
	v_lshlrev_b32_e32 v5, 2, v5
	ds_bpermute_b32 v5, v5, v2
	v_xor_b32_e32 v6, 16, v3
	v_cmp_lt_i32_e32 vcc, v6, v4
	s_waitcnt lgkmcnt(0)
	v_add_f32_e32 v2, v2, v5
	v_cndmask_b32_e32 v5, v3, v6, vcc
	v_lshlrev_b32_e32 v5, 2, v5
	ds_bpermute_b32 v5, v5, v2
	v_xor_b32_e32 v6, 8, v3
	v_cmp_lt_i32_e32 vcc, v6, v4
	s_waitcnt lgkmcnt(0)
	v_add_f32_e32 v2, v2, v5
	;; [unrolled: 7-line block ×4, first 2 shown]
	v_cndmask_b32_e32 v5, v3, v6, vcc
	v_lshlrev_b32_e32 v5, 2, v5
	ds_bpermute_b32 v5, v5, v2
	v_xor_b32_e32 v6, 1, v3
	v_cmp_lt_i32_e32 vcc, v6, v4
	v_cndmask_b32_e32 v3, v3, v6, vcc
	v_lshlrev_b32_e32 v3, 2, v3
	s_waitcnt lgkmcnt(0)
	v_add_f32_e32 v2, v2, v5
	ds_bpermute_b32 v3, v3, v2
	v_cmp_eq_u32_e32 vcc, 0, v0
	s_and_b64 exec, exec, vcc
	s_cbranch_execz .LBB82_7
; %bb.6:
	s_waitcnt lgkmcnt(0)
	v_add_f32_e32 v0, v2, v3
	s_mul_i32 s0, s1, s7
	v_cvt_f16_f32_e32 v2, v0
	v_add_u32_e32 v0, s0, v1
	v_mov_b32_e32 v1, 0
	v_lshlrev_b64 v[0:1], 1, v[0:1]
	v_mov_b32_e32 v3, s3
	v_add_co_u32_e32 v0, vcc, s2, v0
	v_addc_co_u32_e32 v1, vcc, v3, v1, vcc
	global_store_short v[0:1], v2, off
.LBB82_7:
	s_endpgm
	.section	.rodata,"a",@progbits
	.p2align	6, 0x0
	.amdhsa_kernel _ZL13mul_mat_vec_qIN3c104HalfELi32ELi8E10block_q8_0Li2EXadL_ZL17vec_dot_q8_0_q8_1PKvPK10block_q8_1RKiEEEvS4_S4_PT_iii
		.amdhsa_group_segment_fixed_size 0
		.amdhsa_private_segment_fixed_size 0
		.amdhsa_kernarg_size 296
		.amdhsa_user_sgpr_count 6
		.amdhsa_user_sgpr_private_segment_buffer 1
		.amdhsa_user_sgpr_dispatch_ptr 0
		.amdhsa_user_sgpr_queue_ptr 0
		.amdhsa_user_sgpr_kernarg_segment_ptr 1
		.amdhsa_user_sgpr_dispatch_id 0
		.amdhsa_user_sgpr_flat_scratch_init 0
		.amdhsa_user_sgpr_private_segment_size 0
		.amdhsa_uses_dynamic_stack 0
		.amdhsa_system_sgpr_private_segment_wavefront_offset 0
		.amdhsa_system_sgpr_workgroup_id_x 1
		.amdhsa_system_sgpr_workgroup_id_y 1
		.amdhsa_system_sgpr_workgroup_id_z 0
		.amdhsa_system_sgpr_workgroup_info 0
		.amdhsa_system_vgpr_workitem_id 1
		.amdhsa_next_free_vgpr 20
		.amdhsa_next_free_sgpr 16
		.amdhsa_reserve_vcc 1
		.amdhsa_reserve_flat_scratch 0
		.amdhsa_float_round_mode_32 0
		.amdhsa_float_round_mode_16_64 0
		.amdhsa_float_denorm_mode_32 3
		.amdhsa_float_denorm_mode_16_64 3
		.amdhsa_dx10_clamp 1
		.amdhsa_ieee_mode 1
		.amdhsa_fp16_overflow 0
		.amdhsa_exception_fp_ieee_invalid_op 0
		.amdhsa_exception_fp_denorm_src 0
		.amdhsa_exception_fp_ieee_div_zero 0
		.amdhsa_exception_fp_ieee_overflow 0
		.amdhsa_exception_fp_ieee_underflow 0
		.amdhsa_exception_fp_ieee_inexact 0
		.amdhsa_exception_int_div_zero 0
	.end_amdhsa_kernel
	.section	.text._ZL13mul_mat_vec_qIN3c104HalfELi32ELi8E10block_q8_0Li2EXadL_ZL17vec_dot_q8_0_q8_1PKvPK10block_q8_1RKiEEEvS4_S4_PT_iii,"axG",@progbits,_ZL13mul_mat_vec_qIN3c104HalfELi32ELi8E10block_q8_0Li2EXadL_ZL17vec_dot_q8_0_q8_1PKvPK10block_q8_1RKiEEEvS4_S4_PT_iii,comdat
.Lfunc_end82:
	.size	_ZL13mul_mat_vec_qIN3c104HalfELi32ELi8E10block_q8_0Li2EXadL_ZL17vec_dot_q8_0_q8_1PKvPK10block_q8_1RKiEEEvS4_S4_PT_iii, .Lfunc_end82-_ZL13mul_mat_vec_qIN3c104HalfELi32ELi8E10block_q8_0Li2EXadL_ZL17vec_dot_q8_0_q8_1PKvPK10block_q8_1RKiEEEvS4_S4_PT_iii
                                        ; -- End function
	.set _ZL13mul_mat_vec_qIN3c104HalfELi32ELi8E10block_q8_0Li2EXadL_ZL17vec_dot_q8_0_q8_1PKvPK10block_q8_1RKiEEEvS4_S4_PT_iii.num_vgpr, 20
	.set _ZL13mul_mat_vec_qIN3c104HalfELi32ELi8E10block_q8_0Li2EXadL_ZL17vec_dot_q8_0_q8_1PKvPK10block_q8_1RKiEEEvS4_S4_PT_iii.num_agpr, 0
	.set _ZL13mul_mat_vec_qIN3c104HalfELi32ELi8E10block_q8_0Li2EXadL_ZL17vec_dot_q8_0_q8_1PKvPK10block_q8_1RKiEEEvS4_S4_PT_iii.numbered_sgpr, 16
	.set _ZL13mul_mat_vec_qIN3c104HalfELi32ELi8E10block_q8_0Li2EXadL_ZL17vec_dot_q8_0_q8_1PKvPK10block_q8_1RKiEEEvS4_S4_PT_iii.num_named_barrier, 0
	.set _ZL13mul_mat_vec_qIN3c104HalfELi32ELi8E10block_q8_0Li2EXadL_ZL17vec_dot_q8_0_q8_1PKvPK10block_q8_1RKiEEEvS4_S4_PT_iii.private_seg_size, 0
	.set _ZL13mul_mat_vec_qIN3c104HalfELi32ELi8E10block_q8_0Li2EXadL_ZL17vec_dot_q8_0_q8_1PKvPK10block_q8_1RKiEEEvS4_S4_PT_iii.uses_vcc, 1
	.set _ZL13mul_mat_vec_qIN3c104HalfELi32ELi8E10block_q8_0Li2EXadL_ZL17vec_dot_q8_0_q8_1PKvPK10block_q8_1RKiEEEvS4_S4_PT_iii.uses_flat_scratch, 0
	.set _ZL13mul_mat_vec_qIN3c104HalfELi32ELi8E10block_q8_0Li2EXadL_ZL17vec_dot_q8_0_q8_1PKvPK10block_q8_1RKiEEEvS4_S4_PT_iii.has_dyn_sized_stack, 0
	.set _ZL13mul_mat_vec_qIN3c104HalfELi32ELi8E10block_q8_0Li2EXadL_ZL17vec_dot_q8_0_q8_1PKvPK10block_q8_1RKiEEEvS4_S4_PT_iii.has_recursion, 0
	.set _ZL13mul_mat_vec_qIN3c104HalfELi32ELi8E10block_q8_0Li2EXadL_ZL17vec_dot_q8_0_q8_1PKvPK10block_q8_1RKiEEEvS4_S4_PT_iii.has_indirect_call, 0
	.section	.AMDGPU.csdata,"",@progbits
; Kernel info:
; codeLenInByte = 588
; TotalNumSgprs: 20
; NumVgprs: 20
; ScratchSize: 0
; MemoryBound: 0
; FloatMode: 240
; IeeeMode: 1
; LDSByteSize: 0 bytes/workgroup (compile time only)
; SGPRBlocks: 2
; VGPRBlocks: 4
; NumSGPRsForWavesPerEU: 20
; NumVGPRsForWavesPerEU: 20
; Occupancy: 10
; WaveLimiterHint : 0
; COMPUTE_PGM_RSRC2:SCRATCH_EN: 0
; COMPUTE_PGM_RSRC2:USER_SGPR: 6
; COMPUTE_PGM_RSRC2:TRAP_HANDLER: 0
; COMPUTE_PGM_RSRC2:TGID_X_EN: 1
; COMPUTE_PGM_RSRC2:TGID_Y_EN: 1
; COMPUTE_PGM_RSRC2:TGID_Z_EN: 0
; COMPUTE_PGM_RSRC2:TIDIG_COMP_CNT: 1
	.section	.text._ZL13mul_mat_vec_qIN3c104HalfELi256ELi16E10block_q2_KLi1EXadL_ZL17vec_dot_q2_K_q8_1PKvPK10block_q8_1RKiEEEvS4_S4_PT_iii,"axG",@progbits,_ZL13mul_mat_vec_qIN3c104HalfELi256ELi16E10block_q2_KLi1EXadL_ZL17vec_dot_q2_K_q8_1PKvPK10block_q8_1RKiEEEvS4_S4_PT_iii,comdat
	.globl	_ZL13mul_mat_vec_qIN3c104HalfELi256ELi16E10block_q2_KLi1EXadL_ZL17vec_dot_q2_K_q8_1PKvPK10block_q8_1RKiEEEvS4_S4_PT_iii ; -- Begin function _ZL13mul_mat_vec_qIN3c104HalfELi256ELi16E10block_q2_KLi1EXadL_ZL17vec_dot_q2_K_q8_1PKvPK10block_q8_1RKiEEEvS4_S4_PT_iii
	.p2align	8
	.type	_ZL13mul_mat_vec_qIN3c104HalfELi256ELi16E10block_q2_KLi1EXadL_ZL17vec_dot_q2_K_q8_1PKvPK10block_q8_1RKiEEEvS4_S4_PT_iii,@function
_ZL13mul_mat_vec_qIN3c104HalfELi256ELi16E10block_q2_KLi1EXadL_ZL17vec_dot_q2_K_q8_1PKvPK10block_q8_1RKiEEEvS4_S4_PT_iii: ; @_ZL13mul_mat_vec_qIN3c104HalfELi256ELi16E10block_q2_KLi1EXadL_ZL17vec_dot_q2_K_q8_1PKvPK10block_q8_1RKiEEEvS4_S4_PT_iii
; %bb.0:
	s_load_dword s8, s[4:5], 0x34
	s_load_dwordx4 s[0:3], s[4:5], 0x18
	s_waitcnt lgkmcnt(0)
	s_lshr_b32 s3, s8, 16
	s_mul_i32 s6, s6, s3
	v_add_u32_e32 v17, s6, v1
	s_cmp_lt_u32 s7, s2
	v_cmp_gt_u32_e32 vcc, s1, v17
	s_cselect_b64 s[2:3], -1, 0
	s_and_b64 s[2:3], s[2:3], vcc
	s_and_saveexec_b64 s[8:9], s[2:3]
	s_cbranch_execz .LBB83_7
; %bb.1:
	s_load_dwordx2 s[2:3], s[4:5], 0x10
	s_ashr_i32 s6, s0, 31
	s_lshr_b32 s6, s6, 24
	s_add_i32 s6, s0, s6
	s_ashr_i32 s6, s6, 8
	v_lshrrev_b32_e32 v18, 4, v0
	v_cmp_gt_u32_e32 vcc, s6, v18
	v_mov_b32_e32 v2, 0
	s_and_saveexec_b64 s[8:9], vcc
	s_cbranch_execz .LBB83_5
; %bb.2:
	s_load_dwordx4 s[12:15], s[4:5], 0x0
	s_addk_i32 s0, 0x1ff
	s_ashr_i32 s4, s0, 31
	v_and_b32_e32 v7, 15, v0
	v_lshrrev_b32_e32 v1, 1, v0
	s_lshr_b32 s4, s4, 23
	v_and_b32_e32 v5, 4, v1
	v_subrev_co_u32_e32 v1, vcc, 8, v7
	s_add_i32 s0, s0, s4
	v_cndmask_b32_e32 v1, v1, v7, vcc
	s_ashr_i32 s0, s0, 9
	v_mul_lo_u32 v19, v17, s6
	v_lshlrev_b32_e32 v20, 2, v7
	v_mov_b32_e32 v2, 0
	s_waitcnt lgkmcnt(0)
	v_mad_u64_u32 v[5:6], s[4:5], v5, 36, s[14:15]
	v_sub_u32_e32 v7, v7, v1
	v_cmp_lt_u32_e32 vcc, 3, v1
	s_mul_i32 s0, s7, s0
	v_lshlrev_b64 v[3:4], 2, v[1:2]
	v_addc_co_u32_e32 v1, vcc, 0, v7, vcc
	v_lshlrev_b32_e32 v7, 3, v18
	v_lshl_add_u32 v22, s0, 4, v7
	v_mov_b32_e32 v7, s12
	v_ashrrev_i32_e32 v21, 31, v1
	s_mov_b64 s[4:5], 0
	s_movk_i32 s0, 0x54
	v_mov_b32_e32 v8, s13
	s_mov_b32 s10, 0x1010101
.LBB83_3:                               ; =>This Inner Loop Header: Depth=1
	v_add_u32_e32 v9, v19, v18
	v_mad_i64_i32 v[9:10], s[12:13], v9, s0, v[7:8]
	v_add_u32_e32 v18, 4, v18
	v_add_co_u32_e32 v11, vcc, v9, v20
	v_addc_co_u32_e32 v12, vcc, 0, v10, vcc
	global_load_dword v23, v[11:12], off offset:16
	v_mad_i64_i32 v[11:12], s[12:13], v22, 36, v[5:6]
	v_add_u32_e32 v22, 32, v22
	v_add_co_u32_e32 v13, vcc, v11, v3
	v_addc_co_u32_e32 v14, vcc, v12, v4, vcc
	v_add_co_u32_e32 v15, vcc, v9, v1
	v_addc_co_u32_e32 v16, vcc, v10, v21, vcc
	global_load_ubyte v26, v[15:16], off
	global_load_ubyte v29, v[15:16], off offset:2
	global_load_dword v24, v[13:14], off offset:4
	global_load_dword v28, v[13:14], off offset:40
	v_cmp_le_u32_e32 vcc, s6, v18
	s_or_b64 s[4:5], vcc, s[4:5]
	s_waitcnt vmcnt(4)
	v_and_b32_e32 v25, 0x3030303, v23
	s_waitcnt vmcnt(3)
	v_and_b32_e32 v27, 15, v26
	v_lshrrev_b32_e32 v26, 4, v26
	v_mul_lo_u32 v26, v26, s10
	s_waitcnt vmcnt(1)
	v_dot4_i32_i8 v25, v25, v24, 0
	v_mul_lo_u32 v25, v27, v25
	v_lshrrev_b32_e32 v27, 2, v23
	v_dot4_i32_i8 v24, v26, v24, 0
	v_lshrrev_b32_e32 v26, 4, v29
	v_mul_lo_u32 v26, v26, s10
	v_and_b32_e32 v27, 0x3030303, v27
	s_waitcnt vmcnt(0)
	v_dot4_i32_i8 v27, v27, v28, 0
	v_cvt_f32_i32_e32 v25, v25
	v_dot4_i32_i8 v26, v26, v28, 0
	global_load_dword v28, v[11:12], off
	v_cvt_f32_i32_e32 v24, v24
	v_and_b32_e32 v30, 15, v29
	v_mul_lo_u32 v27, v30, v27
	v_cvt_f32_i32_e32 v26, v26
	v_cvt_f32_i32_e32 v27, v27
	s_waitcnt vmcnt(0)
	v_fma_mix_f32 v25, v28, v25, 0 op_sel_hi:[1,0,0]
	v_fma_mix_f32 v24, v28, v24, 0 op_sel_hi:[1,0,0]
	global_load_dword v28, v[11:12], off offset:36
	s_waitcnt vmcnt(0)
	v_fma_mix_f32 v25, v28, v27, v25 op_sel_hi:[1,0,0]
	v_fma_mix_f32 v24, v28, v26, v24 op_sel_hi:[1,0,0]
	global_load_ubyte v28, v[15:16], off offset:4
	global_load_dword v27, v[13:14], off offset:76
	v_lshrrev_b32_e32 v26, 4, v23
	v_and_b32_e32 v26, 0x3030303, v26
	s_waitcnt vmcnt(1)
	v_and_b32_e32 v29, 15, v28
	v_lshrrev_b32_e32 v28, 4, v28
	v_mul_lo_u32 v28, v28, s10
	s_waitcnt vmcnt(0)
	v_dot4_i32_i8 v26, v26, v27, 0
	v_mul_lo_u32 v26, v29, v26
	v_dot4_i32_i8 v27, v28, v27, 0
	global_load_dword v28, v[11:12], off offset:72
	v_cvt_f32_i32_e32 v26, v26
	s_waitcnt vmcnt(0)
	v_fma_mix_f32 v25, v28, v26, v25 op_sel_hi:[1,0,0]
	v_cvt_f32_i32_e32 v26, v27
	v_fma_mix_f32 v24, v28, v26, v24 op_sel_hi:[1,0,0]
	global_load_dword v26, v[11:12], off offset:108
	global_load_dword v27, v[13:14], off offset:112
	global_load_ubyte v28, v[15:16], off offset:6
	v_lshrrev_b32_e32 v11, 6, v23
	global_load_dword v9, v[9:10], off offset:80
	v_and_b32_e32 v11, 0x3030303, v11
	s_waitcnt vmcnt(2)
	v_dot4_i32_i8 v11, v11, v27, 0
	s_waitcnt vmcnt(1)
	v_and_b32_e32 v12, 15, v28
	v_mul_lo_u32 v11, v12, v11
	v_lshrrev_b32_e32 v12, 4, v28
	v_mul_lo_u32 v12, v12, s10
	s_waitcnt vmcnt(0)
	v_cvt_f32_f16_sdwa v10, v9 dst_sel:DWORD dst_unused:UNUSED_PAD src0_sel:WORD_1
	v_cvt_f32_i32_e32 v11, v11
	v_dot4_i32_i8 v12, v12, v27, 0
	v_cvt_f32_i32_e32 v12, v12
	v_fma_mix_f32 v11, v26, v11, v25 op_sel_hi:[1,0,0]
	v_fma_mix_f32 v12, v26, v12, v24 op_sel_hi:[1,0,0]
	v_mul_f32_e32 v10, v12, v10
	v_fma_mix_f32 v9, v11, v9, -v10 op_sel_hi:[0,1,0]
	v_add_f32_e32 v2, v2, v9
	s_andn2_b64 exec, exec, s[4:5]
	s_cbranch_execnz .LBB83_3
; %bb.4:
	s_or_b64 exec, exec, s[4:5]
.LBB83_5:
	s_or_b64 exec, exec, s[8:9]
	v_mbcnt_lo_u32_b32 v1, -1, 0
	v_mbcnt_hi_u32_b32 v3, -1, v1
	v_and_b32_e32 v1, 64, v3
	v_add_u32_e32 v4, 64, v1
	v_xor_b32_e32 v1, 32, v3
	v_cmp_lt_i32_e32 vcc, v1, v4
	v_cndmask_b32_e32 v1, v3, v1, vcc
	v_lshlrev_b32_e32 v1, 2, v1
	ds_bpermute_b32 v1, v1, v2
	v_xor_b32_e32 v5, 16, v3
	v_cmp_lt_i32_e32 vcc, v5, v4
	s_waitcnt lgkmcnt(0)
	v_add_f32_e32 v1, v2, v1
	v_cndmask_b32_e32 v2, v3, v5, vcc
	v_lshlrev_b32_e32 v2, 2, v2
	ds_bpermute_b32 v2, v2, v1
	v_xor_b32_e32 v5, 8, v3
	v_cmp_lt_i32_e32 vcc, v5, v4
	s_waitcnt lgkmcnt(0)
	v_add_f32_e32 v1, v1, v2
	;; [unrolled: 7-line block ×5, first 2 shown]
	v_cndmask_b32_e32 v2, v3, v5, vcc
	v_lshlrev_b32_e32 v2, 2, v2
	ds_bpermute_b32 v2, v2, v1
	v_cmp_eq_u32_e32 vcc, 0, v0
	s_and_b64 exec, exec, vcc
	s_cbranch_execz .LBB83_7
; %bb.6:
	s_waitcnt lgkmcnt(0)
	v_add_f32_e32 v0, v1, v2
	s_mul_i32 s0, s1, s7
	v_cvt_f16_f32_e32 v2, v0
	v_add_u32_e32 v0, s0, v17
	v_mov_b32_e32 v1, 0
	v_lshlrev_b64 v[0:1], 1, v[0:1]
	v_mov_b32_e32 v3, s3
	v_add_co_u32_e32 v0, vcc, s2, v0
	v_addc_co_u32_e32 v1, vcc, v3, v1, vcc
	global_store_short v[0:1], v2, off
.LBB83_7:
	s_endpgm
	.section	.rodata,"a",@progbits
	.p2align	6, 0x0
	.amdhsa_kernel _ZL13mul_mat_vec_qIN3c104HalfELi256ELi16E10block_q2_KLi1EXadL_ZL17vec_dot_q2_K_q8_1PKvPK10block_q8_1RKiEEEvS4_S4_PT_iii
		.amdhsa_group_segment_fixed_size 0
		.amdhsa_private_segment_fixed_size 0
		.amdhsa_kernarg_size 296
		.amdhsa_user_sgpr_count 6
		.amdhsa_user_sgpr_private_segment_buffer 1
		.amdhsa_user_sgpr_dispatch_ptr 0
		.amdhsa_user_sgpr_queue_ptr 0
		.amdhsa_user_sgpr_kernarg_segment_ptr 1
		.amdhsa_user_sgpr_dispatch_id 0
		.amdhsa_user_sgpr_flat_scratch_init 0
		.amdhsa_user_sgpr_private_segment_size 0
		.amdhsa_uses_dynamic_stack 0
		.amdhsa_system_sgpr_private_segment_wavefront_offset 0
		.amdhsa_system_sgpr_workgroup_id_x 1
		.amdhsa_system_sgpr_workgroup_id_y 1
		.amdhsa_system_sgpr_workgroup_id_z 0
		.amdhsa_system_sgpr_workgroup_info 0
		.amdhsa_system_vgpr_workitem_id 1
		.amdhsa_next_free_vgpr 31
		.amdhsa_next_free_sgpr 16
		.amdhsa_reserve_vcc 1
		.amdhsa_reserve_flat_scratch 0
		.amdhsa_float_round_mode_32 0
		.amdhsa_float_round_mode_16_64 0
		.amdhsa_float_denorm_mode_32 3
		.amdhsa_float_denorm_mode_16_64 3
		.amdhsa_dx10_clamp 1
		.amdhsa_ieee_mode 1
		.amdhsa_fp16_overflow 0
		.amdhsa_exception_fp_ieee_invalid_op 0
		.amdhsa_exception_fp_denorm_src 0
		.amdhsa_exception_fp_ieee_div_zero 0
		.amdhsa_exception_fp_ieee_overflow 0
		.amdhsa_exception_fp_ieee_underflow 0
		.amdhsa_exception_fp_ieee_inexact 0
		.amdhsa_exception_int_div_zero 0
	.end_amdhsa_kernel
	.section	.text._ZL13mul_mat_vec_qIN3c104HalfELi256ELi16E10block_q2_KLi1EXadL_ZL17vec_dot_q2_K_q8_1PKvPK10block_q8_1RKiEEEvS4_S4_PT_iii,"axG",@progbits,_ZL13mul_mat_vec_qIN3c104HalfELi256ELi16E10block_q2_KLi1EXadL_ZL17vec_dot_q2_K_q8_1PKvPK10block_q8_1RKiEEEvS4_S4_PT_iii,comdat
.Lfunc_end83:
	.size	_ZL13mul_mat_vec_qIN3c104HalfELi256ELi16E10block_q2_KLi1EXadL_ZL17vec_dot_q2_K_q8_1PKvPK10block_q8_1RKiEEEvS4_S4_PT_iii, .Lfunc_end83-_ZL13mul_mat_vec_qIN3c104HalfELi256ELi16E10block_q2_KLi1EXadL_ZL17vec_dot_q2_K_q8_1PKvPK10block_q8_1RKiEEEvS4_S4_PT_iii
                                        ; -- End function
	.set _ZL13mul_mat_vec_qIN3c104HalfELi256ELi16E10block_q2_KLi1EXadL_ZL17vec_dot_q2_K_q8_1PKvPK10block_q8_1RKiEEEvS4_S4_PT_iii.num_vgpr, 31
	.set _ZL13mul_mat_vec_qIN3c104HalfELi256ELi16E10block_q2_KLi1EXadL_ZL17vec_dot_q2_K_q8_1PKvPK10block_q8_1RKiEEEvS4_S4_PT_iii.num_agpr, 0
	.set _ZL13mul_mat_vec_qIN3c104HalfELi256ELi16E10block_q2_KLi1EXadL_ZL17vec_dot_q2_K_q8_1PKvPK10block_q8_1RKiEEEvS4_S4_PT_iii.numbered_sgpr, 16
	.set _ZL13mul_mat_vec_qIN3c104HalfELi256ELi16E10block_q2_KLi1EXadL_ZL17vec_dot_q2_K_q8_1PKvPK10block_q8_1RKiEEEvS4_S4_PT_iii.num_named_barrier, 0
	.set _ZL13mul_mat_vec_qIN3c104HalfELi256ELi16E10block_q2_KLi1EXadL_ZL17vec_dot_q2_K_q8_1PKvPK10block_q8_1RKiEEEvS4_S4_PT_iii.private_seg_size, 0
	.set _ZL13mul_mat_vec_qIN3c104HalfELi256ELi16E10block_q2_KLi1EXadL_ZL17vec_dot_q2_K_q8_1PKvPK10block_q8_1RKiEEEvS4_S4_PT_iii.uses_vcc, 1
	.set _ZL13mul_mat_vec_qIN3c104HalfELi256ELi16E10block_q2_KLi1EXadL_ZL17vec_dot_q2_K_q8_1PKvPK10block_q8_1RKiEEEvS4_S4_PT_iii.uses_flat_scratch, 0
	.set _ZL13mul_mat_vec_qIN3c104HalfELi256ELi16E10block_q2_KLi1EXadL_ZL17vec_dot_q2_K_q8_1PKvPK10block_q8_1RKiEEEvS4_S4_PT_iii.has_dyn_sized_stack, 0
	.set _ZL13mul_mat_vec_qIN3c104HalfELi256ELi16E10block_q2_KLi1EXadL_ZL17vec_dot_q2_K_q8_1PKvPK10block_q8_1RKiEEEvS4_S4_PT_iii.has_recursion, 0
	.set _ZL13mul_mat_vec_qIN3c104HalfELi256ELi16E10block_q2_KLi1EXadL_ZL17vec_dot_q2_K_q8_1PKvPK10block_q8_1RKiEEEvS4_S4_PT_iii.has_indirect_call, 0
	.section	.AMDGPU.csdata,"",@progbits
; Kernel info:
; codeLenInByte = 1076
; TotalNumSgprs: 20
; NumVgprs: 31
; ScratchSize: 0
; MemoryBound: 0
; FloatMode: 240
; IeeeMode: 1
; LDSByteSize: 0 bytes/workgroup (compile time only)
; SGPRBlocks: 2
; VGPRBlocks: 7
; NumSGPRsForWavesPerEU: 20
; NumVGPRsForWavesPerEU: 31
; Occupancy: 8
; WaveLimiterHint : 0
; COMPUTE_PGM_RSRC2:SCRATCH_EN: 0
; COMPUTE_PGM_RSRC2:USER_SGPR: 6
; COMPUTE_PGM_RSRC2:TRAP_HANDLER: 0
; COMPUTE_PGM_RSRC2:TGID_X_EN: 1
; COMPUTE_PGM_RSRC2:TGID_Y_EN: 1
; COMPUTE_PGM_RSRC2:TGID_Z_EN: 0
; COMPUTE_PGM_RSRC2:TIDIG_COMP_CNT: 1
	.section	.text._ZL13mul_mat_vec_qIN3c104HalfELi256ELi16E10block_q3_KLi1EXadL_ZL17vec_dot_q3_K_q8_1PKvPK10block_q8_1RKiEEEvS4_S4_PT_iii,"axG",@progbits,_ZL13mul_mat_vec_qIN3c104HalfELi256ELi16E10block_q3_KLi1EXadL_ZL17vec_dot_q3_K_q8_1PKvPK10block_q8_1RKiEEEvS4_S4_PT_iii,comdat
	.globl	_ZL13mul_mat_vec_qIN3c104HalfELi256ELi16E10block_q3_KLi1EXadL_ZL17vec_dot_q3_K_q8_1PKvPK10block_q8_1RKiEEEvS4_S4_PT_iii ; -- Begin function _ZL13mul_mat_vec_qIN3c104HalfELi256ELi16E10block_q3_KLi1EXadL_ZL17vec_dot_q3_K_q8_1PKvPK10block_q8_1RKiEEEvS4_S4_PT_iii
	.p2align	8
	.type	_ZL13mul_mat_vec_qIN3c104HalfELi256ELi16E10block_q3_KLi1EXadL_ZL17vec_dot_q3_K_q8_1PKvPK10block_q8_1RKiEEEvS4_S4_PT_iii,@function
_ZL13mul_mat_vec_qIN3c104HalfELi256ELi16E10block_q3_KLi1EXadL_ZL17vec_dot_q3_K_q8_1PKvPK10block_q8_1RKiEEEvS4_S4_PT_iii: ; @_ZL13mul_mat_vec_qIN3c104HalfELi256ELi16E10block_q3_KLi1EXadL_ZL17vec_dot_q3_K_q8_1PKvPK10block_q8_1RKiEEEvS4_S4_PT_iii
; %bb.0:
	s_load_dword s8, s[4:5], 0x34
	s_load_dwordx4 s[0:3], s[4:5], 0x18
	s_waitcnt lgkmcnt(0)
	s_lshr_b32 s3, s8, 16
	s_mul_i32 s6, s6, s3
	v_add_u32_e32 v9, s6, v1
	s_cmp_lt_u32 s7, s2
	v_cmp_gt_u32_e32 vcc, s1, v9
	s_cselect_b64 s[2:3], -1, 0
	s_and_b64 s[2:3], s[2:3], vcc
	s_and_saveexec_b64 s[8:9], s[2:3]
	s_cbranch_execz .LBB84_7
; %bb.1:
	s_load_dwordx2 s[2:3], s[4:5], 0x10
	s_ashr_i32 s6, s0, 31
	s_lshr_b32 s6, s6, 24
	s_add_i32 s6, s0, s6
	s_ashr_i32 s6, s6, 8
	v_lshrrev_b32_e32 v10, 4, v0
	v_cmp_gt_u32_e32 vcc, s6, v10
	v_mov_b32_e32 v2, 0
	s_and_saveexec_b64 s[12:13], vcc
	s_cbranch_execz .LBB84_5
; %bb.2:
	v_and_b32_e32 v2, 15, v0
	v_subrev_co_u32_e32 v1, vcc, 8, v2
	v_cndmask_b32_e32 v1, v1, v2, vcc
	v_sub_u32_e32 v3, v2, v1
	v_cmp_lt_u32_e32 vcc, 3, v1
	v_addc_co_u32_e32 v3, vcc, 0, v3, vcc
	v_mov_b32_e32 v4, 7
	v_add_u16_e32 v8, 2, v3
	v_mov_b32_e32 v6, 5
	v_lshrrev_b16_sdwa v11, v4, sext(v8) dst_sel:DWORD dst_unused:UNUSED_PAD src0_sel:DWORD src1_sel:BYTE_0
	v_lshrrev_b16_sdwa v12, v6, v11 dst_sel:DWORD dst_unused:UNUSED_PAD src0_sel:DWORD src1_sel:BYTE_0
	v_mov_b32_e32 v7, 6
	v_add_u16_e32 v12, v8, v12
	v_and_b32_e32 v13, 0xf8, v12
	v_lshrrev_b16_sdwa v11, v7, v11 dst_sel:DWORD dst_unused:UNUSED_PAD src0_sel:DWORD src1_sel:BYTE_0
	v_sub_u16_e32 v23, v8, v13
	v_add_u16_e32 v13, v8, v11
	v_and_b32_e32 v11, 0xfc, v13
	v_sub_u16_e32 v8, v8, v11
	v_add_u16_e32 v11, 4, v3
	v_lshrrev_b16_sdwa v14, v4, sext(v11) dst_sel:DWORD dst_unused:UNUSED_PAD src0_sel:DWORD src1_sel:BYTE_0
	v_lshrrev_b16_sdwa v15, v6, v14 dst_sel:DWORD dst_unused:UNUSED_PAD src0_sel:DWORD src1_sel:BYTE_0
	v_add_u16_e32 v15, v11, v15
	v_lshrrev_b16_sdwa v14, v7, v14 dst_sel:DWORD dst_unused:UNUSED_PAD src0_sel:DWORD src1_sel:BYTE_0
	v_and_b32_e32 v16, 0xf8, v15
	v_add_u16_e32 v14, v11, v14
	v_lshrrev_b16_sdwa v5, v4, sext(v3) dst_sel:DWORD dst_unused:UNUSED_PAD src0_sel:DWORD src1_sel:BYTE_0
	v_sub_u16_e32 v25, v11, v16
	v_and_b32_e32 v16, 0xfc, v14
	v_sub_u16_e32 v26, v11, v16
	v_lshrrev_b16_sdwa v11, v6, v5 dst_sel:DWORD dst_unused:UNUSED_PAD src0_sel:DWORD src1_sel:BYTE_0
	v_add_u16_e32 v11, v3, v11
	v_lshrrev_b16_sdwa v5, v7, v5 dst_sel:DWORD dst_unused:UNUSED_PAD src0_sel:DWORD src1_sel:BYTE_0
	v_and_b32_e32 v16, 0xf8, v11
	v_add_u16_e32 v5, v3, v5
	v_sub_u16_e32 v21, v3, v16
	v_and_b32_e32 v16, 0xfc, v5
	v_sub_u16_e32 v22, v3, v16
	v_add_u16_e32 v3, 6, v3
	v_lshrrev_b16_sdwa v4, v4, sext(v3) dst_sel:DWORD dst_unused:UNUSED_PAD src0_sel:DWORD src1_sel:BYTE_0
	v_lshrrev_b16_sdwa v6, v6, v4 dst_sel:DWORD dst_unused:UNUSED_PAD src0_sel:DWORD src1_sel:BYTE_0
	v_lshrrev_b16_sdwa v4, v7, v4 dst_sel:DWORD dst_unused:UNUSED_PAD src0_sel:DWORD src1_sel:BYTE_0
	v_mov_b32_e32 v7, 3
	v_mov_b32_e32 v16, 2
	v_add_u16_e32 v6, v3, v6
	s_addk_i32 s0, 0x1ff
	v_lshrrev_b16_sdwa v11, v7, sext(v11) dst_sel:DWORD dst_unused:UNUSED_PAD src0_sel:DWORD src1_sel:BYTE_0
	v_lshrrev_b16_sdwa v12, v7, sext(v12) dst_sel:DWORD dst_unused:UNUSED_PAD src0_sel:DWORD src1_sel:BYTE_0
	v_ashrrev_i16_sdwa v17, v16, sext(v13) dst_sel:DWORD dst_unused:UNUSED_PAD src0_sel:DWORD src1_sel:BYTE_0
	v_lshrrev_b16_sdwa v13, v7, sext(v15) dst_sel:DWORD dst_unused:UNUSED_PAD src0_sel:DWORD src1_sel:BYTE_0
	v_lshrrev_b16_sdwa v7, v7, sext(v6) dst_sel:DWORD dst_unused:UNUSED_PAD src0_sel:DWORD src1_sel:BYTE_0
	v_add_u16_e32 v4, v3, v4
	s_load_dwordx4 s[8:11], s[4:5], 0x0
	s_ashr_i32 s4, s0, 31
	v_lshrrev_b16_sdwa v18, v16, sext(v14) dst_sel:DWORD dst_unused:UNUSED_PAD src0_sel:DWORD src1_sel:BYTE_0
	v_and_b32_e32 v6, 0xf8, v6
	v_lshlrev_b32_sdwa v14, v16, v7 dst_sel:DWORD dst_unused:UNUSED_PAD src0_sel:DWORD src1_sel:BYTE_0
	v_lshrrev_b16_sdwa v7, v16, sext(v4) dst_sel:DWORD dst_unused:UNUSED_PAD src0_sel:DWORD src1_sel:BYTE_0
	v_and_b32_e32 v4, 0xfc, v4
	s_lshr_b32 s4, s4, 23
	v_ashrrev_i16_sdwa v5, v16, sext(v5) dst_sel:DWORD dst_unused:UNUSED_PAD src0_sel:DWORD src1_sel:BYTE_0
	v_sub_u16_e32 v6, v3, v6
	v_sub_u16_e32 v3, v3, v4
	v_mov_b32_e32 v4, 1
	s_add_i32 s0, s0, s4
	v_lshlrev_b32_sdwa v11, v16, v11 dst_sel:DWORD dst_unused:UNUSED_PAD src0_sel:DWORD src1_sel:BYTE_0
	v_lshlrev_b32_sdwa v12, v16, v12 dst_sel:DWORD dst_unused:UNUSED_PAD src0_sel:DWORD src1_sel:BYTE_0
	;; [unrolled: 1-line block ×3, first 2 shown]
	v_lshlrev_b32_sdwa v15, v4, sext(v5) dst_sel:DWORD dst_unused:UNUSED_PAD src0_sel:DWORD src1_sel:WORD_0
	v_lshlrev_b32_sdwa v16, v4, sext(v17) dst_sel:DWORD dst_unused:UNUSED_PAD src0_sel:DWORD src1_sel:WORD_0
	v_lshlrev_b32_sdwa v17, v4, v18 dst_sel:DWORD dst_unused:UNUSED_PAD src0_sel:DWORD src1_sel:BYTE_0
	v_lshlrev_b32_sdwa v18, v4, v7 dst_sel:DWORD dst_unused:UNUSED_PAD src0_sel:DWORD src1_sel:BYTE_0
	s_ashr_i32 s0, s0, 9
	v_lshrrev_b32_e32 v4, 1, v0
	s_mul_i32 s0, s7, s0
	v_and_b32_e32 v19, 4, v4
	v_bfe_i32 v28, v3, 0, 8
	v_lshlrev_b32_e32 v3, 3, v10
	v_lshl_add_u32 v29, s0, 4, v3
	v_mul_lo_u32 v30, v9, s6
	s_waitcnt lgkmcnt(0)
	v_mad_u64_u32 v[3:4], s[10:11], v19, 36, s[10:11]
	v_lshlrev_b32_e32 v20, 2, v2
	v_mov_b32_e32 v2, 0
	v_bfe_i32 v21, v21, 0, 8
	v_bfe_i32 v22, v22, 0, 8
	v_bfe_i32 v23, v23, 0, 8
	v_bfe_i32 v24, v8, 0, 8
	v_bfe_i32 v25, v25, 0, 8
	v_bfe_i32 v26, v26, 0, 8
	v_bfe_i32 v27, v6, 0, 8
	v_lshlrev_b64 v[5:6], 2, v[1:2]
	s_mov_b64 s[4:5], 0
	s_movk_i32 s0, 0x6e
	v_ashrrev_i32_e32 v31, 31, v21
	v_ashrrev_i32_e32 v32, 31, v22
	;; [unrolled: 1-line block ×8, first 2 shown]
.LBB84_3:                               ; =>This Inner Loop Header: Depth=1
	v_mov_b32_e32 v7, s8
	v_mad_i64_i32 v[46:47], s[10:11], v29, 36, v[3:4]
	v_add_u32_e32 v38, v30, v10
	v_mov_b32_e32 v8, s9
	v_mad_i64_i32 v[7:8], s[10:11], v38, s0, v[7:8]
	v_add_co_u32_e32 v38, vcc, v46, v5
	v_addc_co_u32_e32 v39, vcc, v47, v6, vcc
	global_load_dword v42, v[38:39], off offset:4
	global_load_dword v43, v[38:39], off offset:40
	;; [unrolled: 1-line block ×3, first 2 shown]
	s_nop 0
	global_load_dword v38, v[38:39], off offset:112
	s_nop 0
	global_load_dword v45, v[46:47], off
	global_load_dword v44, v[46:47], off offset:36
	global_load_dword v41, v[46:47], off offset:72
	global_load_dword v39, v[46:47], off offset:108
	v_add_co_u32_e32 v46, vcc, v7, v21
	v_addc_co_u32_e32 v47, vcc, v8, v31, vcc
	global_load_ubyte v48, v[46:47], off offset:96
	v_add_co_u32_e32 v46, vcc, v7, v22
	v_addc_co_u32_e32 v47, vcc, v8, v32, vcc
	global_load_ubyte v49, v[46:47], off offset:104
	;; [unrolled: 3-line block ×4, first 2 shown]
	v_add_co_u32_e32 v46, vcc, v7, v5
	v_addc_co_u32_e32 v47, vcc, v8, v6, vcc
	global_load_dword v52, v[46:47], off
	v_add_co_u32_e32 v46, vcc, v7, v20
	v_addc_co_u32_e32 v47, vcc, 0, v8, vcc
	global_load_dword v53, v[46:47], off offset:32
	v_add_co_u32_e32 v46, vcc, v7, v25
	v_addc_co_u32_e32 v47, vcc, v8, v35, vcc
	global_load_ubyte v54, v[46:47], off offset:96
	v_add_co_u32_e32 v46, vcc, v7, v26
	v_addc_co_u32_e32 v47, vcc, v8, v36, vcc
	global_load_ubyte v55, v[46:47], off offset:104
	;; [unrolled: 3-line block ×4, first 2 shown]
	v_add_u32_e32 v10, 4, v10
	global_load_ushort v7, v[7:8], off offset:108
	v_cmp_le_u32_e32 vcc, s6, v10
	s_or_b64 s[4:5], vcc, s[4:5]
	v_add_u32_e32 v29, 32, v29
	s_waitcnt vmcnt(10)
	v_bfe_u32 v47, v48, v11, 4
	s_waitcnt vmcnt(9)
	v_lshrrev_b32_e32 v48, v15, v49
	v_lshlrev_b32_e32 v48, 4, v48
	v_and_or_b32 v47, v48, 48, v47
	v_subrev_u32_e32 v47, 32, v47
	s_waitcnt vmcnt(8)
	v_bfe_u32 v48, v50, v12, 4
	s_waitcnt vmcnt(7)
	v_lshrrev_b32_e32 v49, v16, v51
	v_lshlrev_b32_e32 v49, 4, v49
	v_and_or_b32 v48, v49, 48, v48
	s_waitcnt vmcnt(6)
	v_ashrrev_i32_e32 v49, v19, v52
	v_not_b32_e32 v49, v49
	v_lshlrev_b32_e32 v50, 2, v49
	v_and_b32_e32 v50, 0x4040404, v50
	v_lshlrev_b32_e32 v60, 1, v49
	s_waitcnt vmcnt(5)
	v_bfe_u32 v51, v53, 24, 2
	v_and_b32_e32 v52, 0x3030303, v53
	v_sub_u16_sdwa v51, v51, v50 dst_sel:BYTE_1 dst_unused:UNUSED_PAD src0_sel:DWORD src1_sel:BYTE_3
	v_sub_u16_e32 v57, v52, v50
	v_sub_u16_sdwa v58, v52, v50 dst_sel:BYTE_1 dst_unused:UNUSED_PAD src0_sel:BYTE_1 src1_sel:BYTE_1
	v_sub_u16_sdwa v50, v52, v50 dst_sel:DWORD dst_unused:UNUSED_PAD src0_sel:WORD_1 src1_sel:WORD_1
	v_lshrrev_b32_e32 v52, 2, v53
	v_and_b32_e32 v59, 0x3030303, v52
	v_bfe_u32 v52, v52, 24, 2
	v_and_b32_e32 v60, 0x4040404, v60
	v_sub_u16_sdwa v52, v52, v60 dst_sel:BYTE_1 dst_unused:UNUSED_PAD src0_sel:DWORD src1_sel:BYTE_3
	v_sub_u16_e32 v61, v59, v60
	v_sub_u16_sdwa v62, v59, v60 dst_sel:BYTE_1 dst_unused:UNUSED_PAD src0_sel:BYTE_1 src1_sel:BYTE_1
	v_sub_u16_sdwa v59, v59, v60 dst_sel:DWORD dst_unused:UNUSED_PAD src0_sel:WORD_1 src1_sel:WORD_1
	v_or_b32_sdwa v57, v57, v58 dst_sel:DWORD dst_unused:UNUSED_PAD src0_sel:BYTE_0 src1_sel:DWORD
	v_or_b32_sdwa v50, v50, v51 dst_sel:WORD_1 dst_unused:UNUSED_PAD src0_sel:BYTE_0 src1_sel:DWORD
	v_or_b32_sdwa v51, v61, v62 dst_sel:DWORD dst_unused:UNUSED_PAD src0_sel:BYTE_0 src1_sel:DWORD
	v_or_b32_sdwa v52, v59, v52 dst_sel:WORD_1 dst_unused:UNUSED_PAD src0_sel:BYTE_0 src1_sel:DWORD
	v_or_b32_sdwa v50, v57, v50 dst_sel:DWORD dst_unused:UNUSED_PAD src0_sel:WORD_0 src1_sel:DWORD
	v_or_b32_sdwa v51, v51, v52 dst_sel:DWORD dst_unused:UNUSED_PAD src0_sel:WORD_0 src1_sel:DWORD
	v_dot4_i32_i8 v42, v50, v42, 0
	v_dot4_i32_i8 v43, v51, v43, 0
	v_mul_lo_u32 v42, v47, v42
	v_subrev_u32_e32 v47, 32, v48
	v_mul_lo_u32 v43, v47, v43
	v_and_b32_e32 v47, 0x4040404, v49
	v_cvt_f32_i32_e32 v42, v42
	v_cvt_f32_i32_e32 v43, v43
	v_fma_mix_f32 v42, v45, v42, 0 op_sel_hi:[1,0,0]
	v_fma_mix_f32 v42, v44, v43, v42 op_sel_hi:[1,0,0]
	s_waitcnt vmcnt(3)
	v_lshrrev_b32_e32 v44, v17, v55
	v_bfe_u32 v43, v54, v13, 4
	v_lshlrev_b32_e32 v44, 4, v44
	v_and_or_b32 v43, v44, 48, v43
	v_lshrrev_b32_e32 v44, 4, v53
	v_and_b32_e32 v45, 0x3030303, v44
	v_bfe_u32 v44, v44, 24, 2
	v_sub_u16_sdwa v44, v44, v47 dst_sel:BYTE_1 dst_unused:UNUSED_PAD src0_sel:DWORD src1_sel:BYTE_3
	v_sub_u16_e32 v48, v45, v47
	v_sub_u16_sdwa v50, v45, v47 dst_sel:BYTE_1 dst_unused:UNUSED_PAD src0_sel:BYTE_1 src1_sel:BYTE_1
	v_sub_u16_sdwa v45, v45, v47 dst_sel:DWORD dst_unused:UNUSED_PAD src0_sel:WORD_1 src1_sel:WORD_1
	v_or_b32_sdwa v47, v48, v50 dst_sel:DWORD dst_unused:UNUSED_PAD src0_sel:BYTE_0 src1_sel:DWORD
	v_or_b32_sdwa v44, v45, v44 dst_sel:WORD_1 dst_unused:UNUSED_PAD src0_sel:BYTE_0 src1_sel:DWORD
	v_or_b32_sdwa v44, v47, v44 dst_sel:DWORD dst_unused:UNUSED_PAD src0_sel:WORD_0 src1_sel:DWORD
	v_dot4_i32_i8 v40, v44, v40, 0
	v_subrev_u32_e32 v43, 32, v43
	v_mul_lo_u32 v40, v43, v40
	v_lshrrev_b32_e32 v44, 1, v49
	v_lshrrev_b32_e32 v43, 30, v53
	v_and_b32_e32 v44, 0x4040404, v44
	v_cvt_f32_i32_e32 v40, v40
	v_sub_u16_sdwa v43, v43, v44 dst_sel:BYTE_1 dst_unused:UNUSED_PAD src0_sel:DWORD src1_sel:BYTE_3
	v_fma_mix_f32 v40, v41, v40, v42 op_sel_hi:[1,0,0]
	s_waitcnt vmcnt(1)
	v_lshrrev_b32_e32 v42, v18, v46
	v_bfe_u32 v41, v56, v14, 4
	v_lshlrev_b32_e32 v42, 4, v42
	v_and_or_b32 v41, v42, 48, v41
	v_lshrrev_b32_e32 v42, 6, v53
	v_and_b32_e32 v42, 0x3030303, v42
	v_sub_u16_e32 v45, v42, v44
	v_sub_u16_sdwa v46, v42, v44 dst_sel:BYTE_1 dst_unused:UNUSED_PAD src0_sel:BYTE_1 src1_sel:BYTE_1
	v_sub_u16_sdwa v42, v42, v44 dst_sel:DWORD dst_unused:UNUSED_PAD src0_sel:WORD_1 src1_sel:WORD_1
	v_or_b32_sdwa v44, v45, v46 dst_sel:DWORD dst_unused:UNUSED_PAD src0_sel:BYTE_0 src1_sel:DWORD
	v_or_b32_sdwa v42, v42, v43 dst_sel:WORD_1 dst_unused:UNUSED_PAD src0_sel:BYTE_0 src1_sel:DWORD
	v_or_b32_sdwa v42, v44, v42 dst_sel:DWORD dst_unused:UNUSED_PAD src0_sel:WORD_0 src1_sel:DWORD
	v_dot4_i32_i8 v38, v42, v38, 0
	v_subrev_u32_e32 v41, 32, v41
	v_mul_lo_u32 v38, v41, v38
	v_cvt_f32_i32_e32 v38, v38
	v_fma_mix_f32 v38, v39, v38, v40 op_sel_hi:[1,0,0]
	s_waitcnt vmcnt(0)
	v_fma_mix_f32 v2, v38, v7, v2 op_sel_hi:[0,1,0]
	s_andn2_b64 exec, exec, s[4:5]
	s_cbranch_execnz .LBB84_3
; %bb.4:
	s_or_b64 exec, exec, s[4:5]
.LBB84_5:
	s_or_b64 exec, exec, s[12:13]
	v_mbcnt_lo_u32_b32 v1, -1, 0
	v_mbcnt_hi_u32_b32 v3, -1, v1
	v_and_b32_e32 v1, 64, v3
	v_add_u32_e32 v4, 64, v1
	v_xor_b32_e32 v1, 32, v3
	v_cmp_lt_i32_e32 vcc, v1, v4
	v_cndmask_b32_e32 v1, v3, v1, vcc
	v_lshlrev_b32_e32 v1, 2, v1
	ds_bpermute_b32 v1, v1, v2
	v_xor_b32_e32 v5, 16, v3
	v_cmp_lt_i32_e32 vcc, v5, v4
	s_waitcnt lgkmcnt(0)
	v_add_f32_e32 v1, v2, v1
	v_cndmask_b32_e32 v2, v3, v5, vcc
	v_lshlrev_b32_e32 v2, 2, v2
	ds_bpermute_b32 v2, v2, v1
	v_xor_b32_e32 v5, 8, v3
	v_cmp_lt_i32_e32 vcc, v5, v4
	s_waitcnt lgkmcnt(0)
	v_add_f32_e32 v1, v1, v2
	;; [unrolled: 7-line block ×5, first 2 shown]
	v_cndmask_b32_e32 v2, v3, v5, vcc
	v_lshlrev_b32_e32 v2, 2, v2
	ds_bpermute_b32 v2, v2, v1
	v_cmp_eq_u32_e32 vcc, 0, v0
	s_and_b64 exec, exec, vcc
	s_cbranch_execz .LBB84_7
; %bb.6:
	s_waitcnt lgkmcnt(0)
	v_add_f32_e32 v0, v1, v2
	s_mul_i32 s0, s1, s7
	v_cvt_f16_f32_e32 v2, v0
	v_add_u32_e32 v0, s0, v9
	v_mov_b32_e32 v1, 0
	v_lshlrev_b64 v[0:1], 1, v[0:1]
	v_mov_b32_e32 v3, s3
	v_add_co_u32_e32 v0, vcc, s2, v0
	v_addc_co_u32_e32 v1, vcc, v3, v1, vcc
	global_store_short v[0:1], v2, off
.LBB84_7:
	s_endpgm
	.section	.rodata,"a",@progbits
	.p2align	6, 0x0
	.amdhsa_kernel _ZL13mul_mat_vec_qIN3c104HalfELi256ELi16E10block_q3_KLi1EXadL_ZL17vec_dot_q3_K_q8_1PKvPK10block_q8_1RKiEEEvS4_S4_PT_iii
		.amdhsa_group_segment_fixed_size 0
		.amdhsa_private_segment_fixed_size 0
		.amdhsa_kernarg_size 296
		.amdhsa_user_sgpr_count 6
		.amdhsa_user_sgpr_private_segment_buffer 1
		.amdhsa_user_sgpr_dispatch_ptr 0
		.amdhsa_user_sgpr_queue_ptr 0
		.amdhsa_user_sgpr_kernarg_segment_ptr 1
		.amdhsa_user_sgpr_dispatch_id 0
		.amdhsa_user_sgpr_flat_scratch_init 0
		.amdhsa_user_sgpr_private_segment_size 0
		.amdhsa_uses_dynamic_stack 0
		.amdhsa_system_sgpr_private_segment_wavefront_offset 0
		.amdhsa_system_sgpr_workgroup_id_x 1
		.amdhsa_system_sgpr_workgroup_id_y 1
		.amdhsa_system_sgpr_workgroup_id_z 0
		.amdhsa_system_sgpr_workgroup_info 0
		.amdhsa_system_vgpr_workitem_id 1
		.amdhsa_next_free_vgpr 63
		.amdhsa_next_free_sgpr 14
		.amdhsa_reserve_vcc 1
		.amdhsa_reserve_flat_scratch 0
		.amdhsa_float_round_mode_32 0
		.amdhsa_float_round_mode_16_64 0
		.amdhsa_float_denorm_mode_32 3
		.amdhsa_float_denorm_mode_16_64 3
		.amdhsa_dx10_clamp 1
		.amdhsa_ieee_mode 1
		.amdhsa_fp16_overflow 0
		.amdhsa_exception_fp_ieee_invalid_op 0
		.amdhsa_exception_fp_denorm_src 0
		.amdhsa_exception_fp_ieee_div_zero 0
		.amdhsa_exception_fp_ieee_overflow 0
		.amdhsa_exception_fp_ieee_underflow 0
		.amdhsa_exception_fp_ieee_inexact 0
		.amdhsa_exception_int_div_zero 0
	.end_amdhsa_kernel
	.section	.text._ZL13mul_mat_vec_qIN3c104HalfELi256ELi16E10block_q3_KLi1EXadL_ZL17vec_dot_q3_K_q8_1PKvPK10block_q8_1RKiEEEvS4_S4_PT_iii,"axG",@progbits,_ZL13mul_mat_vec_qIN3c104HalfELi256ELi16E10block_q3_KLi1EXadL_ZL17vec_dot_q3_K_q8_1PKvPK10block_q8_1RKiEEEvS4_S4_PT_iii,comdat
.Lfunc_end84:
	.size	_ZL13mul_mat_vec_qIN3c104HalfELi256ELi16E10block_q3_KLi1EXadL_ZL17vec_dot_q3_K_q8_1PKvPK10block_q8_1RKiEEEvS4_S4_PT_iii, .Lfunc_end84-_ZL13mul_mat_vec_qIN3c104HalfELi256ELi16E10block_q3_KLi1EXadL_ZL17vec_dot_q3_K_q8_1PKvPK10block_q8_1RKiEEEvS4_S4_PT_iii
                                        ; -- End function
	.set _ZL13mul_mat_vec_qIN3c104HalfELi256ELi16E10block_q3_KLi1EXadL_ZL17vec_dot_q3_K_q8_1PKvPK10block_q8_1RKiEEEvS4_S4_PT_iii.num_vgpr, 63
	.set _ZL13mul_mat_vec_qIN3c104HalfELi256ELi16E10block_q3_KLi1EXadL_ZL17vec_dot_q3_K_q8_1PKvPK10block_q8_1RKiEEEvS4_S4_PT_iii.num_agpr, 0
	.set _ZL13mul_mat_vec_qIN3c104HalfELi256ELi16E10block_q3_KLi1EXadL_ZL17vec_dot_q3_K_q8_1PKvPK10block_q8_1RKiEEEvS4_S4_PT_iii.numbered_sgpr, 14
	.set _ZL13mul_mat_vec_qIN3c104HalfELi256ELi16E10block_q3_KLi1EXadL_ZL17vec_dot_q3_K_q8_1PKvPK10block_q8_1RKiEEEvS4_S4_PT_iii.num_named_barrier, 0
	.set _ZL13mul_mat_vec_qIN3c104HalfELi256ELi16E10block_q3_KLi1EXadL_ZL17vec_dot_q3_K_q8_1PKvPK10block_q8_1RKiEEEvS4_S4_PT_iii.private_seg_size, 0
	.set _ZL13mul_mat_vec_qIN3c104HalfELi256ELi16E10block_q3_KLi1EXadL_ZL17vec_dot_q3_K_q8_1PKvPK10block_q8_1RKiEEEvS4_S4_PT_iii.uses_vcc, 1
	.set _ZL13mul_mat_vec_qIN3c104HalfELi256ELi16E10block_q3_KLi1EXadL_ZL17vec_dot_q3_K_q8_1PKvPK10block_q8_1RKiEEEvS4_S4_PT_iii.uses_flat_scratch, 0
	.set _ZL13mul_mat_vec_qIN3c104HalfELi256ELi16E10block_q3_KLi1EXadL_ZL17vec_dot_q3_K_q8_1PKvPK10block_q8_1RKiEEEvS4_S4_PT_iii.has_dyn_sized_stack, 0
	.set _ZL13mul_mat_vec_qIN3c104HalfELi256ELi16E10block_q3_KLi1EXadL_ZL17vec_dot_q3_K_q8_1PKvPK10block_q8_1RKiEEEvS4_S4_PT_iii.has_recursion, 0
	.set _ZL13mul_mat_vec_qIN3c104HalfELi256ELi16E10block_q3_KLi1EXadL_ZL17vec_dot_q3_K_q8_1PKvPK10block_q8_1RKiEEEvS4_S4_PT_iii.has_indirect_call, 0
	.section	.AMDGPU.csdata,"",@progbits
; Kernel info:
; codeLenInByte = 1888
; TotalNumSgprs: 18
; NumVgprs: 63
; ScratchSize: 0
; MemoryBound: 0
; FloatMode: 240
; IeeeMode: 1
; LDSByteSize: 0 bytes/workgroup (compile time only)
; SGPRBlocks: 2
; VGPRBlocks: 15
; NumSGPRsForWavesPerEU: 18
; NumVGPRsForWavesPerEU: 63
; Occupancy: 4
; WaveLimiterHint : 0
; COMPUTE_PGM_RSRC2:SCRATCH_EN: 0
; COMPUTE_PGM_RSRC2:USER_SGPR: 6
; COMPUTE_PGM_RSRC2:TRAP_HANDLER: 0
; COMPUTE_PGM_RSRC2:TGID_X_EN: 1
; COMPUTE_PGM_RSRC2:TGID_Y_EN: 1
; COMPUTE_PGM_RSRC2:TGID_Z_EN: 0
; COMPUTE_PGM_RSRC2:TIDIG_COMP_CNT: 1
	.section	.text._ZL13mul_mat_vec_qIN3c104HalfELi256ELi32E10block_q4_KLi2EXadL_ZL17vec_dot_q4_K_q8_1PKvPK10block_q8_1RKiEEEvS4_S4_PT_iii,"axG",@progbits,_ZL13mul_mat_vec_qIN3c104HalfELi256ELi32E10block_q4_KLi2EXadL_ZL17vec_dot_q4_K_q8_1PKvPK10block_q8_1RKiEEEvS4_S4_PT_iii,comdat
	.globl	_ZL13mul_mat_vec_qIN3c104HalfELi256ELi32E10block_q4_KLi2EXadL_ZL17vec_dot_q4_K_q8_1PKvPK10block_q8_1RKiEEEvS4_S4_PT_iii ; -- Begin function _ZL13mul_mat_vec_qIN3c104HalfELi256ELi32E10block_q4_KLi2EXadL_ZL17vec_dot_q4_K_q8_1PKvPK10block_q8_1RKiEEEvS4_S4_PT_iii
	.p2align	8
	.type	_ZL13mul_mat_vec_qIN3c104HalfELi256ELi32E10block_q4_KLi2EXadL_ZL17vec_dot_q4_K_q8_1PKvPK10block_q8_1RKiEEEvS4_S4_PT_iii,@function
_ZL13mul_mat_vec_qIN3c104HalfELi256ELi32E10block_q4_KLi2EXadL_ZL17vec_dot_q4_K_q8_1PKvPK10block_q8_1RKiEEEvS4_S4_PT_iii: ; @_ZL13mul_mat_vec_qIN3c104HalfELi256ELi32E10block_q4_KLi2EXadL_ZL17vec_dot_q4_K_q8_1PKvPK10block_q8_1RKiEEEvS4_S4_PT_iii
; %bb.0:
	s_load_dword s0, s[4:5], 0x34
	s_load_dwordx4 s[8:11], s[4:5], 0x18
	s_waitcnt lgkmcnt(0)
	s_lshr_b32 s0, s0, 16
	s_mul_i32 s6, s6, s0
	v_add_u32_e32 v9, s6, v1
	s_cmp_lt_u32 s7, s10
	v_cmp_gt_u32_e32 vcc, s9, v9
	s_cselect_b64 s[0:1], -1, 0
	s_and_b64 s[0:1], s[0:1], vcc
	s_and_saveexec_b64 s[2:3], s[0:1]
	s_cbranch_execz .LBB85_11
; %bb.1:
	s_load_dwordx2 s[2:3], s[4:5], 0x10
	s_ashr_i32 s0, s8, 31
	s_lshr_b32 s0, s0, 24
	s_add_i32 s0, s8, s0
	s_ashr_i32 s6, s0, 8
	v_lshrrev_b32_e32 v11, 4, v0
	v_cmp_gt_u32_e32 vcc, s6, v11
	v_mov_b32_e32 v10, 0
	s_and_saveexec_b64 s[10:11], vcc
	s_cbranch_execz .LBB85_9
; %bb.2:
	s_load_dwordx4 s[12:15], s[4:5], 0x0
	s_add_i32 s0, s8, 0x1ff
	s_ashr_i32 s1, s0, 31
	s_lshr_b32 s1, s1, 23
	v_lshlrev_b32_e32 v1, 1, v0
	s_add_i32 s0, s0, s1
	v_bfe_u32 v5, v1, 3, 2
	s_ashr_i32 s0, s0, 9
	v_and_b32_e32 v2, 30, v1
	v_lshlrev_b32_e32 v1, 1, v5
	s_mul_i32 s4, s7, s0
	v_mul_lo_u32 v12, v9, s6
	v_cmp_lt_u32_e32 vcc, 15, v2
	s_waitcnt lgkmcnt(0)
	v_mad_u64_u32 v[1:2], s[0:1], v1, 36, s[14:15]
	v_lshlrev_b32_e32 v3, 3, v11
	v_and_b32_e32 v6, 3, v0
	v_lshl_add_u32 v15, s4, 4, v3
	v_mov_b32_e32 v3, s12
	v_lshlrev_b32_e32 v13, 5, v5
	v_mov_b32_e32 v10, 0
	v_lshlrev_b32_e32 v14, 2, v6
	s_mov_b64 s[4:5], 0
	s_movk_i32 s8, 0x90
	v_mov_b32_e32 v4, s13
	v_lshlrev_b32_e32 v16, 1, v5
	s_mov_b32 s12, 0x5040100
	s_mov_b32 s13, 0x20004
	;; [unrolled: 1-line block ×3, first 2 shown]
	v_lshlrev_b32_e32 v17, 2, v6
	s_mov_b32 s15, 0x1010101
	s_branch .LBB85_4
.LBB85_3:                               ;   in Loop: Header=BB85_4 Depth=1
	s_or_b64 exec, exec, s[0:1]
	v_mad_i64_i32 v[7:8], s[0:1], v15, 36, v[1:2]
	v_add_u32_e32 v11, 4, v11
	v_add_u32_e32 v15, 32, v15
	v_add_co_u32_e64 v21, s[0:1], v7, v17
	v_addc_co_u32_e64 v22, s[0:1], 0, v8, s[0:1]
	global_load_dword v23, v[21:22], off offset:4
	global_load_dword v24, v[21:22], off offset:20
	;; [unrolled: 1-line block ×4, first 2 shown]
	global_load_dword v27, v[5:6], off
                                        ; kill: killed $vgpr21 killed $vgpr22
                                        ; kill: killed $vgpr5 killed $vgpr6
	s_nop 0
	global_load_dword v5, v[7:8], off
	global_load_dword v6, v[7:8], off offset:36
	s_waitcnt vmcnt(8)
	v_and_b32_e32 v7, 0xf0f0f0f, v18
	v_lshrrev_b32_e32 v18, 4, v18
	s_waitcnt vmcnt(7)
	v_and_b32_e32 v8, 0xf0f0f0f, v19
	v_lshrrev_b32_e32 v19, 4, v19
	v_and_b32_e32 v18, 0xf0f0f0f, v18
	v_and_b32_e32 v19, 0xf0f0f0f, v19
	v_lshrrev_b16_e32 v21, 8, v20
	v_cmp_le_u32_e64 s[0:1], s6, v11
	s_or_b64 s[4:5], s[0:1], s[4:5]
	s_waitcnt vmcnt(6)
	v_dot4_i32_i8 v7, v7, v23, 0
	s_waitcnt vmcnt(5)
	v_dot4_i32_i8 v7, v8, v24, v7
	v_dot4_i32_i8 v8, s15, v23, 0
	s_waitcnt vmcnt(4)
	v_dot4_i32_i8 v18, v18, v25, 0
	;; [unrolled: 3-line block ×3, first 2 shown]
	v_lshrrev_b32_e32 v19, 24, v20
	v_dot4_i32_i8 v22, s15, v25, 0
	v_and_b32_e32 v23, 0xff, v20
	v_bfe_u32 v20, v20, 16, 8
	v_dot4_i32_i8 v22, s15, v26, v22
	v_mul_lo_u32 v7, v7, v20
	v_mul_lo_u32 v8, v8, v23
	;; [unrolled: 1-line block ×4, first 2 shown]
	v_cvt_f32_i32_e32 v7, v7
	v_cvt_f32_i32_e32 v8, v8
	s_waitcnt vmcnt(2)
	v_cvt_f32_f16_sdwa v20, v27 dst_sel:DWORD dst_unused:UNUSED_PAD src0_sel:WORD_1
	v_cvt_f32_i32_e32 v19, v19
	v_cvt_f32_i32_e32 v18, v18
	s_waitcnt vmcnt(1)
	v_fma_mix_f32 v7, v5, v7, 0 op_sel_hi:[1,0,0]
	v_fma_mix_f32 v5, v5, v8, 0 op_sel_hi:[1,0,0]
	s_waitcnt vmcnt(0)
	v_fma_mix_f32 v5, v6, v19, v5 op_sel_hi:[1,0,0]
	v_fma_mix_f32 v7, v6, v18, v7 op_sel_hi:[1,0,0]
	v_mul_f32_e32 v5, v5, v20
	v_fma_mix_f32 v5, v7, v27, -v5 op_sel_hi:[0,1,0]
	v_add_f32_e32 v10, v10, v5
	s_andn2_b64 exec, exec, s[4:5]
	s_cbranch_execz .LBB85_8
.LBB85_4:                               ; =>This Inner Loop Header: Depth=1
	v_add_u32_e32 v5, v12, v11
	v_mad_i64_i32 v[5:6], s[0:1], v5, s8, v[3:4]
                                        ; implicit-def: $vgpr20
	v_add_co_u32_e64 v7, s[0:1], v5, v13
	v_addc_co_u32_e64 v8, s[0:1], 0, v6, s[0:1]
	v_add_co_u32_e64 v7, s[0:1], v7, v14
	v_addc_co_u32_e64 v8, s[0:1], 0, v8, s[0:1]
	global_load_dword v18, v[7:8], off offset:16
	global_load_dword v19, v[7:8], off offset:32
	v_add_co_u32_e64 v7, s[0:1], v5, v16
	v_addc_co_u32_e64 v8, s[0:1], 0, v6, s[0:1]
	s_and_saveexec_b64 s[0:1], vcc
	s_xor_b64 s[0:1], exec, s[0:1]
	s_cbranch_execz .LBB85_6
; %bb.5:                                ;   in Loop: Header=BB85_4 Depth=1
	global_load_ushort v20, v[7:8], off
	global_load_ushort v21, v[7:8], off offset:8
	global_load_ushort v22, v[7:8], off offset:4
	s_waitcnt vmcnt(1)
	v_perm_b32 v7, v20, v21, s12
	s_waitcnt vmcnt(0)
	v_perm_b32 v8, v21, v22, s12
	v_pk_lshrrev_b16 v8, 2, v8
	v_pk_lshrrev_b16 v7, s13, v7
	v_and_b32_e32 v8, 0xf0f3030, v8
	v_and_or_b32 v20, v7, s14, v8
                                        ; implicit-def: $vgpr7_vgpr8
.LBB85_6:                               ;   in Loop: Header=BB85_4 Depth=1
	s_andn2_saveexec_b64 s[0:1], s[0:1]
	s_cbranch_execz .LBB85_3
; %bb.7:                                ;   in Loop: Header=BB85_4 Depth=1
	global_load_ushort v20, v[7:8], off offset:4
	global_load_ushort v21, v[7:8], off offset:8
	s_waitcnt vmcnt(0)
	v_perm_b32 v7, v20, v21, s12
	v_and_b32_e32 v20, 0x3f3f3f3f, v7
	s_branch .LBB85_3
.LBB85_8:
	s_or_b64 exec, exec, s[4:5]
.LBB85_9:
	s_or_b64 exec, exec, s[10:11]
	v_mbcnt_lo_u32_b32 v1, -1, 0
	v_mbcnt_hi_u32_b32 v2, -1, v1
	v_and_b32_e32 v1, 64, v2
	v_add_u32_e32 v3, 64, v1
	v_xor_b32_e32 v1, 32, v2
	v_cmp_lt_i32_e32 vcc, v1, v3
	v_cndmask_b32_e32 v1, v2, v1, vcc
	v_lshlrev_b32_e32 v1, 2, v1
	ds_bpermute_b32 v1, v1, v10
	v_xor_b32_e32 v4, 16, v2
	v_cmp_lt_i32_e32 vcc, v4, v3
	v_cndmask_b32_e32 v4, v2, v4, vcc
	v_lshlrev_b32_e32 v4, 2, v4
	s_waitcnt lgkmcnt(0)
	v_add_f32_e32 v1, v10, v1
	ds_bpermute_b32 v4, v4, v1
	v_xor_b32_e32 v5, 8, v2
	v_cmp_lt_i32_e32 vcc, v5, v3
	s_waitcnt lgkmcnt(0)
	v_add_f32_e32 v1, v1, v4
	v_cndmask_b32_e32 v4, v2, v5, vcc
	v_lshlrev_b32_e32 v4, 2, v4
	ds_bpermute_b32 v4, v4, v1
	v_xor_b32_e32 v5, 4, v2
	v_cmp_lt_i32_e32 vcc, v5, v3
	s_waitcnt lgkmcnt(0)
	v_add_f32_e32 v1, v1, v4
	v_cndmask_b32_e32 v4, v2, v5, vcc
	v_lshlrev_b32_e32 v4, 2, v4
	;; [unrolled: 7-line block ×3, first 2 shown]
	ds_bpermute_b32 v4, v4, v1
	v_xor_b32_e32 v5, 1, v2
	v_cmp_lt_i32_e32 vcc, v5, v3
	v_cndmask_b32_e32 v2, v2, v5, vcc
	v_lshlrev_b32_e32 v2, 2, v2
	s_waitcnt lgkmcnt(0)
	v_add_f32_e32 v1, v1, v4
	ds_bpermute_b32 v2, v2, v1
	v_cmp_eq_u32_e32 vcc, 0, v0
	s_and_b64 exec, exec, vcc
	s_cbranch_execz .LBB85_11
; %bb.10:
	s_waitcnt lgkmcnt(0)
	v_add_f32_e32 v0, v1, v2
	s_mul_i32 s0, s9, s7
	v_cvt_f16_f32_e32 v2, v0
	v_add_u32_e32 v0, s0, v9
	v_mov_b32_e32 v1, 0
	v_lshlrev_b64 v[0:1], 1, v[0:1]
	v_mov_b32_e32 v3, s3
	v_add_co_u32_e32 v0, vcc, s2, v0
	v_addc_co_u32_e32 v1, vcc, v3, v1, vcc
	global_store_short v[0:1], v2, off
.LBB85_11:
	s_endpgm
	.section	.rodata,"a",@progbits
	.p2align	6, 0x0
	.amdhsa_kernel _ZL13mul_mat_vec_qIN3c104HalfELi256ELi32E10block_q4_KLi2EXadL_ZL17vec_dot_q4_K_q8_1PKvPK10block_q8_1RKiEEEvS4_S4_PT_iii
		.amdhsa_group_segment_fixed_size 0
		.amdhsa_private_segment_fixed_size 0
		.amdhsa_kernarg_size 296
		.amdhsa_user_sgpr_count 6
		.amdhsa_user_sgpr_private_segment_buffer 1
		.amdhsa_user_sgpr_dispatch_ptr 0
		.amdhsa_user_sgpr_queue_ptr 0
		.amdhsa_user_sgpr_kernarg_segment_ptr 1
		.amdhsa_user_sgpr_dispatch_id 0
		.amdhsa_user_sgpr_flat_scratch_init 0
		.amdhsa_user_sgpr_private_segment_size 0
		.amdhsa_uses_dynamic_stack 0
		.amdhsa_system_sgpr_private_segment_wavefront_offset 0
		.amdhsa_system_sgpr_workgroup_id_x 1
		.amdhsa_system_sgpr_workgroup_id_y 1
		.amdhsa_system_sgpr_workgroup_id_z 0
		.amdhsa_system_sgpr_workgroup_info 0
		.amdhsa_system_vgpr_workitem_id 1
		.amdhsa_next_free_vgpr 28
		.amdhsa_next_free_sgpr 16
		.amdhsa_reserve_vcc 1
		.amdhsa_reserve_flat_scratch 0
		.amdhsa_float_round_mode_32 0
		.amdhsa_float_round_mode_16_64 0
		.amdhsa_float_denorm_mode_32 3
		.amdhsa_float_denorm_mode_16_64 3
		.amdhsa_dx10_clamp 1
		.amdhsa_ieee_mode 1
		.amdhsa_fp16_overflow 0
		.amdhsa_exception_fp_ieee_invalid_op 0
		.amdhsa_exception_fp_denorm_src 0
		.amdhsa_exception_fp_ieee_div_zero 0
		.amdhsa_exception_fp_ieee_overflow 0
		.amdhsa_exception_fp_ieee_underflow 0
		.amdhsa_exception_fp_ieee_inexact 0
		.amdhsa_exception_int_div_zero 0
	.end_amdhsa_kernel
	.section	.text._ZL13mul_mat_vec_qIN3c104HalfELi256ELi32E10block_q4_KLi2EXadL_ZL17vec_dot_q4_K_q8_1PKvPK10block_q8_1RKiEEEvS4_S4_PT_iii,"axG",@progbits,_ZL13mul_mat_vec_qIN3c104HalfELi256ELi32E10block_q4_KLi2EXadL_ZL17vec_dot_q4_K_q8_1PKvPK10block_q8_1RKiEEEvS4_S4_PT_iii,comdat
.Lfunc_end85:
	.size	_ZL13mul_mat_vec_qIN3c104HalfELi256ELi32E10block_q4_KLi2EXadL_ZL17vec_dot_q4_K_q8_1PKvPK10block_q8_1RKiEEEvS4_S4_PT_iii, .Lfunc_end85-_ZL13mul_mat_vec_qIN3c104HalfELi256ELi32E10block_q4_KLi2EXadL_ZL17vec_dot_q4_K_q8_1PKvPK10block_q8_1RKiEEEvS4_S4_PT_iii
                                        ; -- End function
	.set _ZL13mul_mat_vec_qIN3c104HalfELi256ELi32E10block_q4_KLi2EXadL_ZL17vec_dot_q4_K_q8_1PKvPK10block_q8_1RKiEEEvS4_S4_PT_iii.num_vgpr, 28
	.set _ZL13mul_mat_vec_qIN3c104HalfELi256ELi32E10block_q4_KLi2EXadL_ZL17vec_dot_q4_K_q8_1PKvPK10block_q8_1RKiEEEvS4_S4_PT_iii.num_agpr, 0
	.set _ZL13mul_mat_vec_qIN3c104HalfELi256ELi32E10block_q4_KLi2EXadL_ZL17vec_dot_q4_K_q8_1PKvPK10block_q8_1RKiEEEvS4_S4_PT_iii.numbered_sgpr, 16
	.set _ZL13mul_mat_vec_qIN3c104HalfELi256ELi32E10block_q4_KLi2EXadL_ZL17vec_dot_q4_K_q8_1PKvPK10block_q8_1RKiEEEvS4_S4_PT_iii.num_named_barrier, 0
	.set _ZL13mul_mat_vec_qIN3c104HalfELi256ELi32E10block_q4_KLi2EXadL_ZL17vec_dot_q4_K_q8_1PKvPK10block_q8_1RKiEEEvS4_S4_PT_iii.private_seg_size, 0
	.set _ZL13mul_mat_vec_qIN3c104HalfELi256ELi32E10block_q4_KLi2EXadL_ZL17vec_dot_q4_K_q8_1PKvPK10block_q8_1RKiEEEvS4_S4_PT_iii.uses_vcc, 1
	.set _ZL13mul_mat_vec_qIN3c104HalfELi256ELi32E10block_q4_KLi2EXadL_ZL17vec_dot_q4_K_q8_1PKvPK10block_q8_1RKiEEEvS4_S4_PT_iii.uses_flat_scratch, 0
	.set _ZL13mul_mat_vec_qIN3c104HalfELi256ELi32E10block_q4_KLi2EXadL_ZL17vec_dot_q4_K_q8_1PKvPK10block_q8_1RKiEEEvS4_S4_PT_iii.has_dyn_sized_stack, 0
	.set _ZL13mul_mat_vec_qIN3c104HalfELi256ELi32E10block_q4_KLi2EXadL_ZL17vec_dot_q4_K_q8_1PKvPK10block_q8_1RKiEEEvS4_S4_PT_iii.has_recursion, 0
	.set _ZL13mul_mat_vec_qIN3c104HalfELi256ELi32E10block_q4_KLi2EXadL_ZL17vec_dot_q4_K_q8_1PKvPK10block_q8_1RKiEEEvS4_S4_PT_iii.has_indirect_call, 0
	.section	.AMDGPU.csdata,"",@progbits
; Kernel info:
; codeLenInByte = 1152
; TotalNumSgprs: 20
; NumVgprs: 28
; ScratchSize: 0
; MemoryBound: 0
; FloatMode: 240
; IeeeMode: 1
; LDSByteSize: 0 bytes/workgroup (compile time only)
; SGPRBlocks: 2
; VGPRBlocks: 6
; NumSGPRsForWavesPerEU: 20
; NumVGPRsForWavesPerEU: 28
; Occupancy: 9
; WaveLimiterHint : 0
; COMPUTE_PGM_RSRC2:SCRATCH_EN: 0
; COMPUTE_PGM_RSRC2:USER_SGPR: 6
; COMPUTE_PGM_RSRC2:TRAP_HANDLER: 0
; COMPUTE_PGM_RSRC2:TGID_X_EN: 1
; COMPUTE_PGM_RSRC2:TGID_Y_EN: 1
; COMPUTE_PGM_RSRC2:TGID_Z_EN: 0
; COMPUTE_PGM_RSRC2:TIDIG_COMP_CNT: 1
	.section	.text._ZL13mul_mat_vec_qIN3c104HalfELi256ELi32E10block_q5_KLi2EXadL_ZL17vec_dot_q5_K_q8_1PKvPK10block_q8_1RKiEEEvS4_S4_PT_iii,"axG",@progbits,_ZL13mul_mat_vec_qIN3c104HalfELi256ELi32E10block_q5_KLi2EXadL_ZL17vec_dot_q5_K_q8_1PKvPK10block_q8_1RKiEEEvS4_S4_PT_iii,comdat
	.globl	_ZL13mul_mat_vec_qIN3c104HalfELi256ELi32E10block_q5_KLi2EXadL_ZL17vec_dot_q5_K_q8_1PKvPK10block_q8_1RKiEEEvS4_S4_PT_iii ; -- Begin function _ZL13mul_mat_vec_qIN3c104HalfELi256ELi32E10block_q5_KLi2EXadL_ZL17vec_dot_q5_K_q8_1PKvPK10block_q8_1RKiEEEvS4_S4_PT_iii
	.p2align	8
	.type	_ZL13mul_mat_vec_qIN3c104HalfELi256ELi32E10block_q5_KLi2EXadL_ZL17vec_dot_q5_K_q8_1PKvPK10block_q8_1RKiEEEvS4_S4_PT_iii,@function
_ZL13mul_mat_vec_qIN3c104HalfELi256ELi32E10block_q5_KLi2EXadL_ZL17vec_dot_q5_K_q8_1PKvPK10block_q8_1RKiEEEvS4_S4_PT_iii: ; @_ZL13mul_mat_vec_qIN3c104HalfELi256ELi32E10block_q5_KLi2EXadL_ZL17vec_dot_q5_K_q8_1PKvPK10block_q8_1RKiEEEvS4_S4_PT_iii
; %bb.0:
	s_load_dword s0, s[4:5], 0x34
	s_load_dwordx4 s[8:11], s[4:5], 0x18
	s_waitcnt lgkmcnt(0)
	s_lshr_b32 s0, s0, 16
	s_mul_i32 s6, s6, s0
	v_add_u32_e32 v9, s6, v1
	s_cmp_lt_u32 s7, s10
	v_cmp_gt_u32_e32 vcc, s9, v9
	s_cselect_b64 s[0:1], -1, 0
	s_and_b64 s[0:1], s[0:1], vcc
	s_and_saveexec_b64 s[2:3], s[0:1]
	s_cbranch_execz .LBB86_11
; %bb.1:
	s_load_dwordx2 s[2:3], s[4:5], 0x10
	s_ashr_i32 s0, s8, 31
	s_lshr_b32 s0, s0, 24
	s_add_i32 s0, s8, s0
	s_ashr_i32 s6, s0, 8
	v_lshrrev_b32_e32 v11, 4, v0
	v_cmp_gt_u32_e32 vcc, s6, v11
	v_mov_b32_e32 v10, 0
	s_and_saveexec_b64 s[10:11], vcc
	s_cbranch_execz .LBB86_9
; %bb.2:
	s_load_dwordx4 s[12:15], s[4:5], 0x0
	s_add_i32 s0, s8, 0x1ff
	s_ashr_i32 s1, s0, 31
	s_lshr_b32 s1, s1, 23
	v_lshlrev_b32_e32 v1, 1, v0
	s_add_i32 s0, s0, s1
	v_bfe_u32 v5, v1, 3, 2
	s_ashr_i32 s0, s0, 9
	v_and_b32_e32 v2, 30, v1
	v_lshlrev_b32_e32 v15, 1, v5
	s_mul_i32 s4, s7, s0
	v_mul_lo_u32 v12, v9, s6
	v_cmp_lt_u32_e32 vcc, 15, v2
	s_waitcnt lgkmcnt(0)
	v_mad_u64_u32 v[1:2], s[0:1], v15, 36, s[14:15]
	v_lshlrev_b32_e32 v3, 3, v11
	v_and_b32_e32 v6, 3, v0
	v_lshl_add_u32 v16, s4, 4, v3
	v_mov_b32_e32 v3, s12
	v_lshlrev_b32_e32 v13, 5, v5
	v_mov_b32_e32 v10, 0
	v_lshlrev_b32_e32 v14, 2, v6
	s_mov_b64 s[4:5], 0
	s_movk_i32 s8, 0xb0
	v_mov_b32_e32 v4, s13
	v_lshlrev_b32_e32 v17, 1, v5
	s_mov_b32 s12, 0x5040100
	s_mov_b32 s13, 0x20004
	;; [unrolled: 1-line block ×3, first 2 shown]
	v_lshlrev_b32_e32 v18, 2, v6
	s_mov_b32 s15, 0x10101010
	s_mov_b32 s16, 0x1010101
	s_branch .LBB86_4
.LBB86_3:                               ;   in Loop: Header=BB86_4 Depth=1
	s_or_b64 exec, exec, s[0:1]
	v_mad_i64_i32 v[24:25], s[0:1], v16, 36, v[1:2]
	s_waitcnt vmcnt(1)
	v_ashrrev_i32_e32 v22, v15, v22
	v_add_u32_e32 v11, 4, v11
	v_add_co_u32_e64 v26, s[0:1], v24, v18
	v_addc_co_u32_e64 v27, s[0:1], 0, v25, s[0:1]
	global_load_dword v8, v[26:27], off offset:20
	global_load_dword v28, v[26:27], off offset:4
	global_load_dword v7, v[5:6], off
	global_load_dword v29, v[26:27], off offset:56
	global_load_dword v30, v[26:27], off offset:40
	global_load_dword v31, v[24:25], off
                                        ; kill: killed $vgpr5 killed $vgpr6
                                        ; kill: killed $vgpr26 killed $vgpr27
	s_nop 0
	global_load_dword v5, v[24:25], off offset:36
	s_waitcnt vmcnt(7)
	v_ashrrev_i32_e32 v6, v15, v23
	v_and_b32_e32 v23, 0xf0f0f0f, v21
	v_lshlrev_b32_e32 v24, 4, v22
	v_and_or_b32 v23, v24, s15, v23
	v_and_b32_e32 v24, 0xf0f0f0f, v19
	v_lshlrev_b32_e32 v25, 4, v6
	v_lshrrev_b32_e32 v19, 4, v19
	v_and_or_b32 v24, v25, s15, v24
	v_lshrrev_b32_e32 v21, 4, v21
	v_and_b32_e32 v19, 0xf0f0f0f, v19
	v_lshlrev_b32_e32 v6, 3, v6
	v_and_b32_e32 v21, 0xf0f0f0f, v21
	v_lshlrev_b32_e32 v22, 3, v22
	v_and_or_b32 v6, v6, s15, v19
	v_and_or_b32 v21, v22, s15, v21
	v_lshrrev_b16_e32 v22, 8, v20
	v_lshrrev_b32_e32 v19, 24, v20
	v_cmp_le_u32_e64 s[0:1], s6, v11
	s_or_b64 s[4:5], s[0:1], s[4:5]
	v_add_u32_e32 v16, 32, v16
	s_waitcnt vmcnt(6)
	v_dot4_i32_i8 v24, v24, v8, 0
	v_dot4_i32_i8 v8, s16, v8, 0
	s_waitcnt vmcnt(5)
	v_dot4_i32_i8 v23, v23, v28, v24
	v_and_b32_e32 v24, 0xff, v20
	v_bfe_u32 v20, v20, 16, 8
	v_dot4_i32_i8 v8, s16, v28, v8
	s_waitcnt vmcnt(3)
	v_dot4_i32_i8 v6, v6, v29, 0
	v_dot4_i32_i8 v26, s16, v29, 0
	s_waitcnt vmcnt(2)
	v_dot4_i32_i8 v6, v21, v30, v6
	v_dot4_i32_i8 v21, s16, v30, v26
	v_mul_lo_u32 v20, v23, v20
	v_mul_lo_u32 v8, v8, v24
	v_mul_lo_u32 v6, v6, v19
	v_mul_lo_u32 v19, v21, v22
	v_cvt_f32_i32_e32 v20, v20
	v_cvt_f32_i32_e32 v8, v8
	;; [unrolled: 1-line block ×4, first 2 shown]
	v_cvt_f32_f16_sdwa v25, v7 dst_sel:DWORD dst_unused:UNUSED_PAD src0_sel:WORD_1
	s_waitcnt vmcnt(1)
	v_fma_mix_f32 v20, v31, v20, 0 op_sel_hi:[1,0,0]
	v_fma_mix_f32 v8, v31, v8, 0 op_sel_hi:[1,0,0]
	s_waitcnt vmcnt(0)
	v_fma_mix_f32 v6, v5, v6, v20 op_sel_hi:[1,0,0]
	v_fma_mix_f32 v5, v5, v19, v8 op_sel_hi:[1,0,0]
	v_mul_f32_e32 v5, v5, v25
	v_fma_mix_f32 v5, v6, v7, -v5 op_sel_hi:[0,1,0]
	v_add_f32_e32 v10, v10, v5
	s_andn2_b64 exec, exec, s[4:5]
	s_cbranch_execz .LBB86_8
.LBB86_4:                               ; =>This Inner Loop Header: Depth=1
	v_add_u32_e32 v5, v12, v11
	v_mad_i64_i32 v[5:6], s[0:1], v5, s8, v[3:4]
                                        ; implicit-def: $vgpr20
	v_add_co_u32_e64 v7, s[0:1], v5, v13
	v_addc_co_u32_e64 v8, s[0:1], 0, v6, s[0:1]
	v_add_co_u32_e64 v7, s[0:1], v7, v14
	v_addc_co_u32_e64 v8, s[0:1], 0, v8, s[0:1]
	;; [unrolled: 2-line block ×3, first 2 shown]
	global_load_dword v21, v[7:8], off offset:48
	global_load_dword v19, v[7:8], off offset:64
	;; [unrolled: 1-line block ×4, first 2 shown]
	v_add_co_u32_e64 v7, s[0:1], v5, v17
	v_addc_co_u32_e64 v8, s[0:1], 0, v6, s[0:1]
	s_and_saveexec_b64 s[0:1], vcc
	s_xor_b64 s[0:1], exec, s[0:1]
	s_cbranch_execz .LBB86_6
; %bb.5:                                ;   in Loop: Header=BB86_4 Depth=1
	global_load_ushort v20, v[7:8], off
	global_load_ushort v24, v[7:8], off offset:8
	global_load_ushort v25, v[7:8], off offset:4
	s_waitcnt vmcnt(1)
	v_perm_b32 v7, v20, v24, s12
	s_waitcnt vmcnt(0)
	v_perm_b32 v8, v24, v25, s12
	v_pk_lshrrev_b16 v8, 2, v8
	v_pk_lshrrev_b16 v7, s13, v7
	v_and_b32_e32 v8, 0xf0f3030, v8
	v_and_or_b32 v20, v7, s14, v8
                                        ; implicit-def: $vgpr7_vgpr8
.LBB86_6:                               ;   in Loop: Header=BB86_4 Depth=1
	s_andn2_saveexec_b64 s[0:1], s[0:1]
	s_cbranch_execz .LBB86_3
; %bb.7:                                ;   in Loop: Header=BB86_4 Depth=1
	global_load_ushort v20, v[7:8], off offset:4
	global_load_ushort v24, v[7:8], off offset:8
	s_waitcnt vmcnt(0)
	v_perm_b32 v7, v20, v24, s12
	v_and_b32_e32 v20, 0x3f3f3f3f, v7
	s_branch .LBB86_3
.LBB86_8:
	s_or_b64 exec, exec, s[4:5]
.LBB86_9:
	s_or_b64 exec, exec, s[10:11]
	v_mbcnt_lo_u32_b32 v1, -1, 0
	v_mbcnt_hi_u32_b32 v2, -1, v1
	v_and_b32_e32 v1, 64, v2
	v_add_u32_e32 v3, 64, v1
	v_xor_b32_e32 v1, 32, v2
	v_cmp_lt_i32_e32 vcc, v1, v3
	v_cndmask_b32_e32 v1, v2, v1, vcc
	v_lshlrev_b32_e32 v1, 2, v1
	ds_bpermute_b32 v1, v1, v10
	v_xor_b32_e32 v4, 16, v2
	v_cmp_lt_i32_e32 vcc, v4, v3
	v_cndmask_b32_e32 v4, v2, v4, vcc
	v_lshlrev_b32_e32 v4, 2, v4
	s_waitcnt lgkmcnt(0)
	v_add_f32_e32 v1, v10, v1
	ds_bpermute_b32 v4, v4, v1
	v_xor_b32_e32 v5, 8, v2
	v_cmp_lt_i32_e32 vcc, v5, v3
	s_waitcnt lgkmcnt(0)
	v_add_f32_e32 v1, v1, v4
	v_cndmask_b32_e32 v4, v2, v5, vcc
	v_lshlrev_b32_e32 v4, 2, v4
	ds_bpermute_b32 v4, v4, v1
	v_xor_b32_e32 v5, 4, v2
	v_cmp_lt_i32_e32 vcc, v5, v3
	s_waitcnt lgkmcnt(0)
	v_add_f32_e32 v1, v1, v4
	v_cndmask_b32_e32 v4, v2, v5, vcc
	v_lshlrev_b32_e32 v4, 2, v4
	;; [unrolled: 7-line block ×3, first 2 shown]
	ds_bpermute_b32 v4, v4, v1
	v_xor_b32_e32 v5, 1, v2
	v_cmp_lt_i32_e32 vcc, v5, v3
	v_cndmask_b32_e32 v2, v2, v5, vcc
	v_lshlrev_b32_e32 v2, 2, v2
	s_waitcnt lgkmcnt(0)
	v_add_f32_e32 v1, v1, v4
	ds_bpermute_b32 v2, v2, v1
	v_cmp_eq_u32_e32 vcc, 0, v0
	s_and_b64 exec, exec, vcc
	s_cbranch_execz .LBB86_11
; %bb.10:
	s_waitcnt lgkmcnt(0)
	v_add_f32_e32 v0, v1, v2
	s_mul_i32 s0, s9, s7
	v_cvt_f16_f32_e32 v2, v0
	v_add_u32_e32 v0, s0, v9
	v_mov_b32_e32 v1, 0
	v_lshlrev_b64 v[0:1], 1, v[0:1]
	v_mov_b32_e32 v3, s3
	v_add_co_u32_e32 v0, vcc, s2, v0
	v_addc_co_u32_e32 v1, vcc, v3, v1, vcc
	global_store_short v[0:1], v2, off
.LBB86_11:
	s_endpgm
	.section	.rodata,"a",@progbits
	.p2align	6, 0x0
	.amdhsa_kernel _ZL13mul_mat_vec_qIN3c104HalfELi256ELi32E10block_q5_KLi2EXadL_ZL17vec_dot_q5_K_q8_1PKvPK10block_q8_1RKiEEEvS4_S4_PT_iii
		.amdhsa_group_segment_fixed_size 0
		.amdhsa_private_segment_fixed_size 0
		.amdhsa_kernarg_size 296
		.amdhsa_user_sgpr_count 6
		.amdhsa_user_sgpr_private_segment_buffer 1
		.amdhsa_user_sgpr_dispatch_ptr 0
		.amdhsa_user_sgpr_queue_ptr 0
		.amdhsa_user_sgpr_kernarg_segment_ptr 1
		.amdhsa_user_sgpr_dispatch_id 0
		.amdhsa_user_sgpr_flat_scratch_init 0
		.amdhsa_user_sgpr_private_segment_size 0
		.amdhsa_uses_dynamic_stack 0
		.amdhsa_system_sgpr_private_segment_wavefront_offset 0
		.amdhsa_system_sgpr_workgroup_id_x 1
		.amdhsa_system_sgpr_workgroup_id_y 1
		.amdhsa_system_sgpr_workgroup_id_z 0
		.amdhsa_system_sgpr_workgroup_info 0
		.amdhsa_system_vgpr_workitem_id 1
		.amdhsa_next_free_vgpr 32
		.amdhsa_next_free_sgpr 17
		.amdhsa_reserve_vcc 1
		.amdhsa_reserve_flat_scratch 0
		.amdhsa_float_round_mode_32 0
		.amdhsa_float_round_mode_16_64 0
		.amdhsa_float_denorm_mode_32 3
		.amdhsa_float_denorm_mode_16_64 3
		.amdhsa_dx10_clamp 1
		.amdhsa_ieee_mode 1
		.amdhsa_fp16_overflow 0
		.amdhsa_exception_fp_ieee_invalid_op 0
		.amdhsa_exception_fp_denorm_src 0
		.amdhsa_exception_fp_ieee_div_zero 0
		.amdhsa_exception_fp_ieee_overflow 0
		.amdhsa_exception_fp_ieee_underflow 0
		.amdhsa_exception_fp_ieee_inexact 0
		.amdhsa_exception_int_div_zero 0
	.end_amdhsa_kernel
	.section	.text._ZL13mul_mat_vec_qIN3c104HalfELi256ELi32E10block_q5_KLi2EXadL_ZL17vec_dot_q5_K_q8_1PKvPK10block_q8_1RKiEEEvS4_S4_PT_iii,"axG",@progbits,_ZL13mul_mat_vec_qIN3c104HalfELi256ELi32E10block_q5_KLi2EXadL_ZL17vec_dot_q5_K_q8_1PKvPK10block_q8_1RKiEEEvS4_S4_PT_iii,comdat
.Lfunc_end86:
	.size	_ZL13mul_mat_vec_qIN3c104HalfELi256ELi32E10block_q5_KLi2EXadL_ZL17vec_dot_q5_K_q8_1PKvPK10block_q8_1RKiEEEvS4_S4_PT_iii, .Lfunc_end86-_ZL13mul_mat_vec_qIN3c104HalfELi256ELi32E10block_q5_KLi2EXadL_ZL17vec_dot_q5_K_q8_1PKvPK10block_q8_1RKiEEEvS4_S4_PT_iii
                                        ; -- End function
	.set _ZL13mul_mat_vec_qIN3c104HalfELi256ELi32E10block_q5_KLi2EXadL_ZL17vec_dot_q5_K_q8_1PKvPK10block_q8_1RKiEEEvS4_S4_PT_iii.num_vgpr, 32
	.set _ZL13mul_mat_vec_qIN3c104HalfELi256ELi32E10block_q5_KLi2EXadL_ZL17vec_dot_q5_K_q8_1PKvPK10block_q8_1RKiEEEvS4_S4_PT_iii.num_agpr, 0
	.set _ZL13mul_mat_vec_qIN3c104HalfELi256ELi32E10block_q5_KLi2EXadL_ZL17vec_dot_q5_K_q8_1PKvPK10block_q8_1RKiEEEvS4_S4_PT_iii.numbered_sgpr, 17
	.set _ZL13mul_mat_vec_qIN3c104HalfELi256ELi32E10block_q5_KLi2EXadL_ZL17vec_dot_q5_K_q8_1PKvPK10block_q8_1RKiEEEvS4_S4_PT_iii.num_named_barrier, 0
	.set _ZL13mul_mat_vec_qIN3c104HalfELi256ELi32E10block_q5_KLi2EXadL_ZL17vec_dot_q5_K_q8_1PKvPK10block_q8_1RKiEEEvS4_S4_PT_iii.private_seg_size, 0
	.set _ZL13mul_mat_vec_qIN3c104HalfELi256ELi32E10block_q5_KLi2EXadL_ZL17vec_dot_q5_K_q8_1PKvPK10block_q8_1RKiEEEvS4_S4_PT_iii.uses_vcc, 1
	.set _ZL13mul_mat_vec_qIN3c104HalfELi256ELi32E10block_q5_KLi2EXadL_ZL17vec_dot_q5_K_q8_1PKvPK10block_q8_1RKiEEEvS4_S4_PT_iii.uses_flat_scratch, 0
	.set _ZL13mul_mat_vec_qIN3c104HalfELi256ELi32E10block_q5_KLi2EXadL_ZL17vec_dot_q5_K_q8_1PKvPK10block_q8_1RKiEEEvS4_S4_PT_iii.has_dyn_sized_stack, 0
	.set _ZL13mul_mat_vec_qIN3c104HalfELi256ELi32E10block_q5_KLi2EXadL_ZL17vec_dot_q5_K_q8_1PKvPK10block_q8_1RKiEEEvS4_S4_PT_iii.has_recursion, 0
	.set _ZL13mul_mat_vec_qIN3c104HalfELi256ELi32E10block_q5_KLi2EXadL_ZL17vec_dot_q5_K_q8_1PKvPK10block_q8_1RKiEEEvS4_S4_PT_iii.has_indirect_call, 0
	.section	.AMDGPU.csdata,"",@progbits
; Kernel info:
; codeLenInByte = 1244
; TotalNumSgprs: 21
; NumVgprs: 32
; ScratchSize: 0
; MemoryBound: 0
; FloatMode: 240
; IeeeMode: 1
; LDSByteSize: 0 bytes/workgroup (compile time only)
; SGPRBlocks: 2
; VGPRBlocks: 7
; NumSGPRsForWavesPerEU: 21
; NumVGPRsForWavesPerEU: 32
; Occupancy: 8
; WaveLimiterHint : 0
; COMPUTE_PGM_RSRC2:SCRATCH_EN: 0
; COMPUTE_PGM_RSRC2:USER_SGPR: 6
; COMPUTE_PGM_RSRC2:TRAP_HANDLER: 0
; COMPUTE_PGM_RSRC2:TGID_X_EN: 1
; COMPUTE_PGM_RSRC2:TGID_Y_EN: 1
; COMPUTE_PGM_RSRC2:TGID_Z_EN: 0
; COMPUTE_PGM_RSRC2:TIDIG_COMP_CNT: 1
	.section	.text._ZL13mul_mat_vec_qIN3c104HalfELi256ELi32E10block_q6_KLi1EXadL_ZL17vec_dot_q6_K_q8_1PKvPK10block_q8_1RKiEEEvS4_S4_PT_iii,"axG",@progbits,_ZL13mul_mat_vec_qIN3c104HalfELi256ELi32E10block_q6_KLi1EXadL_ZL17vec_dot_q6_K_q8_1PKvPK10block_q8_1RKiEEEvS4_S4_PT_iii,comdat
	.globl	_ZL13mul_mat_vec_qIN3c104HalfELi256ELi32E10block_q6_KLi1EXadL_ZL17vec_dot_q6_K_q8_1PKvPK10block_q8_1RKiEEEvS4_S4_PT_iii ; -- Begin function _ZL13mul_mat_vec_qIN3c104HalfELi256ELi32E10block_q6_KLi1EXadL_ZL17vec_dot_q6_K_q8_1PKvPK10block_q8_1RKiEEEvS4_S4_PT_iii
	.p2align	8
	.type	_ZL13mul_mat_vec_qIN3c104HalfELi256ELi32E10block_q6_KLi1EXadL_ZL17vec_dot_q6_K_q8_1PKvPK10block_q8_1RKiEEEvS4_S4_PT_iii,@function
_ZL13mul_mat_vec_qIN3c104HalfELi256ELi32E10block_q6_KLi1EXadL_ZL17vec_dot_q6_K_q8_1PKvPK10block_q8_1RKiEEEvS4_S4_PT_iii: ; @_ZL13mul_mat_vec_qIN3c104HalfELi256ELi32E10block_q6_KLi1EXadL_ZL17vec_dot_q6_K_q8_1PKvPK10block_q8_1RKiEEEvS4_S4_PT_iii
; %bb.0:
	s_load_dword s0, s[4:5], 0x34
	s_load_dwordx4 s[8:11], s[4:5], 0x18
	s_waitcnt lgkmcnt(0)
	s_lshr_b32 s0, s0, 16
	s_mul_i32 s6, s6, s0
	v_add_u32_e32 v5, s6, v1
	s_cmp_lt_u32 s7, s10
	v_cmp_gt_u32_e32 vcc, s9, v5
	s_cselect_b64 s[0:1], -1, 0
	s_and_b64 s[0:1], s[0:1], vcc
	s_and_saveexec_b64 s[2:3], s[0:1]
	s_cbranch_execz .LBB87_7
; %bb.1:
	s_load_dwordx2 s[2:3], s[4:5], 0x10
	s_ashr_i32 s0, s8, 31
	s_lshr_b32 s0, s0, 24
	s_add_i32 s0, s8, s0
	s_ashr_i32 s6, s0, 8
	v_lshrrev_b32_e32 v7, 5, v0
	v_cmp_gt_u32_e32 vcc, s6, v7
	v_mov_b32_e32 v6, 0
	s_and_saveexec_b64 s[10:11], vcc
	s_cbranch_execz .LBB87_5
; %bb.2:
	s_load_dwordx4 s[12:15], s[4:5], 0x0
	s_add_i32 s0, s8, 0x1ff
	v_and_b32_e32 v1, 31, v0
	s_ashr_i32 s1, s0, 31
	v_add_u32_e32 v2, 0xf0, v1
	v_cmp_gt_u32_e32 vcc, 16, v1
	s_lshr_b32 s1, s1, 23
	v_cndmask_b32_e32 v3, v2, v1, vcc
	v_cmp_lt_u32_e32 vcc, 15, v1
	s_add_i32 s0, s0, s1
	v_lshlrev_b32_e32 v9, 2, v1
	v_cndmask_b32_e64 v13, 0, 8, vcc
	v_and_b32_e32 v1, 7, v0
	s_ashr_i32 s0, s0, 9
	v_or_b32_e32 v2, v13, v1
	v_lshlrev_b32_e32 v11, 2, v1
	v_cndmask_b32_e64 v1, 0, 4, vcc
	s_mul_i32 s4, s7, s0
	v_lshlrev_b32_e32 v10, 2, v2
	s_waitcnt lgkmcnt(0)
	v_mad_u64_u32 v[1:2], s[0:1], v1, 36, s[14:15]
	v_and_b32_e32 v4, 0xf8, v3
	v_cmp_ne_u32_e32 vcc, 0, v4
	v_cndmask_b32_e64 v4, 0, 1, vcc
	v_mul_lo_u32 v8, v5, s6
	v_mad_u64_u32 v[1:2], s[0:1], v4, 36, v[1:2]
	v_bfe_u32 v3, v3, 2, 6
	v_add_u32_e32 v13, v3, v13
	v_lshlrev_b32_e32 v3, 3, v7
	v_lshl_add_u32 v14, s4, 4, v3
	v_mov_b32_e32 v3, s12
	v_mov_b32_e32 v6, 0
	v_cndmask_b32_e64 v12, 0, 2, vcc
	s_mov_b64 s[4:5], 0
	s_movk_i32 s8, 0xd2
	v_mov_b32_e32 v4, s13
	s_mov_b32 s12, 0x30303030
	s_movk_i32 s13, 0x3f00
	s_movk_i32 s14, 0xe000
	v_mov_b32_e32 v15, 8
.LBB87_3:                               ; =>This Inner Loop Header: Depth=1
	v_add_u32_e32 v18, v8, v7
	v_mad_i64_i32 v[18:19], s[0:1], v18, s8, v[3:4]
	v_mad_i64_i32 v[16:17], s[0:1], v14, 36, v[1:2]
	v_add_co_u32_e64 v21, s[0:1], v18, v9
	v_addc_co_u32_e64 v22, s[0:1], 0, v19, s[0:1]
	v_add_co_u32_e64 v23, s[0:1], v18, v10
	v_addc_co_u32_e64 v24, s[0:1], 0, v19, s[0:1]
	global_load_dword v25, v[23:24], off offset:128
	global_load_dword v26, v[21:22], off
	v_add_co_u32_e32 v20, vcc, v16, v11
	v_addc_co_u32_e32 v21, vcc, 0, v17, vcc
	global_load_dword v22, v[20:21], off offset:4
	global_load_dword v23, v[20:21], off offset:76
	v_add_co_u32_e32 v20, vcc, v18, v13
	v_addc_co_u32_e32 v21, vcc, 0, v19, vcc
	global_load_sbyte v24, v[20:21], off offset:192
	global_load_sbyte v27, v[20:21], off offset:196
	global_load_dword v28, v[16:17], off
	global_load_dword v29, v[16:17], off offset:72
	global_load_ushort v30, v[18:19], off offset:208
	v_add_u32_e32 v7, 2, v7
	v_cmp_le_u32_e32 vcc, s6, v7
	v_add_u32_e32 v14, 16, v14
	s_or_b64 s[4:5], vcc, s[4:5]
	s_waitcnt vmcnt(8)
	v_ashrrev_i32_e32 v16, v12, v25
	s_waitcnt vmcnt(7)
	v_and_b32_e32 v17, 0xf0f0f0f, v26
	v_lshrrev_b32_e32 v18, 4, v26
	v_lshlrev_b32_e32 v19, 4, v16
	v_and_b32_e32 v18, 0xf0f0f0f, v18
	v_and_or_b32 v17, v19, s12, v17
	v_and_or_b32 v16, v16, s12, v18
	v_lshlrev_b16_e32 v18, 8, v17
	v_and_b32_e32 v19, 0x3f00, v17
	v_and_b32_sdwa v20, v17, s13 dst_sel:DWORD dst_unused:UNUSED_PAD src0_sel:WORD_1 src1_sel:DWORD
	v_lshlrev_b16_sdwa v17, v15, v17 dst_sel:DWORD dst_unused:UNUSED_PAD src0_sel:DWORD src1_sel:WORD_1
	v_add_u16_e32 v18, 0xe000, v18
	v_lshlrev_b16_e32 v21, 8, v16
	v_and_b32_e32 v25, 0x3f00, v16
	v_or_b32_sdwa v18, v19, v18 dst_sel:DWORD dst_unused:UNUSED_PAD src0_sel:DWORD src1_sel:BYTE_1
	v_and_b32_sdwa v19, v16, s13 dst_sel:DWORD dst_unused:UNUSED_PAD src0_sel:WORD_1 src1_sel:DWORD
	v_lshlrev_b16_sdwa v16, v15, v16 dst_sel:DWORD dst_unused:UNUSED_PAD src0_sel:DWORD src1_sel:WORD_1
	v_add_u16_e32 v17, 0xe000, v17
	v_add_u16_e32 v21, 0xe000, v21
	;; [unrolled: 1-line block ×3, first 2 shown]
	v_or_b32_sdwa v17, v20, v17 dst_sel:DWORD dst_unused:UNUSED_PAD src0_sel:DWORD src1_sel:BYTE_1
	v_or_b32_sdwa v20, v25, v21 dst_sel:DWORD dst_unused:UNUSED_PAD src0_sel:DWORD src1_sel:BYTE_1
	;; [unrolled: 1-line block ×3, first 2 shown]
	v_add_u16_e32 v18, 0xe000, v18
	v_add_u16_sdwa v17, v17, s14 dst_sel:WORD_1 dst_unused:UNUSED_PAD src0_sel:DWORD src1_sel:DWORD
	v_add_u16_e32 v19, 0xe000, v20
	v_add_u16_sdwa v16, v16, s14 dst_sel:WORD_1 dst_unused:UNUSED_PAD src0_sel:DWORD src1_sel:DWORD
	v_or_b32_e32 v17, v18, v17
	v_or_b32_e32 v16, v19, v16
	s_waitcnt vmcnt(6)
	v_dot4_i32_i8 v17, v17, v22, 0
	s_waitcnt vmcnt(5)
	v_dot4_i32_i8 v16, v16, v23, 0
	s_waitcnt vmcnt(4)
	v_mul_lo_u32 v17, v17, v24
	s_waitcnt vmcnt(3)
	v_mul_lo_u32 v16, v16, v27
	v_cvt_f32_i32_e32 v17, v17
	v_cvt_f32_i32_e32 v16, v16
	s_waitcnt vmcnt(2)
	v_fma_mix_f32 v17, v28, v17, 0 op_sel_hi:[1,0,0]
	s_waitcnt vmcnt(1)
	v_fma_mix_f32 v16, v29, v16, v17 op_sel_hi:[1,0,0]
	;; [unrolled: 2-line block ×3, first 2 shown]
	s_andn2_b64 exec, exec, s[4:5]
	s_cbranch_execnz .LBB87_3
; %bb.4:
	s_or_b64 exec, exec, s[4:5]
.LBB87_5:
	s_or_b64 exec, exec, s[10:11]
	v_mbcnt_lo_u32_b32 v1, -1, 0
	v_mbcnt_hi_u32_b32 v2, -1, v1
	v_and_b32_e32 v1, 64, v2
	v_add_u32_e32 v3, 64, v1
	v_xor_b32_e32 v1, 32, v2
	v_cmp_lt_i32_e32 vcc, v1, v3
	v_cndmask_b32_e32 v1, v2, v1, vcc
	v_lshlrev_b32_e32 v1, 2, v1
	ds_bpermute_b32 v1, v1, v6
	v_xor_b32_e32 v4, 16, v2
	v_cmp_lt_i32_e32 vcc, v4, v3
	v_cndmask_b32_e32 v4, v2, v4, vcc
	v_lshlrev_b32_e32 v4, 2, v4
	s_waitcnt lgkmcnt(0)
	v_add_f32_e32 v1, v6, v1
	ds_bpermute_b32 v4, v4, v1
	v_xor_b32_e32 v6, 8, v2
	v_cmp_lt_i32_e32 vcc, v6, v3
	s_waitcnt lgkmcnt(0)
	v_add_f32_e32 v1, v1, v4
	v_cndmask_b32_e32 v4, v2, v6, vcc
	v_lshlrev_b32_e32 v4, 2, v4
	ds_bpermute_b32 v4, v4, v1
	v_xor_b32_e32 v6, 4, v2
	v_cmp_lt_i32_e32 vcc, v6, v3
	s_waitcnt lgkmcnt(0)
	v_add_f32_e32 v1, v1, v4
	v_cndmask_b32_e32 v4, v2, v6, vcc
	v_lshlrev_b32_e32 v4, 2, v4
	;; [unrolled: 7-line block ×3, first 2 shown]
	ds_bpermute_b32 v4, v4, v1
	v_xor_b32_e32 v6, 1, v2
	v_cmp_lt_i32_e32 vcc, v6, v3
	v_cndmask_b32_e32 v2, v2, v6, vcc
	v_lshlrev_b32_e32 v2, 2, v2
	s_waitcnt lgkmcnt(0)
	v_add_f32_e32 v1, v1, v4
	ds_bpermute_b32 v2, v2, v1
	v_cmp_eq_u32_e32 vcc, 0, v0
	s_and_b64 exec, exec, vcc
	s_cbranch_execz .LBB87_7
; %bb.6:
	s_waitcnt lgkmcnt(0)
	v_add_f32_e32 v0, v1, v2
	s_mul_i32 s0, s9, s7
	v_cvt_f16_f32_e32 v2, v0
	v_add_u32_e32 v0, s0, v5
	v_mov_b32_e32 v1, 0
	v_lshlrev_b64 v[0:1], 1, v[0:1]
	v_mov_b32_e32 v3, s3
	v_add_co_u32_e32 v0, vcc, s2, v0
	v_addc_co_u32_e32 v1, vcc, v3, v1, vcc
	global_store_short v[0:1], v2, off
.LBB87_7:
	s_endpgm
	.section	.rodata,"a",@progbits
	.p2align	6, 0x0
	.amdhsa_kernel _ZL13mul_mat_vec_qIN3c104HalfELi256ELi32E10block_q6_KLi1EXadL_ZL17vec_dot_q6_K_q8_1PKvPK10block_q8_1RKiEEEvS4_S4_PT_iii
		.amdhsa_group_segment_fixed_size 0
		.amdhsa_private_segment_fixed_size 0
		.amdhsa_kernarg_size 296
		.amdhsa_user_sgpr_count 6
		.amdhsa_user_sgpr_private_segment_buffer 1
		.amdhsa_user_sgpr_dispatch_ptr 0
		.amdhsa_user_sgpr_queue_ptr 0
		.amdhsa_user_sgpr_kernarg_segment_ptr 1
		.amdhsa_user_sgpr_dispatch_id 0
		.amdhsa_user_sgpr_flat_scratch_init 0
		.amdhsa_user_sgpr_private_segment_size 0
		.amdhsa_uses_dynamic_stack 0
		.amdhsa_system_sgpr_private_segment_wavefront_offset 0
		.amdhsa_system_sgpr_workgroup_id_x 1
		.amdhsa_system_sgpr_workgroup_id_y 1
		.amdhsa_system_sgpr_workgroup_id_z 0
		.amdhsa_system_sgpr_workgroup_info 0
		.amdhsa_system_vgpr_workitem_id 1
		.amdhsa_next_free_vgpr 31
		.amdhsa_next_free_sgpr 16
		.amdhsa_reserve_vcc 1
		.amdhsa_reserve_flat_scratch 0
		.amdhsa_float_round_mode_32 0
		.amdhsa_float_round_mode_16_64 0
		.amdhsa_float_denorm_mode_32 3
		.amdhsa_float_denorm_mode_16_64 3
		.amdhsa_dx10_clamp 1
		.amdhsa_ieee_mode 1
		.amdhsa_fp16_overflow 0
		.amdhsa_exception_fp_ieee_invalid_op 0
		.amdhsa_exception_fp_denorm_src 0
		.amdhsa_exception_fp_ieee_div_zero 0
		.amdhsa_exception_fp_ieee_overflow 0
		.amdhsa_exception_fp_ieee_underflow 0
		.amdhsa_exception_fp_ieee_inexact 0
		.amdhsa_exception_int_div_zero 0
	.end_amdhsa_kernel
	.section	.text._ZL13mul_mat_vec_qIN3c104HalfELi256ELi32E10block_q6_KLi1EXadL_ZL17vec_dot_q6_K_q8_1PKvPK10block_q8_1RKiEEEvS4_S4_PT_iii,"axG",@progbits,_ZL13mul_mat_vec_qIN3c104HalfELi256ELi32E10block_q6_KLi1EXadL_ZL17vec_dot_q6_K_q8_1PKvPK10block_q8_1RKiEEEvS4_S4_PT_iii,comdat
.Lfunc_end87:
	.size	_ZL13mul_mat_vec_qIN3c104HalfELi256ELi32E10block_q6_KLi1EXadL_ZL17vec_dot_q6_K_q8_1PKvPK10block_q8_1RKiEEEvS4_S4_PT_iii, .Lfunc_end87-_ZL13mul_mat_vec_qIN3c104HalfELi256ELi32E10block_q6_KLi1EXadL_ZL17vec_dot_q6_K_q8_1PKvPK10block_q8_1RKiEEEvS4_S4_PT_iii
                                        ; -- End function
	.set _ZL13mul_mat_vec_qIN3c104HalfELi256ELi32E10block_q6_KLi1EXadL_ZL17vec_dot_q6_K_q8_1PKvPK10block_q8_1RKiEEEvS4_S4_PT_iii.num_vgpr, 31
	.set _ZL13mul_mat_vec_qIN3c104HalfELi256ELi32E10block_q6_KLi1EXadL_ZL17vec_dot_q6_K_q8_1PKvPK10block_q8_1RKiEEEvS4_S4_PT_iii.num_agpr, 0
	.set _ZL13mul_mat_vec_qIN3c104HalfELi256ELi32E10block_q6_KLi1EXadL_ZL17vec_dot_q6_K_q8_1PKvPK10block_q8_1RKiEEEvS4_S4_PT_iii.numbered_sgpr, 16
	.set _ZL13mul_mat_vec_qIN3c104HalfELi256ELi32E10block_q6_KLi1EXadL_ZL17vec_dot_q6_K_q8_1PKvPK10block_q8_1RKiEEEvS4_S4_PT_iii.num_named_barrier, 0
	.set _ZL13mul_mat_vec_qIN3c104HalfELi256ELi32E10block_q6_KLi1EXadL_ZL17vec_dot_q6_K_q8_1PKvPK10block_q8_1RKiEEEvS4_S4_PT_iii.private_seg_size, 0
	.set _ZL13mul_mat_vec_qIN3c104HalfELi256ELi32E10block_q6_KLi1EXadL_ZL17vec_dot_q6_K_q8_1PKvPK10block_q8_1RKiEEEvS4_S4_PT_iii.uses_vcc, 1
	.set _ZL13mul_mat_vec_qIN3c104HalfELi256ELi32E10block_q6_KLi1EXadL_ZL17vec_dot_q6_K_q8_1PKvPK10block_q8_1RKiEEEvS4_S4_PT_iii.uses_flat_scratch, 0
	.set _ZL13mul_mat_vec_qIN3c104HalfELi256ELi32E10block_q6_KLi1EXadL_ZL17vec_dot_q6_K_q8_1PKvPK10block_q8_1RKiEEEvS4_S4_PT_iii.has_dyn_sized_stack, 0
	.set _ZL13mul_mat_vec_qIN3c104HalfELi256ELi32E10block_q6_KLi1EXadL_ZL17vec_dot_q6_K_q8_1PKvPK10block_q8_1RKiEEEvS4_S4_PT_iii.has_recursion, 0
	.set _ZL13mul_mat_vec_qIN3c104HalfELi256ELi32E10block_q6_KLi1EXadL_ZL17vec_dot_q6_K_q8_1PKvPK10block_q8_1RKiEEEvS4_S4_PT_iii.has_indirect_call, 0
	.section	.AMDGPU.csdata,"",@progbits
; Kernel info:
; codeLenInByte = 1068
; TotalNumSgprs: 20
; NumVgprs: 31
; ScratchSize: 0
; MemoryBound: 0
; FloatMode: 240
; IeeeMode: 1
; LDSByteSize: 0 bytes/workgroup (compile time only)
; SGPRBlocks: 2
; VGPRBlocks: 7
; NumSGPRsForWavesPerEU: 20
; NumVGPRsForWavesPerEU: 31
; Occupancy: 8
; WaveLimiterHint : 0
; COMPUTE_PGM_RSRC2:SCRATCH_EN: 0
; COMPUTE_PGM_RSRC2:USER_SGPR: 6
; COMPUTE_PGM_RSRC2:TRAP_HANDLER: 0
; COMPUTE_PGM_RSRC2:TGID_X_EN: 1
; COMPUTE_PGM_RSRC2:TGID_Y_EN: 1
; COMPUTE_PGM_RSRC2:TGID_Z_EN: 0
; COMPUTE_PGM_RSRC2:TIDIG_COMP_CNT: 1
	.section	.text._ZL13mul_mat_vec_qIN3c104HalfELi256ELi8E13block_iq2_xxsLi1EXadL_ZL20vec_dot_iq2_xxs_q8_1PKvPK10block_q8_1RKiEEEvS4_S4_PT_iii,"axG",@progbits,_ZL13mul_mat_vec_qIN3c104HalfELi256ELi8E13block_iq2_xxsLi1EXadL_ZL20vec_dot_iq2_xxs_q8_1PKvPK10block_q8_1RKiEEEvS4_S4_PT_iii,comdat
	.globl	_ZL13mul_mat_vec_qIN3c104HalfELi256ELi8E13block_iq2_xxsLi1EXadL_ZL20vec_dot_iq2_xxs_q8_1PKvPK10block_q8_1RKiEEEvS4_S4_PT_iii ; -- Begin function _ZL13mul_mat_vec_qIN3c104HalfELi256ELi8E13block_iq2_xxsLi1EXadL_ZL20vec_dot_iq2_xxs_q8_1PKvPK10block_q8_1RKiEEEvS4_S4_PT_iii
	.p2align	8
	.type	_ZL13mul_mat_vec_qIN3c104HalfELi256ELi8E13block_iq2_xxsLi1EXadL_ZL20vec_dot_iq2_xxs_q8_1PKvPK10block_q8_1RKiEEEvS4_S4_PT_iii,@function
_ZL13mul_mat_vec_qIN3c104HalfELi256ELi8E13block_iq2_xxsLi1EXadL_ZL20vec_dot_iq2_xxs_q8_1PKvPK10block_q8_1RKiEEEvS4_S4_PT_iii: ; @_ZL13mul_mat_vec_qIN3c104HalfELi256ELi8E13block_iq2_xxsLi1EXadL_ZL20vec_dot_iq2_xxs_q8_1PKvPK10block_q8_1RKiEEEvS4_S4_PT_iii
; %bb.0:
	s_load_dword s8, s[4:5], 0x34
	s_load_dwordx4 s[0:3], s[4:5], 0x18
	s_waitcnt lgkmcnt(0)
	s_lshr_b32 s3, s8, 16
	s_mul_i32 s6, s6, s3
	v_add_u32_e32 v9, s6, v1
	s_cmp_lt_u32 s7, s2
	v_cmp_gt_u32_e32 vcc, s1, v9
	s_cselect_b64 s[2:3], -1, 0
	s_and_b64 s[2:3], s[2:3], vcc
	s_and_saveexec_b64 s[8:9], s[2:3]
	s_cbranch_execz .LBB88_7
; %bb.1:
	s_load_dwordx2 s[2:3], s[4:5], 0x10
	s_ashr_i32 s6, s0, 31
	s_lshr_b32 s6, s6, 24
	s_add_i32 s6, s0, s6
	s_ashr_i32 s6, s6, 8
	v_lshrrev_b32_e32 v11, 3, v0
	v_cmp_gt_u32_e32 vcc, s6, v11
	v_mov_b32_e32 v10, 0
	s_and_saveexec_b64 s[8:9], vcc
	s_cbranch_execz .LBB88_5
; %bb.2:
	s_load_dwordx4 s[12:15], s[4:5], 0x0
	s_addk_i32 s0, 0x1ff
	s_ashr_i32 s4, s0, 31
	s_lshr_b32 s4, s4, 23
	s_add_i32 s0, s0, s4
	v_and_b32_e32 v1, 7, v0
	s_ashr_i32 s0, s0, 9
	v_mul_lo_u32 v12, v9, s6
	v_lshlrev_b32_e32 v5, 2, v1
	s_waitcnt lgkmcnt(0)
	v_mad_u64_u32 v[1:2], s[4:5], v1, 36, s[14:15]
	s_mul_i32 s0, s7, s0
	v_lshlrev_b32_e32 v3, 3, v11
	v_lshl_add_u32 v13, s0, 4, v3
	v_mov_b32_e32 v3, s12
	v_mov_b32_e32 v10, 0
	s_mov_b64 s[4:5], 0
	s_movk_i32 s0, 0x42
	v_mov_b32_e32 v4, s13
	v_lshlrev_b32_e32 v14, 1, v5
	v_mov_b32_e32 v15, 3
.LBB88_3:                               ; =>This Inner Loop Header: Depth=1
	v_add_u32_e32 v5, v12, v11
	v_mad_i64_i32 v[7:8], s[10:11], v5, s0, v[3:4]
	v_mad_i64_i32 v[5:6], s[10:11], v13, 36, v[1:2]
	v_add_co_u32_e32 v18, vcc, v7, v14
	v_addc_co_u32_e32 v19, vcc, 0, v8, vcc
	global_load_dword v17, v[18:19], off offset:6
	global_load_dword v16, v[18:19], off offset:2
	s_getpc_b64 s[10:11]
	s_add_u32 s10, s10, _ZL11iq2xxs_grid@rel32@lo+4
	s_addc_u32 s11, s11, _ZL11iq2xxs_grid@rel32@hi+12
	s_getpc_b64 s[12:13]
	s_add_u32 s12, s12, _ZL12ksigns_iq2xs@rel32@lo+4
	s_addc_u32 s13, s13, _ZL12ksigns_iq2xs@rel32@hi+12
	v_add_u32_e32 v11, 8, v11
	v_add_u32_e32 v13, 64, v13
	s_waitcnt vmcnt(1)
	v_and_b32_e32 v25, 0x7f, v17
	s_waitcnt vmcnt(0)
	v_lshlrev_b32_sdwa v24, v15, v16 dst_sel:DWORD dst_unused:UNUSED_PAD src0_sel:DWORD src1_sel:BYTE_0
	global_load_sbyte v26, v25, s[12:13]
	global_load_dwordx4 v[18:21], v[5:6], off offset:4
	global_load_dwordx2 v[22:23], v24, s[10:11]
	s_waitcnt vmcnt(2)
	v_and_b32_e32 v27, 1, v26
	v_cmp_eq_u16_e32 vcc, 0, v27
	s_waitcnt vmcnt(0)
	v_mul_i32_i24_sdwa v24, v22, sext(v18) dst_sel:DWORD dst_unused:UNUSED_PAD src0_sel:BYTE_0 src1_sel:BYTE_0
	v_sub_u32_e32 v27, 0, v24
	v_cndmask_b32_e32 v24, v27, v24, vcc
	v_mul_i32_i24_sdwa v27, v22, sext(v18) dst_sel:DWORD dst_unused:UNUSED_PAD src0_sel:BYTE_1 src1_sel:BYTE_1
	v_and_b32_e32 v28, 2, v26
	v_cmp_eq_u16_e32 vcc, 0, v28
	v_sub_u32_e32 v28, 0, v27
	v_cndmask_b32_e32 v27, v28, v27, vcc
	v_add_u32_e32 v24, v27, v24
	v_mul_i32_i24_sdwa v27, v22, sext(v18) dst_sel:DWORD dst_unused:UNUSED_PAD src0_sel:BYTE_2 src1_sel:BYTE_2
	v_and_b32_e32 v28, 4, v26
	v_cmp_eq_u16_e32 vcc, 0, v28
	v_sub_u32_e32 v28, 0, v27
	v_mul_i32_i24_sdwa v18, v22, sext(v18) dst_sel:DWORD dst_unused:UNUSED_PAD src0_sel:BYTE_3 src1_sel:BYTE_3
	v_and_b32_e32 v22, 8, v26
	v_cndmask_b32_e32 v27, v28, v27, vcc
	v_cmp_eq_u16_e32 vcc, 0, v22
	v_sub_u32_e32 v22, 0, v18
	v_cndmask_b32_e32 v18, v22, v18, vcc
	v_add3_u32 v18, v24, v27, v18
	v_mul_i32_i24_sdwa v22, v23, sext(v19) dst_sel:DWORD dst_unused:UNUSED_PAD src0_sel:BYTE_0 src1_sel:BYTE_0
	v_and_b32_e32 v24, 16, v26
	v_cmp_eq_u16_e32 vcc, 0, v24
	v_sub_u32_e32 v24, 0, v22
	v_cndmask_b32_e32 v22, v24, v22, vcc
	v_mul_i32_i24_sdwa v24, v23, sext(v19) dst_sel:DWORD dst_unused:UNUSED_PAD src0_sel:BYTE_1 src1_sel:BYTE_1
	v_and_b32_e32 v27, 32, v26
	v_cmp_eq_u16_e32 vcc, 0, v27
	v_sub_u32_e32 v27, 0, v24
	v_cndmask_b32_e32 v24, v27, v24, vcc
	v_add3_u32 v18, v18, v22, v24
	v_mul_i32_i24_sdwa v22, v23, sext(v19) dst_sel:DWORD dst_unused:UNUSED_PAD src0_sel:BYTE_2 src1_sel:BYTE_2
	v_cmp_gt_u32_e32 vcc, 64, v25
	v_sub_u32_e32 v24, 0, v22
	v_mul_i32_i24_sdwa v19, v23, sext(v19) dst_sel:DWORD dst_unused:UNUSED_PAD src0_sel:BYTE_3 src1_sel:BYTE_3
	v_cndmask_b32_e32 v22, v24, v22, vcc
	v_sub_u32_e32 v23, 0, v19
	v_cmp_gt_i16_e32 vcc, 0, v26
	v_cndmask_b32_e32 v19, v19, v23, vcc
	v_bfe_u32 v24, v17, 7, 7
	v_add3_u32 v22, v18, v22, v19
	v_lshlrev_b32_sdwa v23, v15, v16 dst_sel:DWORD dst_unused:UNUSED_PAD src0_sel:DWORD src1_sel:BYTE_1
	global_load_sbyte v25, v24, s[12:13]
	global_load_dwordx2 v[18:19], v23, s[10:11]
	s_waitcnt vmcnt(1)
	v_and_b32_e32 v26, 1, v25
	s_waitcnt vmcnt(0)
	v_mul_i32_i24_sdwa v23, v18, sext(v20) dst_sel:DWORD dst_unused:UNUSED_PAD src0_sel:BYTE_0 src1_sel:BYTE_0
	v_cmp_eq_u16_e32 vcc, 0, v26
	v_sub_u32_e32 v26, 0, v23
	v_cndmask_b32_e32 v23, v26, v23, vcc
	v_mul_i32_i24_sdwa v26, v18, sext(v20) dst_sel:DWORD dst_unused:UNUSED_PAD src0_sel:BYTE_1 src1_sel:BYTE_1
	v_and_b32_e32 v27, 2, v25
	v_cmp_eq_u16_e32 vcc, 0, v27
	v_sub_u32_e32 v27, 0, v26
	v_cndmask_b32_e32 v26, v27, v26, vcc
	v_add3_u32 v22, v22, v23, v26
	v_mul_i32_i24_sdwa v23, v18, sext(v20) dst_sel:DWORD dst_unused:UNUSED_PAD src0_sel:BYTE_2 src1_sel:BYTE_2
	v_and_b32_e32 v26, 4, v25
	v_cmp_eq_u16_e32 vcc, 0, v26
	v_sub_u32_e32 v26, 0, v23
	v_mul_i32_i24_sdwa v18, v18, sext(v20) dst_sel:DWORD dst_unused:UNUSED_PAD src0_sel:BYTE_3 src1_sel:BYTE_3
	v_and_b32_e32 v20, 8, v25
	v_cndmask_b32_e32 v23, v26, v23, vcc
	v_cmp_eq_u16_e32 vcc, 0, v20
	v_sub_u32_e32 v20, 0, v18
	v_cndmask_b32_e32 v18, v20, v18, vcc
	v_add3_u32 v18, v22, v23, v18
	v_mul_i32_i24_sdwa v20, v19, sext(v21) dst_sel:DWORD dst_unused:UNUSED_PAD src0_sel:BYTE_0 src1_sel:BYTE_0
	v_and_b32_e32 v22, 16, v25
	v_cmp_eq_u16_e32 vcc, 0, v22
	v_sub_u32_e32 v22, 0, v20
	v_cndmask_b32_e32 v20, v22, v20, vcc
	v_mul_i32_i24_sdwa v22, v19, sext(v21) dst_sel:DWORD dst_unused:UNUSED_PAD src0_sel:BYTE_1 src1_sel:BYTE_1
	v_and_b32_e32 v23, 32, v25
	v_cmp_eq_u16_e32 vcc, 0, v23
	v_sub_u32_e32 v23, 0, v22
	v_cndmask_b32_e32 v22, v23, v22, vcc
	v_add3_u32 v18, v18, v20, v22
	v_mul_i32_i24_sdwa v20, v19, sext(v21) dst_sel:DWORD dst_unused:UNUSED_PAD src0_sel:BYTE_2 src1_sel:BYTE_2
	v_cmp_gt_u32_e32 vcc, 64, v24
	v_sub_u32_e32 v22, 0, v20
	v_mul_i32_i24_sdwa v19, v19, sext(v21) dst_sel:DWORD dst_unused:UNUSED_PAD src0_sel:BYTE_3 src1_sel:BYTE_3
	v_cndmask_b32_e32 v20, v22, v20, vcc
	v_sub_u32_e32 v21, 0, v19
	v_cmp_gt_i16_e32 vcc, 0, v25
	v_cndmask_b32_e32 v19, v19, v21, vcc
	v_bfe_u32 v26, v17, 14, 7
	v_add3_u32 v24, v18, v20, v19
	v_lshlrev_b32_sdwa v25, v15, v16 dst_sel:DWORD dst_unused:UNUSED_PAD src0_sel:DWORD src1_sel:BYTE_2
	global_load_sbyte v27, v26, s[12:13]
	global_load_dwordx4 v[18:21], v[5:6], off offset:20
	global_load_dwordx2 v[22:23], v25, s[10:11]
	v_lshlrev_b32_sdwa v16, v15, v16 dst_sel:DWORD dst_unused:UNUSED_PAD src0_sel:DWORD src1_sel:BYTE_3
	s_waitcnt vmcnt(2)
	v_and_b32_e32 v28, 1, v27
	v_cmp_eq_u16_e32 vcc, 0, v28
	s_waitcnt vmcnt(0)
	v_mul_i32_i24_sdwa v25, v22, sext(v18) dst_sel:DWORD dst_unused:UNUSED_PAD src0_sel:BYTE_0 src1_sel:BYTE_0
	v_sub_u32_e32 v28, 0, v25
	v_cndmask_b32_e32 v25, v28, v25, vcc
	v_mul_i32_i24_sdwa v28, v22, sext(v18) dst_sel:DWORD dst_unused:UNUSED_PAD src0_sel:BYTE_1 src1_sel:BYTE_1
	v_and_b32_e32 v29, 2, v27
	v_cmp_eq_u16_e32 vcc, 0, v29
	v_sub_u32_e32 v29, 0, v28
	v_cndmask_b32_e32 v28, v29, v28, vcc
	v_add3_u32 v24, v24, v25, v28
	v_mul_i32_i24_sdwa v25, v22, sext(v18) dst_sel:DWORD dst_unused:UNUSED_PAD src0_sel:BYTE_2 src1_sel:BYTE_2
	v_and_b32_e32 v28, 4, v27
	v_cmp_eq_u16_e32 vcc, 0, v28
	v_sub_u32_e32 v28, 0, v25
	v_mul_i32_i24_sdwa v18, v22, sext(v18) dst_sel:DWORD dst_unused:UNUSED_PAD src0_sel:BYTE_3 src1_sel:BYTE_3
	v_and_b32_e32 v22, 8, v27
	v_cndmask_b32_e32 v25, v28, v25, vcc
	v_cmp_eq_u16_e32 vcc, 0, v22
	v_sub_u32_e32 v22, 0, v18
	v_cndmask_b32_e32 v18, v22, v18, vcc
	v_add3_u32 v18, v24, v25, v18
	v_mul_i32_i24_sdwa v22, v23, sext(v19) dst_sel:DWORD dst_unused:UNUSED_PAD src0_sel:BYTE_0 src1_sel:BYTE_0
	v_and_b32_e32 v24, 16, v27
	v_cmp_eq_u16_e32 vcc, 0, v24
	v_sub_u32_e32 v24, 0, v22
	v_cndmask_b32_e32 v22, v24, v22, vcc
	v_mul_i32_i24_sdwa v24, v23, sext(v19) dst_sel:DWORD dst_unused:UNUSED_PAD src0_sel:BYTE_1 src1_sel:BYTE_1
	v_and_b32_e32 v25, 32, v27
	v_cmp_eq_u16_e32 vcc, 0, v25
	v_sub_u32_e32 v25, 0, v24
	v_cndmask_b32_e32 v24, v25, v24, vcc
	v_add3_u32 v18, v18, v22, v24
	v_mul_i32_i24_sdwa v22, v23, sext(v19) dst_sel:DWORD dst_unused:UNUSED_PAD src0_sel:BYTE_2 src1_sel:BYTE_2
	v_cmp_gt_u32_e32 vcc, 64, v26
	v_sub_u32_e32 v24, 0, v22
	v_mul_i32_i24_sdwa v19, v23, sext(v19) dst_sel:DWORD dst_unused:UNUSED_PAD src0_sel:BYTE_3 src1_sel:BYTE_3
	v_cndmask_b32_e32 v22, v24, v22, vcc
	v_sub_u32_e32 v23, 0, v19
	v_cmp_gt_i16_e32 vcc, 0, v27
	v_cndmask_b32_e32 v19, v19, v23, vcc
	v_bfe_u32 v23, v17, 21, 7
	v_add3_u32 v22, v18, v22, v19
	global_load_sbyte v24, v23, s[12:13]
	global_load_dwordx2 v[18:19], v16, s[10:11]
	v_lshrrev_b32_e32 v17, 28, v17
	global_load_ushort v7, v[7:8], off
	v_cvt_f32_ubyte0_e32 v8, v17
	global_load_ushort v5, v[5:6], off
	v_add_f32_e32 v8, 0.5, v8
	s_waitcnt vmcnt(3)
	v_and_b32_e32 v25, 1, v24
	s_waitcnt vmcnt(2)
	v_mul_i32_i24_sdwa v16, v18, sext(v20) dst_sel:DWORD dst_unused:UNUSED_PAD src0_sel:BYTE_0 src1_sel:BYTE_0
	v_cmp_eq_u16_e32 vcc, 0, v25
	v_sub_u32_e32 v25, 0, v16
	v_cndmask_b32_e32 v16, v25, v16, vcc
	v_mul_i32_i24_sdwa v25, v18, sext(v20) dst_sel:DWORD dst_unused:UNUSED_PAD src0_sel:BYTE_1 src1_sel:BYTE_1
	v_and_b32_e32 v26, 2, v24
	v_cmp_eq_u16_e32 vcc, 0, v26
	v_sub_u32_e32 v26, 0, v25
	v_cndmask_b32_e32 v25, v26, v25, vcc
	v_add3_u32 v16, v22, v16, v25
	v_mul_i32_i24_sdwa v22, v18, sext(v20) dst_sel:DWORD dst_unused:UNUSED_PAD src0_sel:BYTE_2 src1_sel:BYTE_2
	v_and_b32_e32 v25, 4, v24
	v_cmp_eq_u16_e32 vcc, 0, v25
	v_sub_u32_e32 v25, 0, v22
	v_mul_i32_i24_sdwa v18, v18, sext(v20) dst_sel:DWORD dst_unused:UNUSED_PAD src0_sel:BYTE_3 src1_sel:BYTE_3
	v_and_b32_e32 v20, 8, v24
	v_cndmask_b32_e32 v22, v25, v22, vcc
	v_cmp_eq_u16_e32 vcc, 0, v20
	v_sub_u32_e32 v20, 0, v18
	v_cndmask_b32_e32 v18, v20, v18, vcc
	v_add3_u32 v16, v16, v22, v18
	v_mul_i32_i24_sdwa v18, v19, sext(v21) dst_sel:DWORD dst_unused:UNUSED_PAD src0_sel:BYTE_0 src1_sel:BYTE_0
	v_and_b32_e32 v20, 16, v24
	v_cmp_eq_u16_e32 vcc, 0, v20
	v_sub_u32_e32 v20, 0, v18
	v_cndmask_b32_e32 v18, v20, v18, vcc
	v_mul_i32_i24_sdwa v20, v19, sext(v21) dst_sel:DWORD dst_unused:UNUSED_PAD src0_sel:BYTE_1 src1_sel:BYTE_1
	v_and_b32_e32 v22, 32, v24
	v_cmp_eq_u16_e32 vcc, 0, v22
	v_sub_u32_e32 v22, 0, v20
	v_cndmask_b32_e32 v20, v22, v20, vcc
	v_add3_u32 v16, v16, v18, v20
	v_mul_i32_i24_sdwa v18, v19, sext(v21) dst_sel:DWORD dst_unused:UNUSED_PAD src0_sel:BYTE_2 src1_sel:BYTE_2
	v_cmp_gt_u32_e32 vcc, 64, v23
	v_sub_u32_e32 v20, 0, v18
	v_mul_i32_i24_sdwa v19, v19, sext(v21) dst_sel:DWORD dst_unused:UNUSED_PAD src0_sel:BYTE_3 src1_sel:BYTE_3
	v_cndmask_b32_e32 v18, v20, v18, vcc
	v_sub_u32_e32 v20, 0, v19
	v_cmp_gt_i16_e32 vcc, 0, v24
	s_waitcnt vmcnt(1)
	v_cvt_f32_f16_e32 v7, v7
	v_cndmask_b32_e32 v19, v19, v20, vcc
	s_waitcnt vmcnt(0)
	v_cvt_f32_f16_e32 v5, v5
	v_add3_u32 v16, v16, v18, v19
	v_cvt_f32_i32_e32 v6, v16
	v_mul_f32_e32 v7, v8, v7
	v_mul_f32_e32 v5, v7, v5
	;; [unrolled: 1-line block ×3, first 2 shown]
	v_cmp_le_u32_e32 vcc, s6, v11
	v_fmac_f32_e32 v10, v5, v6
	s_or_b64 s[4:5], vcc, s[4:5]
	s_andn2_b64 exec, exec, s[4:5]
	s_cbranch_execnz .LBB88_3
; %bb.4:
	s_or_b64 exec, exec, s[4:5]
.LBB88_5:
	s_or_b64 exec, exec, s[8:9]
	v_mbcnt_lo_u32_b32 v1, -1, 0
	v_mbcnt_hi_u32_b32 v2, -1, v1
	v_and_b32_e32 v1, 64, v2
	v_add_u32_e32 v3, 64, v1
	v_xor_b32_e32 v1, 32, v2
	v_cmp_lt_i32_e32 vcc, v1, v3
	v_cndmask_b32_e32 v1, v2, v1, vcc
	v_lshlrev_b32_e32 v1, 2, v1
	ds_bpermute_b32 v1, v1, v10
	v_xor_b32_e32 v4, 16, v2
	v_cmp_lt_i32_e32 vcc, v4, v3
	v_cndmask_b32_e32 v4, v2, v4, vcc
	v_lshlrev_b32_e32 v4, 2, v4
	s_waitcnt lgkmcnt(0)
	v_add_f32_e32 v1, v10, v1
	ds_bpermute_b32 v4, v4, v1
	v_xor_b32_e32 v5, 8, v2
	v_cmp_lt_i32_e32 vcc, v5, v3
	s_waitcnt lgkmcnt(0)
	v_add_f32_e32 v1, v1, v4
	v_cndmask_b32_e32 v4, v2, v5, vcc
	v_lshlrev_b32_e32 v4, 2, v4
	ds_bpermute_b32 v4, v4, v1
	v_xor_b32_e32 v5, 4, v2
	v_cmp_lt_i32_e32 vcc, v5, v3
	s_waitcnt lgkmcnt(0)
	v_add_f32_e32 v1, v1, v4
	v_cndmask_b32_e32 v4, v2, v5, vcc
	v_lshlrev_b32_e32 v4, 2, v4
	;; [unrolled: 7-line block ×3, first 2 shown]
	ds_bpermute_b32 v4, v4, v1
	v_xor_b32_e32 v5, 1, v2
	v_cmp_lt_i32_e32 vcc, v5, v3
	v_cndmask_b32_e32 v2, v2, v5, vcc
	v_lshlrev_b32_e32 v2, 2, v2
	s_waitcnt lgkmcnt(0)
	v_add_f32_e32 v1, v1, v4
	ds_bpermute_b32 v2, v2, v1
	v_cmp_eq_u32_e32 vcc, 0, v0
	s_and_b64 exec, exec, vcc
	s_cbranch_execz .LBB88_7
; %bb.6:
	s_waitcnt lgkmcnt(0)
	v_add_f32_e32 v0, v1, v2
	s_mul_i32 s0, s1, s7
	v_cvt_f16_f32_e32 v2, v0
	v_add_u32_e32 v0, s0, v9
	v_mov_b32_e32 v1, 0
	v_lshlrev_b64 v[0:1], 1, v[0:1]
	v_mov_b32_e32 v3, s3
	v_add_co_u32_e32 v0, vcc, s2, v0
	v_addc_co_u32_e32 v1, vcc, v3, v1, vcc
	global_store_short v[0:1], v2, off
.LBB88_7:
	s_endpgm
	.section	.rodata,"a",@progbits
	.p2align	6, 0x0
	.amdhsa_kernel _ZL13mul_mat_vec_qIN3c104HalfELi256ELi8E13block_iq2_xxsLi1EXadL_ZL20vec_dot_iq2_xxs_q8_1PKvPK10block_q8_1RKiEEEvS4_S4_PT_iii
		.amdhsa_group_segment_fixed_size 0
		.amdhsa_private_segment_fixed_size 0
		.amdhsa_kernarg_size 296
		.amdhsa_user_sgpr_count 6
		.amdhsa_user_sgpr_private_segment_buffer 1
		.amdhsa_user_sgpr_dispatch_ptr 0
		.amdhsa_user_sgpr_queue_ptr 0
		.amdhsa_user_sgpr_kernarg_segment_ptr 1
		.amdhsa_user_sgpr_dispatch_id 0
		.amdhsa_user_sgpr_flat_scratch_init 0
		.amdhsa_user_sgpr_private_segment_size 0
		.amdhsa_uses_dynamic_stack 0
		.amdhsa_system_sgpr_private_segment_wavefront_offset 0
		.amdhsa_system_sgpr_workgroup_id_x 1
		.amdhsa_system_sgpr_workgroup_id_y 1
		.amdhsa_system_sgpr_workgroup_id_z 0
		.amdhsa_system_sgpr_workgroup_info 0
		.amdhsa_system_vgpr_workitem_id 1
		.amdhsa_next_free_vgpr 30
		.amdhsa_next_free_sgpr 16
		.amdhsa_reserve_vcc 1
		.amdhsa_reserve_flat_scratch 0
		.amdhsa_float_round_mode_32 0
		.amdhsa_float_round_mode_16_64 0
		.amdhsa_float_denorm_mode_32 3
		.amdhsa_float_denorm_mode_16_64 3
		.amdhsa_dx10_clamp 1
		.amdhsa_ieee_mode 1
		.amdhsa_fp16_overflow 0
		.amdhsa_exception_fp_ieee_invalid_op 0
		.amdhsa_exception_fp_denorm_src 0
		.amdhsa_exception_fp_ieee_div_zero 0
		.amdhsa_exception_fp_ieee_overflow 0
		.amdhsa_exception_fp_ieee_underflow 0
		.amdhsa_exception_fp_ieee_inexact 0
		.amdhsa_exception_int_div_zero 0
	.end_amdhsa_kernel
	.section	.text._ZL13mul_mat_vec_qIN3c104HalfELi256ELi8E13block_iq2_xxsLi1EXadL_ZL20vec_dot_iq2_xxs_q8_1PKvPK10block_q8_1RKiEEEvS4_S4_PT_iii,"axG",@progbits,_ZL13mul_mat_vec_qIN3c104HalfELi256ELi8E13block_iq2_xxsLi1EXadL_ZL20vec_dot_iq2_xxs_q8_1PKvPK10block_q8_1RKiEEEvS4_S4_PT_iii,comdat
.Lfunc_end88:
	.size	_ZL13mul_mat_vec_qIN3c104HalfELi256ELi8E13block_iq2_xxsLi1EXadL_ZL20vec_dot_iq2_xxs_q8_1PKvPK10block_q8_1RKiEEEvS4_S4_PT_iii, .Lfunc_end88-_ZL13mul_mat_vec_qIN3c104HalfELi256ELi8E13block_iq2_xxsLi1EXadL_ZL20vec_dot_iq2_xxs_q8_1PKvPK10block_q8_1RKiEEEvS4_S4_PT_iii
                                        ; -- End function
	.set _ZL13mul_mat_vec_qIN3c104HalfELi256ELi8E13block_iq2_xxsLi1EXadL_ZL20vec_dot_iq2_xxs_q8_1PKvPK10block_q8_1RKiEEEvS4_S4_PT_iii.num_vgpr, 30
	.set _ZL13mul_mat_vec_qIN3c104HalfELi256ELi8E13block_iq2_xxsLi1EXadL_ZL20vec_dot_iq2_xxs_q8_1PKvPK10block_q8_1RKiEEEvS4_S4_PT_iii.num_agpr, 0
	.set _ZL13mul_mat_vec_qIN3c104HalfELi256ELi8E13block_iq2_xxsLi1EXadL_ZL20vec_dot_iq2_xxs_q8_1PKvPK10block_q8_1RKiEEEvS4_S4_PT_iii.numbered_sgpr, 16
	.set _ZL13mul_mat_vec_qIN3c104HalfELi256ELi8E13block_iq2_xxsLi1EXadL_ZL20vec_dot_iq2_xxs_q8_1PKvPK10block_q8_1RKiEEEvS4_S4_PT_iii.num_named_barrier, 0
	.set _ZL13mul_mat_vec_qIN3c104HalfELi256ELi8E13block_iq2_xxsLi1EXadL_ZL20vec_dot_iq2_xxs_q8_1PKvPK10block_q8_1RKiEEEvS4_S4_PT_iii.private_seg_size, 0
	.set _ZL13mul_mat_vec_qIN3c104HalfELi256ELi8E13block_iq2_xxsLi1EXadL_ZL20vec_dot_iq2_xxs_q8_1PKvPK10block_q8_1RKiEEEvS4_S4_PT_iii.uses_vcc, 1
	.set _ZL13mul_mat_vec_qIN3c104HalfELi256ELi8E13block_iq2_xxsLi1EXadL_ZL20vec_dot_iq2_xxs_q8_1PKvPK10block_q8_1RKiEEEvS4_S4_PT_iii.uses_flat_scratch, 0
	.set _ZL13mul_mat_vec_qIN3c104HalfELi256ELi8E13block_iq2_xxsLi1EXadL_ZL20vec_dot_iq2_xxs_q8_1PKvPK10block_q8_1RKiEEEvS4_S4_PT_iii.has_dyn_sized_stack, 0
	.set _ZL13mul_mat_vec_qIN3c104HalfELi256ELi8E13block_iq2_xxsLi1EXadL_ZL20vec_dot_iq2_xxs_q8_1PKvPK10block_q8_1RKiEEEvS4_S4_PT_iii.has_recursion, 0
	.set _ZL13mul_mat_vec_qIN3c104HalfELi256ELi8E13block_iq2_xxsLi1EXadL_ZL20vec_dot_iq2_xxs_q8_1PKvPK10block_q8_1RKiEEEvS4_S4_PT_iii.has_indirect_call, 0
	.section	.AMDGPU.csdata,"",@progbits
; Kernel info:
; codeLenInByte = 1704
; TotalNumSgprs: 20
; NumVgprs: 30
; ScratchSize: 0
; MemoryBound: 0
; FloatMode: 240
; IeeeMode: 1
; LDSByteSize: 0 bytes/workgroup (compile time only)
; SGPRBlocks: 2
; VGPRBlocks: 7
; NumSGPRsForWavesPerEU: 20
; NumVGPRsForWavesPerEU: 30
; Occupancy: 8
; WaveLimiterHint : 0
; COMPUTE_PGM_RSRC2:SCRATCH_EN: 0
; COMPUTE_PGM_RSRC2:USER_SGPR: 6
; COMPUTE_PGM_RSRC2:TRAP_HANDLER: 0
; COMPUTE_PGM_RSRC2:TGID_X_EN: 1
; COMPUTE_PGM_RSRC2:TGID_Y_EN: 1
; COMPUTE_PGM_RSRC2:TGID_Z_EN: 0
; COMPUTE_PGM_RSRC2:TIDIG_COMP_CNT: 1
	.section	.text._ZL13mul_mat_vec_qIN3c104HalfELi256ELi8E12block_iq2_xsLi1EXadL_ZL19vec_dot_iq2_xs_q8_1PKvPK10block_q8_1RKiEEEvS4_S4_PT_iii,"axG",@progbits,_ZL13mul_mat_vec_qIN3c104HalfELi256ELi8E12block_iq2_xsLi1EXadL_ZL19vec_dot_iq2_xs_q8_1PKvPK10block_q8_1RKiEEEvS4_S4_PT_iii,comdat
	.globl	_ZL13mul_mat_vec_qIN3c104HalfELi256ELi8E12block_iq2_xsLi1EXadL_ZL19vec_dot_iq2_xs_q8_1PKvPK10block_q8_1RKiEEEvS4_S4_PT_iii ; -- Begin function _ZL13mul_mat_vec_qIN3c104HalfELi256ELi8E12block_iq2_xsLi1EXadL_ZL19vec_dot_iq2_xs_q8_1PKvPK10block_q8_1RKiEEEvS4_S4_PT_iii
	.p2align	8
	.type	_ZL13mul_mat_vec_qIN3c104HalfELi256ELi8E12block_iq2_xsLi1EXadL_ZL19vec_dot_iq2_xs_q8_1PKvPK10block_q8_1RKiEEEvS4_S4_PT_iii,@function
_ZL13mul_mat_vec_qIN3c104HalfELi256ELi8E12block_iq2_xsLi1EXadL_ZL19vec_dot_iq2_xs_q8_1PKvPK10block_q8_1RKiEEEvS4_S4_PT_iii: ; @_ZL13mul_mat_vec_qIN3c104HalfELi256ELi8E12block_iq2_xsLi1EXadL_ZL19vec_dot_iq2_xs_q8_1PKvPK10block_q8_1RKiEEEvS4_S4_PT_iii
; %bb.0:
	s_load_dword s8, s[4:5], 0x34
	s_load_dwordx4 s[0:3], s[4:5], 0x18
	s_waitcnt lgkmcnt(0)
	s_lshr_b32 s3, s8, 16
	s_mul_i32 s6, s6, s3
	v_add_u32_e32 v11, s6, v1
	s_cmp_lt_u32 s7, s2
	v_cmp_gt_u32_e32 vcc, s1, v11
	s_cselect_b64 s[2:3], -1, 0
	s_and_b64 s[2:3], s[2:3], vcc
	s_and_saveexec_b64 s[8:9], s[2:3]
	s_cbranch_execz .LBB89_7
; %bb.1:
	s_load_dwordx2 s[2:3], s[4:5], 0x10
	s_ashr_i32 s6, s0, 31
	s_lshr_b32 s6, s6, 24
	s_add_i32 s6, s0, s6
	s_ashr_i32 s6, s6, 8
	v_lshrrev_b32_e32 v12, 3, v0
	v_cmp_gt_u32_e32 vcc, s6, v12
	v_mov_b32_e32 v13, 0
	s_and_saveexec_b64 s[8:9], vcc
	s_cbranch_execz .LBB89_5
; %bb.2:
	s_load_dwordx4 s[12:15], s[4:5], 0x0
	s_addk_i32 s0, 0x1ff
	s_ashr_i32 s4, s0, 31
	s_lshr_b32 s4, s4, 23
	s_add_i32 s0, s0, s4
	v_and_b32_e32 v15, 7, v0
	s_ashr_i32 s0, s0, 9
	v_mul_lo_u32 v14, v11, s6
	s_waitcnt lgkmcnt(0)
	v_mad_u64_u32 v[1:2], s[4:5], v15, 36, s[14:15]
	s_mul_i32 s0, s7, s0
	v_lshlrev_b32_e32 v3, 3, v12
	v_lshlrev_b32_e32 v5, 2, v15
	v_lshl_add_u32 v17, s0, 4, v3
	v_mov_b32_e32 v3, s12
	v_mov_b32_e32 v16, 0
	s_mov_b64 s[4:5], 0
	s_movk_i32 s0, 0x4a
	v_mov_b32_e32 v4, s13
	v_lshlrev_b32_e32 v18, 1, v5
	v_mov_b32_e32 v13, 0
.LBB89_3:                               ; =>This Inner Loop Header: Depth=1
	v_add_u32_e32 v5, v14, v12
	v_mad_i64_i32 v[7:8], s[10:11], v5, s0, v[3:4]
	v_mad_i64_i32 v[5:6], s[10:11], v17, 36, v[1:2]
	v_add_co_u32_e32 v21, vcc, v7, v18
	v_addc_co_u32_e32 v22, vcc, 0, v8, vcc
	v_add_co_u32_e32 v23, vcc, v7, v15
	v_addc_co_u32_e32 v24, vcc, 0, v8, vcc
	global_load_ubyte v20, v[23:24], off offset:66
	global_load_dwordx2 v[9:10], v[21:22], off offset:2
	s_getpc_b64 s[10:11]
	s_add_u32 s10, s10, _ZL10iq2xs_grid@rel32@lo+4
	s_addc_u32 s11, s11, _ZL10iq2xs_grid@rel32@hi+12
	s_getpc_b64 s[12:13]
	s_add_u32 s12, s12, _ZL12ksigns_iq2xs@rel32@lo+4
	s_addc_u32 s13, s13, _ZL12ksigns_iq2xs@rel32@hi+12
	v_add_u32_e32 v12, 8, v12
	v_add_u32_e32 v17, 64, v17
	s_waitcnt vmcnt(0)
	v_and_b32_e32 v19, 0x1ff, v9
	v_bfe_u32 v27, v9, 9, 7
	v_lshlrev_b32_e32 v19, 3, v19
	global_load_sbyte v28, v27, s[12:13]
	global_load_dwordx4 v[21:24], v[5:6], off offset:4
	global_load_dwordx2 v[25:26], v19, s[10:11]
	s_waitcnt vmcnt(2)
	v_and_b32_e32 v27, 1, v28
	v_cmp_eq_u16_e32 vcc, 0, v27
	s_waitcnt vmcnt(0)
	v_mul_i32_i24_sdwa v19, v25, sext(v21) dst_sel:DWORD dst_unused:UNUSED_PAD src0_sel:BYTE_0 src1_sel:BYTE_0
	v_sub_u32_e32 v27, 0, v19
	v_cndmask_b32_e32 v19, v27, v19, vcc
	v_mul_i32_i24_sdwa v27, v25, sext(v21) dst_sel:DWORD dst_unused:UNUSED_PAD src0_sel:BYTE_1 src1_sel:BYTE_1
	v_and_b32_e32 v29, 2, v28
	v_cmp_eq_u16_e32 vcc, 0, v29
	v_sub_u32_e32 v29, 0, v27
	v_cndmask_b32_e32 v27, v29, v27, vcc
	v_add_u32_e32 v19, v27, v19
	v_mul_i32_i24_sdwa v27, v25, sext(v21) dst_sel:DWORD dst_unused:UNUSED_PAD src0_sel:BYTE_2 src1_sel:BYTE_2
	v_and_b32_e32 v29, 4, v28
	v_cmp_eq_u16_e32 vcc, 0, v29
	v_sub_u32_e32 v29, 0, v27
	v_mul_i32_i24_sdwa v21, v25, sext(v21) dst_sel:DWORD dst_unused:UNUSED_PAD src0_sel:BYTE_3 src1_sel:BYTE_3
	v_and_b32_e32 v25, 8, v28
	v_cndmask_b32_e32 v27, v29, v27, vcc
	v_cmp_eq_u16_e32 vcc, 0, v25
	v_sub_u32_e32 v25, 0, v21
	v_cndmask_b32_e32 v21, v25, v21, vcc
	v_add3_u32 v19, v19, v27, v21
	v_mul_i32_i24_sdwa v21, v26, sext(v22) dst_sel:DWORD dst_unused:UNUSED_PAD src0_sel:BYTE_0 src1_sel:BYTE_0
	v_and_b32_e32 v25, 16, v28
	v_cmp_eq_u16_e32 vcc, 0, v25
	v_sub_u32_e32 v25, 0, v21
	v_cndmask_b32_e32 v21, v25, v21, vcc
	v_mul_i32_i24_sdwa v25, v26, sext(v22) dst_sel:DWORD dst_unused:UNUSED_PAD src0_sel:BYTE_1 src1_sel:BYTE_1
	v_and_b32_e32 v27, 32, v28
	v_cmp_eq_u16_e32 vcc, 0, v27
	v_sub_u32_e32 v27, 0, v25
	v_cndmask_b32_e32 v25, v27, v25, vcc
	v_add3_u32 v19, v19, v21, v25
	v_mul_i32_i24_sdwa v21, v26, sext(v22) dst_sel:DWORD dst_unused:UNUSED_PAD src0_sel:BYTE_2 src1_sel:BYTE_2
	v_sub_u32_e32 v25, 0, v21
	v_cmp_gt_i16_e32 vcc, 0, v9
	v_mul_i32_i24_sdwa v22, v26, sext(v22) dst_sel:DWORD dst_unused:UNUSED_PAD src0_sel:BYTE_3 src1_sel:BYTE_3
	v_cndmask_b32_e32 v21, v21, v25, vcc
	v_sub_u32_e32 v25, 0, v22
	v_cmp_gt_i16_e32 vcc, 0, v28
	v_cndmask_b32_e32 v22, v22, v25, vcc
	v_add3_u32 v19, v19, v21, v22
	v_lshrrev_b32_e32 v21, 13, v9
	v_lshrrev_b32_e32 v22, 25, v9
	v_and_b32_e32 v21, 0xff8, v21
	global_load_sbyte v27, v22, s[12:13]
	global_load_dwordx2 v[25:26], v21, s[10:11]
	s_waitcnt vmcnt(1)
	v_and_b32_e32 v22, 1, v27
	s_waitcnt vmcnt(0)
	v_mul_i32_i24_sdwa v21, v25, sext(v23) dst_sel:DWORD dst_unused:UNUSED_PAD src0_sel:BYTE_0 src1_sel:BYTE_0
	v_cmp_eq_u16_e32 vcc, 0, v22
	v_sub_u32_e32 v22, 0, v21
	v_cndmask_b32_e32 v21, v22, v21, vcc
	v_mul_i32_i24_sdwa v22, v25, sext(v23) dst_sel:DWORD dst_unused:UNUSED_PAD src0_sel:BYTE_1 src1_sel:BYTE_1
	v_and_b32_e32 v28, 2, v27
	v_cmp_eq_u16_e32 vcc, 0, v28
	v_sub_u32_e32 v28, 0, v22
	v_cndmask_b32_e32 v28, v28, v22, vcc
	v_mul_i32_i24_sdwa v22, v25, sext(v23) dst_sel:DWORD dst_unused:UNUSED_PAD src0_sel:BYTE_2 src1_sel:BYTE_2
	v_and_b32_e32 v29, 4, v27
	v_cmp_eq_u16_e32 vcc, 0, v29
	v_sub_u32_e32 v29, 0, v22
	v_cndmask_b32_e32 v29, v29, v22, vcc
	v_mul_i32_i24_sdwa v22, v25, sext(v23) dst_sel:DWORD dst_unused:UNUSED_PAD src0_sel:BYTE_3 src1_sel:BYTE_3
	v_and_b32_e32 v23, 8, v27
	v_cmp_eq_u16_e32 vcc, 0, v23
	v_sub_u32_e32 v23, 0, v22
	v_cndmask_b32_e32 v30, v23, v22, vcc
	v_mul_i32_i24_sdwa v22, v26, sext(v24) dst_sel:DWORD dst_unused:UNUSED_PAD src0_sel:BYTE_0 src1_sel:BYTE_0
	v_and_b32_e32 v23, 16, v27
	v_cmp_eq_u16_e32 vcc, 0, v23
	v_sub_u32_e32 v23, 0, v22
	v_cndmask_b32_e32 v31, v23, v22, vcc
	v_mul_i32_i24_sdwa v22, v26, sext(v24) dst_sel:DWORD dst_unused:UNUSED_PAD src0_sel:BYTE_1 src1_sel:BYTE_1
	v_and_b32_e32 v23, 32, v27
	v_cmp_eq_u16_e32 vcc, 0, v23
	v_sub_u32_e32 v23, 0, v22
	v_cndmask_b32_e32 v32, v23, v22, vcc
	v_mul_i32_i24_sdwa v22, v26, sext(v24) dst_sel:DWORD dst_unused:UNUSED_PAD src0_sel:BYTE_2 src1_sel:BYTE_2
	v_sub_u32_e32 v23, 0, v22
	v_cmp_lt_i16_sdwa vcc, v9, v16 src0_sel:WORD_1 src1_sel:DWORD
	v_mul_i32_i24_sdwa v9, v26, sext(v24) dst_sel:DWORD dst_unused:UNUSED_PAD src0_sel:BYTE_3 src1_sel:BYTE_3
	v_cndmask_b32_e32 v33, v22, v23, vcc
	v_sub_u32_e32 v22, 0, v9
	v_cmp_gt_i16_e32 vcc, 0, v27
	v_cndmask_b32_e32 v34, v9, v22, vcc
	v_and_b32_e32 v9, 0x1ff, v10
	v_bfe_u32 v22, v10, 9, 7
	v_lshlrev_b32_e32 v9, 3, v9
	global_load_sbyte v35, v22, s[12:13]
	s_nop 0
	global_load_dwordx4 v[22:25], v[5:6], off offset:20
	global_load_dwordx2 v[26:27], v9, s[10:11]
	s_waitcnt vmcnt(2)
	v_and_b32_e32 v36, 1, v35
	v_cmp_eq_u16_e32 vcc, 0, v36
	s_waitcnt vmcnt(0)
	v_mul_i32_i24_sdwa v9, v26, sext(v22) dst_sel:DWORD dst_unused:UNUSED_PAD src0_sel:BYTE_0 src1_sel:BYTE_0
	v_sub_u32_e32 v36, 0, v9
	v_cndmask_b32_e32 v9, v36, v9, vcc
	v_mul_i32_i24_sdwa v36, v26, sext(v22) dst_sel:DWORD dst_unused:UNUSED_PAD src0_sel:BYTE_1 src1_sel:BYTE_1
	v_and_b32_e32 v37, 2, v35
	v_cmp_eq_u16_e32 vcc, 0, v37
	v_sub_u32_e32 v37, 0, v36
	v_cndmask_b32_e32 v36, v37, v36, vcc
	v_add_u32_e32 v9, v36, v9
	v_mul_i32_i24_sdwa v36, v26, sext(v22) dst_sel:DWORD dst_unused:UNUSED_PAD src0_sel:BYTE_2 src1_sel:BYTE_2
	v_and_b32_e32 v37, 4, v35
	v_cmp_eq_u16_e32 vcc, 0, v37
	v_sub_u32_e32 v37, 0, v36
	v_mul_i32_i24_sdwa v22, v26, sext(v22) dst_sel:DWORD dst_unused:UNUSED_PAD src0_sel:BYTE_3 src1_sel:BYTE_3
	v_and_b32_e32 v26, 8, v35
	v_cndmask_b32_e32 v36, v37, v36, vcc
	v_cmp_eq_u16_e32 vcc, 0, v26
	v_sub_u32_e32 v26, 0, v22
	v_cndmask_b32_e32 v22, v26, v22, vcc
	v_add3_u32 v9, v9, v36, v22
	v_mul_i32_i24_sdwa v22, v27, sext(v23) dst_sel:DWORD dst_unused:UNUSED_PAD src0_sel:BYTE_0 src1_sel:BYTE_0
	v_and_b32_e32 v26, 16, v35
	v_cmp_eq_u16_e32 vcc, 0, v26
	v_sub_u32_e32 v26, 0, v22
	v_cndmask_b32_e32 v22, v26, v22, vcc
	v_mul_i32_i24_sdwa v26, v27, sext(v23) dst_sel:DWORD dst_unused:UNUSED_PAD src0_sel:BYTE_1 src1_sel:BYTE_1
	v_and_b32_e32 v36, 32, v35
	v_cmp_eq_u16_e32 vcc, 0, v36
	v_sub_u32_e32 v36, 0, v26
	v_cndmask_b32_e32 v26, v36, v26, vcc
	v_add3_u32 v9, v9, v22, v26
	v_mul_i32_i24_sdwa v22, v27, sext(v23) dst_sel:DWORD dst_unused:UNUSED_PAD src0_sel:BYTE_2 src1_sel:BYTE_2
	v_sub_u32_e32 v26, 0, v22
	v_cmp_gt_i16_e32 vcc, 0, v10
	v_mul_i32_i24_sdwa v23, v27, sext(v23) dst_sel:DWORD dst_unused:UNUSED_PAD src0_sel:BYTE_3 src1_sel:BYTE_3
	v_cndmask_b32_e32 v22, v22, v26, vcc
	v_sub_u32_e32 v26, 0, v23
	v_cmp_gt_i16_e32 vcc, 0, v35
	v_cndmask_b32_e32 v23, v23, v26, vcc
	v_add3_u32 v9, v9, v22, v23
	v_lshrrev_b32_e32 v22, 13, v10
	v_and_b32_e32 v22, 0xff8, v22
	v_lshrrev_b32_e32 v23, 25, v10
	global_load_sbyte v26, v23, s[12:13]
	s_nop 0
	global_load_dwordx2 v[22:23], v22, s[10:11]
	s_waitcnt vmcnt(1)
	v_and_b32_e32 v35, 1, v26
	global_load_ushort v7, v[7:8], off
	s_waitcnt vmcnt(1)
	v_mul_i32_i24_sdwa v27, v22, sext(v24) dst_sel:DWORD dst_unused:UNUSED_PAD src0_sel:BYTE_0 src1_sel:BYTE_0
	global_load_ushort v5, v[5:6], off
	v_cmp_eq_u16_e32 vcc, 0, v35
	v_sub_u32_e32 v35, 0, v27
	v_cndmask_b32_e32 v27, v35, v27, vcc
	v_mul_i32_i24_sdwa v35, v22, sext(v24) dst_sel:DWORD dst_unused:UNUSED_PAD src0_sel:BYTE_1 src1_sel:BYTE_1
	v_and_b32_e32 v36, 2, v26
	v_cmp_eq_u16_e32 vcc, 0, v36
	v_sub_u32_e32 v36, 0, v35
	v_cndmask_b32_e32 v35, v36, v35, vcc
	v_add3_u32 v9, v9, v27, v35
	v_mul_i32_i24_sdwa v27, v22, sext(v24) dst_sel:DWORD dst_unused:UNUSED_PAD src0_sel:BYTE_2 src1_sel:BYTE_2
	v_and_b32_e32 v35, 4, v26
	v_cmp_eq_u16_e32 vcc, 0, v35
	v_sub_u32_e32 v35, 0, v27
	v_mul_i32_i24_sdwa v22, v22, sext(v24) dst_sel:DWORD dst_unused:UNUSED_PAD src0_sel:BYTE_3 src1_sel:BYTE_3
	v_and_b32_e32 v24, 8, v26
	v_cndmask_b32_e32 v27, v35, v27, vcc
	v_cmp_eq_u16_e32 vcc, 0, v24
	v_sub_u32_e32 v24, 0, v22
	v_cndmask_b32_e32 v22, v24, v22, vcc
	v_add3_u32 v9, v9, v27, v22
	v_mul_i32_i24_sdwa v22, v23, sext(v25) dst_sel:DWORD dst_unused:UNUSED_PAD src0_sel:BYTE_0 src1_sel:BYTE_0
	v_and_b32_e32 v24, 16, v26
	v_cmp_eq_u16_e32 vcc, 0, v24
	v_sub_u32_e32 v24, 0, v22
	v_cndmask_b32_e32 v22, v24, v22, vcc
	v_mul_i32_i24_sdwa v24, v23, sext(v25) dst_sel:DWORD dst_unused:UNUSED_PAD src0_sel:BYTE_1 src1_sel:BYTE_1
	v_and_b32_e32 v27, 32, v26
	v_cmp_eq_u16_e32 vcc, 0, v27
	v_sub_u32_e32 v27, 0, v24
	v_cndmask_b32_e32 v24, v27, v24, vcc
	v_add3_u32 v9, v9, v22, v24
	v_mul_i32_i24_sdwa v22, v23, sext(v25) dst_sel:DWORD dst_unused:UNUSED_PAD src0_sel:BYTE_2 src1_sel:BYTE_2
	v_sub_u32_e32 v24, 0, v22
	v_cmp_lt_i16_sdwa vcc, v10, v16 src0_sel:WORD_1 src1_sel:DWORD
	v_cndmask_b32_e32 v10, v22, v24, vcc
	v_mul_i32_i24_sdwa v22, v23, sext(v25) dst_sel:DWORD dst_unused:UNUSED_PAD src0_sel:BYTE_3 src1_sel:BYTE_3
	v_sub_u32_e32 v23, 0, v22
	v_cmp_gt_i16_e32 vcc, 0, v26
	v_cndmask_b32_e32 v22, v22, v23, vcc
	v_add3_u32 v9, v9, v10, v22
	v_add3_u32 v10, v19, v21, v28
	;; [unrolled: 1-line block ×5, first 2 shown]
	v_cvt_f32_i32_e32 v9, v9
	v_lshrrev_b16_e32 v19, 4, v20
	v_and_b32_e32 v20, 15, v20
	v_cvt_f32_ubyte0_e32 v8, v19
	v_cvt_f32_ubyte0_e32 v6, v20
	v_add_f32_e32 v8, 0.5, v8
	v_add_f32_e32 v6, 0.5, v6
	v_mul_f32_e32 v8, v8, v9
	v_cmp_le_u32_e32 vcc, s6, v12
	s_or_b64 s[4:5], vcc, s[4:5]
	s_waitcnt vmcnt(1)
	v_cvt_f32_f16_e32 v7, v7
	s_waitcnt vmcnt(0)
	v_cvt_f32_f16_e32 v5, v5
	v_mul_f32_e32 v5, v7, v5
	v_cvt_f32_i32_e32 v7, v10
	v_mul_f32_e32 v5, 0x3e800000, v5
	v_fmac_f32_e32 v8, v6, v7
	v_fmac_f32_e32 v13, v5, v8
	s_andn2_b64 exec, exec, s[4:5]
	s_cbranch_execnz .LBB89_3
; %bb.4:
	s_or_b64 exec, exec, s[4:5]
.LBB89_5:
	s_or_b64 exec, exec, s[8:9]
	v_mbcnt_lo_u32_b32 v1, -1, 0
	v_mbcnt_hi_u32_b32 v2, -1, v1
	v_and_b32_e32 v1, 64, v2
	v_add_u32_e32 v3, 64, v1
	v_xor_b32_e32 v1, 32, v2
	v_cmp_lt_i32_e32 vcc, v1, v3
	v_cndmask_b32_e32 v1, v2, v1, vcc
	v_lshlrev_b32_e32 v1, 2, v1
	ds_bpermute_b32 v1, v1, v13
	v_xor_b32_e32 v4, 16, v2
	v_cmp_lt_i32_e32 vcc, v4, v3
	v_cndmask_b32_e32 v4, v2, v4, vcc
	v_lshlrev_b32_e32 v4, 2, v4
	s_waitcnt lgkmcnt(0)
	v_add_f32_e32 v1, v13, v1
	ds_bpermute_b32 v4, v4, v1
	v_xor_b32_e32 v5, 8, v2
	v_cmp_lt_i32_e32 vcc, v5, v3
	s_waitcnt lgkmcnt(0)
	v_add_f32_e32 v1, v1, v4
	v_cndmask_b32_e32 v4, v2, v5, vcc
	v_lshlrev_b32_e32 v4, 2, v4
	ds_bpermute_b32 v4, v4, v1
	v_xor_b32_e32 v5, 4, v2
	v_cmp_lt_i32_e32 vcc, v5, v3
	s_waitcnt lgkmcnt(0)
	v_add_f32_e32 v1, v1, v4
	v_cndmask_b32_e32 v4, v2, v5, vcc
	v_lshlrev_b32_e32 v4, 2, v4
	;; [unrolled: 7-line block ×3, first 2 shown]
	ds_bpermute_b32 v4, v4, v1
	v_xor_b32_e32 v5, 1, v2
	v_cmp_lt_i32_e32 vcc, v5, v3
	v_cndmask_b32_e32 v2, v2, v5, vcc
	v_lshlrev_b32_e32 v2, 2, v2
	s_waitcnt lgkmcnt(0)
	v_add_f32_e32 v1, v1, v4
	ds_bpermute_b32 v2, v2, v1
	v_cmp_eq_u32_e32 vcc, 0, v0
	s_and_b64 exec, exec, vcc
	s_cbranch_execz .LBB89_7
; %bb.6:
	s_waitcnt lgkmcnt(0)
	v_add_f32_e32 v0, v1, v2
	s_mul_i32 s0, s1, s7
	v_cvt_f16_f32_e32 v2, v0
	v_add_u32_e32 v0, s0, v11
	v_mov_b32_e32 v1, 0
	v_lshlrev_b64 v[0:1], 1, v[0:1]
	v_mov_b32_e32 v3, s3
	v_add_co_u32_e32 v0, vcc, s2, v0
	v_addc_co_u32_e32 v1, vcc, v3, v1, vcc
	global_store_short v[0:1], v2, off
.LBB89_7:
	s_endpgm
	.section	.rodata,"a",@progbits
	.p2align	6, 0x0
	.amdhsa_kernel _ZL13mul_mat_vec_qIN3c104HalfELi256ELi8E12block_iq2_xsLi1EXadL_ZL19vec_dot_iq2_xs_q8_1PKvPK10block_q8_1RKiEEEvS4_S4_PT_iii
		.amdhsa_group_segment_fixed_size 0
		.amdhsa_private_segment_fixed_size 0
		.amdhsa_kernarg_size 296
		.amdhsa_user_sgpr_count 6
		.amdhsa_user_sgpr_private_segment_buffer 1
		.amdhsa_user_sgpr_dispatch_ptr 0
		.amdhsa_user_sgpr_queue_ptr 0
		.amdhsa_user_sgpr_kernarg_segment_ptr 1
		.amdhsa_user_sgpr_dispatch_id 0
		.amdhsa_user_sgpr_flat_scratch_init 0
		.amdhsa_user_sgpr_private_segment_size 0
		.amdhsa_uses_dynamic_stack 0
		.amdhsa_system_sgpr_private_segment_wavefront_offset 0
		.amdhsa_system_sgpr_workgroup_id_x 1
		.amdhsa_system_sgpr_workgroup_id_y 1
		.amdhsa_system_sgpr_workgroup_id_z 0
		.amdhsa_system_sgpr_workgroup_info 0
		.amdhsa_system_vgpr_workitem_id 1
		.amdhsa_next_free_vgpr 38
		.amdhsa_next_free_sgpr 16
		.amdhsa_reserve_vcc 1
		.amdhsa_reserve_flat_scratch 0
		.amdhsa_float_round_mode_32 0
		.amdhsa_float_round_mode_16_64 0
		.amdhsa_float_denorm_mode_32 3
		.amdhsa_float_denorm_mode_16_64 3
		.amdhsa_dx10_clamp 1
		.amdhsa_ieee_mode 1
		.amdhsa_fp16_overflow 0
		.amdhsa_exception_fp_ieee_invalid_op 0
		.amdhsa_exception_fp_denorm_src 0
		.amdhsa_exception_fp_ieee_div_zero 0
		.amdhsa_exception_fp_ieee_overflow 0
		.amdhsa_exception_fp_ieee_underflow 0
		.amdhsa_exception_fp_ieee_inexact 0
		.amdhsa_exception_int_div_zero 0
	.end_amdhsa_kernel
	.section	.text._ZL13mul_mat_vec_qIN3c104HalfELi256ELi8E12block_iq2_xsLi1EXadL_ZL19vec_dot_iq2_xs_q8_1PKvPK10block_q8_1RKiEEEvS4_S4_PT_iii,"axG",@progbits,_ZL13mul_mat_vec_qIN3c104HalfELi256ELi8E12block_iq2_xsLi1EXadL_ZL19vec_dot_iq2_xs_q8_1PKvPK10block_q8_1RKiEEEvS4_S4_PT_iii,comdat
.Lfunc_end89:
	.size	_ZL13mul_mat_vec_qIN3c104HalfELi256ELi8E12block_iq2_xsLi1EXadL_ZL19vec_dot_iq2_xs_q8_1PKvPK10block_q8_1RKiEEEvS4_S4_PT_iii, .Lfunc_end89-_ZL13mul_mat_vec_qIN3c104HalfELi256ELi8E12block_iq2_xsLi1EXadL_ZL19vec_dot_iq2_xs_q8_1PKvPK10block_q8_1RKiEEEvS4_S4_PT_iii
                                        ; -- End function
	.set _ZL13mul_mat_vec_qIN3c104HalfELi256ELi8E12block_iq2_xsLi1EXadL_ZL19vec_dot_iq2_xs_q8_1PKvPK10block_q8_1RKiEEEvS4_S4_PT_iii.num_vgpr, 38
	.set _ZL13mul_mat_vec_qIN3c104HalfELi256ELi8E12block_iq2_xsLi1EXadL_ZL19vec_dot_iq2_xs_q8_1PKvPK10block_q8_1RKiEEEvS4_S4_PT_iii.num_agpr, 0
	.set _ZL13mul_mat_vec_qIN3c104HalfELi256ELi8E12block_iq2_xsLi1EXadL_ZL19vec_dot_iq2_xs_q8_1PKvPK10block_q8_1RKiEEEvS4_S4_PT_iii.numbered_sgpr, 16
	.set _ZL13mul_mat_vec_qIN3c104HalfELi256ELi8E12block_iq2_xsLi1EXadL_ZL19vec_dot_iq2_xs_q8_1PKvPK10block_q8_1RKiEEEvS4_S4_PT_iii.num_named_barrier, 0
	.set _ZL13mul_mat_vec_qIN3c104HalfELi256ELi8E12block_iq2_xsLi1EXadL_ZL19vec_dot_iq2_xs_q8_1PKvPK10block_q8_1RKiEEEvS4_S4_PT_iii.private_seg_size, 0
	.set _ZL13mul_mat_vec_qIN3c104HalfELi256ELi8E12block_iq2_xsLi1EXadL_ZL19vec_dot_iq2_xs_q8_1PKvPK10block_q8_1RKiEEEvS4_S4_PT_iii.uses_vcc, 1
	.set _ZL13mul_mat_vec_qIN3c104HalfELi256ELi8E12block_iq2_xsLi1EXadL_ZL19vec_dot_iq2_xs_q8_1PKvPK10block_q8_1RKiEEEvS4_S4_PT_iii.uses_flat_scratch, 0
	.set _ZL13mul_mat_vec_qIN3c104HalfELi256ELi8E12block_iq2_xsLi1EXadL_ZL19vec_dot_iq2_xs_q8_1PKvPK10block_q8_1RKiEEEvS4_S4_PT_iii.has_dyn_sized_stack, 0
	.set _ZL13mul_mat_vec_qIN3c104HalfELi256ELi8E12block_iq2_xsLi1EXadL_ZL19vec_dot_iq2_xs_q8_1PKvPK10block_q8_1RKiEEEvS4_S4_PT_iii.has_recursion, 0
	.set _ZL13mul_mat_vec_qIN3c104HalfELi256ELi8E12block_iq2_xsLi1EXadL_ZL19vec_dot_iq2_xs_q8_1PKvPK10block_q8_1RKiEEEvS4_S4_PT_iii.has_indirect_call, 0
	.section	.AMDGPU.csdata,"",@progbits
; Kernel info:
; codeLenInByte = 1748
; TotalNumSgprs: 20
; NumVgprs: 38
; ScratchSize: 0
; MemoryBound: 0
; FloatMode: 240
; IeeeMode: 1
; LDSByteSize: 0 bytes/workgroup (compile time only)
; SGPRBlocks: 2
; VGPRBlocks: 9
; NumSGPRsForWavesPerEU: 20
; NumVGPRsForWavesPerEU: 38
; Occupancy: 6
; WaveLimiterHint : 0
; COMPUTE_PGM_RSRC2:SCRATCH_EN: 0
; COMPUTE_PGM_RSRC2:USER_SGPR: 6
; COMPUTE_PGM_RSRC2:TRAP_HANDLER: 0
; COMPUTE_PGM_RSRC2:TGID_X_EN: 1
; COMPUTE_PGM_RSRC2:TGID_Y_EN: 1
; COMPUTE_PGM_RSRC2:TGID_Z_EN: 0
; COMPUTE_PGM_RSRC2:TIDIG_COMP_CNT: 1
	.section	.text._ZL13mul_mat_vec_qIN3c104HalfELi256ELi8E13block_iq3_xxsLi1EXadL_ZL20vec_dot_iq3_xxs_q8_1PKvPK10block_q8_1RKiEEEvS4_S4_PT_iii,"axG",@progbits,_ZL13mul_mat_vec_qIN3c104HalfELi256ELi8E13block_iq3_xxsLi1EXadL_ZL20vec_dot_iq3_xxs_q8_1PKvPK10block_q8_1RKiEEEvS4_S4_PT_iii,comdat
	.globl	_ZL13mul_mat_vec_qIN3c104HalfELi256ELi8E13block_iq3_xxsLi1EXadL_ZL20vec_dot_iq3_xxs_q8_1PKvPK10block_q8_1RKiEEEvS4_S4_PT_iii ; -- Begin function _ZL13mul_mat_vec_qIN3c104HalfELi256ELi8E13block_iq3_xxsLi1EXadL_ZL20vec_dot_iq3_xxs_q8_1PKvPK10block_q8_1RKiEEEvS4_S4_PT_iii
	.p2align	8
	.type	_ZL13mul_mat_vec_qIN3c104HalfELi256ELi8E13block_iq3_xxsLi1EXadL_ZL20vec_dot_iq3_xxs_q8_1PKvPK10block_q8_1RKiEEEvS4_S4_PT_iii,@function
_ZL13mul_mat_vec_qIN3c104HalfELi256ELi8E13block_iq3_xxsLi1EXadL_ZL20vec_dot_iq3_xxs_q8_1PKvPK10block_q8_1RKiEEEvS4_S4_PT_iii: ; @_ZL13mul_mat_vec_qIN3c104HalfELi256ELi8E13block_iq3_xxsLi1EXadL_ZL20vec_dot_iq3_xxs_q8_1PKvPK10block_q8_1RKiEEEvS4_S4_PT_iii
; %bb.0:
	s_load_dword s0, s[4:5], 0x34
	s_load_dwordx4 s[8:11], s[4:5], 0x18
	s_waitcnt lgkmcnt(0)
	s_lshr_b32 s0, s0, 16
	s_mul_i32 s6, s6, s0
	v_add_u32_e32 v12, s6, v1
	s_cmp_lt_u32 s7, s10
	v_cmp_gt_u32_e32 vcc, s9, v12
	s_cselect_b64 s[0:1], -1, 0
	s_and_b64 s[0:1], s[0:1], vcc
	s_and_saveexec_b64 s[2:3], s[0:1]
	s_cbranch_execz .LBB90_7
; %bb.1:
	s_load_dwordx2 s[2:3], s[4:5], 0x10
	s_ashr_i32 s0, s8, 31
	s_lshr_b32 s0, s0, 24
	s_add_i32 s0, s8, s0
	s_ashr_i32 s6, s0, 8
	v_lshrrev_b32_e32 v14, 3, v0
	v_cmp_gt_u32_e32 vcc, s6, v14
	v_mov_b32_e32 v13, 0
	s_and_saveexec_b64 s[10:11], vcc
	s_cbranch_execz .LBB90_5
; %bb.2:
	s_load_dwordx4 s[12:15], s[4:5], 0x0
	s_add_i32 s0, s8, 0x1ff
	s_ashr_i32 s1, s0, 31
	s_lshr_b32 s1, s1, 23
	s_add_i32 s0, s0, s1
	s_ashr_i32 s0, s0, 9
	v_and_b32_e32 v1, 7, v0
	s_mul_i32 s4, s7, s0
	v_mul_lo_u32 v15, v12, s6
	v_lshlrev_b32_e32 v16, 3, v1
	v_lshlrev_b32_e32 v5, 1, v1
	s_waitcnt lgkmcnt(0)
	v_mad_u64_u32 v[1:2], s[0:1], v1, 36, s[14:15]
	v_lshlrev_b32_e32 v3, 3, v14
	v_lshl_add_u32 v17, s4, 4, v3
	v_mov_b32_e32 v3, s12
	v_mov_b32_e32 v13, 0
	s_mov_b64 s[4:5], 0
	s_movk_i32 s8, 0x62
	v_mov_b32_e32 v4, s13
	v_lshlrev_b32_e32 v18, 1, v5
	s_mov_b32 s16, 0xc060c00
	v_mov_b32_e32 v19, 2
	s_getpc_b64 s[12:13]
	s_add_u32 s12, s12, _ZL11iq3xxs_grid@rel32@lo+4
	s_addc_u32 s13, s13, _ZL11iq3xxs_grid@rel32@hi+12
.LBB90_3:                               ; =>This Inner Loop Header: Depth=1
	v_add_u32_e32 v5, v15, v14
	v_mad_i64_i32 v[5:6], s[0:1], v5, s8, v[3:4]
	s_getpc_b64 s[14:15]
	s_add_u32 s14, s14, _ZL8ksigns64@rel32@lo+4
	s_addc_u32 s15, s15, _ZL8ksigns64@rel32@hi+12
	v_add_u32_e32 v14, 8, v14
	v_add_co_u32_e32 v10, vcc, v5, v16
	v_add_co_u32_e64 v21, s[0:1], v5, v18
	v_addc_co_u32_e32 v11, vcc, 0, v6, vcc
	v_addc_co_u32_e64 v22, vcc, 0, v6, s[0:1]
	global_load_dwordx2 v[8:9], v[10:11], off offset:2
	global_load_dword v20, v[21:22], off offset:66
	v_cmp_le_u32_e32 vcc, s6, v14
	s_or_b64 s[4:5], vcc, s[4:5]
	s_waitcnt vmcnt(1)
	v_lshlrev_b32_sdwa v7, v19, v8 dst_sel:DWORD dst_unused:UNUSED_PAD src0_sel:DWORD src1_sel:BYTE_0
	s_waitcnt vmcnt(0)
	v_and_b32_e32 v10, 0x7f, v20
	v_lshlrev_b32_e32 v21, 3, v10
	global_load_dword v22, v7, s[12:13]
	global_load_dwordx2 v[10:11], v21, s[14:15]
	s_waitcnt vmcnt(0)
	v_xor_b32_e32 v7, v10, v22
	v_and_b32_e32 v21, 0xff000000, v10
	v_and_b32_e32 v22, 0xff0000, v10
	;; [unrolled: 1-line block ×3, first 2 shown]
	v_sub_u32_e32 v21, v7, v21
	v_sub_u32_e32 v22, v7, v22
	v_sub_u32_e32 v23, v7, v23
	v_sub_u32_e32 v7, v7, v10
	v_perm_b32 v7, v22, v7, s16
	v_and_b32_e32 v10, 0xff000000, v21
	v_and_b32_e32 v21, 0xff00, v23
	v_or3_b32 v21, v7, v10, v21
	v_lshlrev_b32_sdwa v7, v19, v8 dst_sel:DWORD dst_unused:UNUSED_PAD src0_sel:DWORD src1_sel:BYTE_1
	global_load_dword v7, v7, s[12:13]
	v_and_b32_e32 v10, 0xff000000, v11
	v_and_b32_e32 v22, 0xff0000, v11
	;; [unrolled: 1-line block ×3, first 2 shown]
	s_waitcnt vmcnt(0)
	v_xor_b32_e32 v7, v11, v7
	v_sub_u32_e32 v11, v7, v11
	v_sub_u32_e32 v10, v7, v10
	;; [unrolled: 1-line block ×4, first 2 shown]
	v_perm_b32 v11, v22, v11, s16
	v_and_b32_e32 v10, 0xff000000, v10
	v_and_b32_e32 v7, 0xff00, v7
	v_lshlrev_b32_sdwa v23, v19, v8 dst_sel:DWORD dst_unused:UNUSED_PAD src0_sel:DWORD src1_sel:BYTE_2
	v_or3_b32 v22, v11, v10, v7
	v_lshrrev_b32_e32 v7, 4, v20
	v_and_b32_e32 v7, 0x3f8, v7
	global_load_dword v24, v23, s[12:13]
	global_load_dwordx2 v[10:11], v7, s[14:15]
	s_waitcnt vmcnt(0)
	v_xor_b32_e32 v7, v10, v24
	v_and_b32_e32 v23, 0xff000000, v10
	v_and_b32_e32 v24, 0xff0000, v10
	;; [unrolled: 1-line block ×3, first 2 shown]
	v_sub_u32_e32 v23, v7, v23
	v_sub_u32_e32 v24, v7, v24
	;; [unrolled: 1-line block ×4, first 2 shown]
	v_perm_b32 v7, v24, v7, s16
	v_and_b32_e32 v10, 0xff000000, v23
	v_and_b32_e32 v23, 0xff00, v25
	v_or3_b32 v23, v7, v10, v23
	v_lshlrev_b32_sdwa v7, v19, v8 dst_sel:DWORD dst_unused:UNUSED_PAD src0_sel:DWORD src1_sel:BYTE_3
	global_load_dword v7, v7, s[12:13]
	v_and_b32_e32 v8, 0xff000000, v11
	v_and_b32_e32 v10, 0xff0000, v11
	;; [unrolled: 1-line block ×3, first 2 shown]
	s_waitcnt vmcnt(0)
	v_xor_b32_e32 v7, v11, v7
	v_sub_u32_e32 v11, v7, v11
	v_sub_u32_e32 v8, v7, v8
	;; [unrolled: 1-line block ×4, first 2 shown]
	v_perm_b32 v10, v10, v11, s16
	v_and_b32_e32 v8, 0xff000000, v8
	v_and_b32_e32 v7, 0xff00, v7
	v_or3_b32 v24, v10, v8, v7
	v_lshrrev_b32_e32 v7, 11, v20
	v_lshlrev_b32_sdwa v11, v19, v9 dst_sel:DWORD dst_unused:UNUSED_PAD src0_sel:DWORD src1_sel:BYTE_0
	v_and_b32_e32 v10, 0x3f8, v7
	global_load_dword v25, v11, s[12:13]
	global_load_dwordx2 v[7:8], v10, s[14:15]
	s_waitcnt vmcnt(0)
	v_xor_b32_e32 v10, v7, v25
	v_and_b32_e32 v11, 0xff000000, v7
	v_and_b32_e32 v25, 0xff0000, v7
	;; [unrolled: 1-line block ×3, first 2 shown]
	v_sub_u32_e32 v11, v10, v11
	v_sub_u32_e32 v25, v10, v25
	;; [unrolled: 1-line block ×4, first 2 shown]
	v_perm_b32 v7, v25, v7, s16
	v_and_b32_e32 v10, 0xff000000, v11
	v_and_b32_e32 v11, 0xff00, v26
	v_or3_b32 v25, v7, v10, v11
	v_lshlrev_b32_sdwa v7, v19, v9 dst_sel:DWORD dst_unused:UNUSED_PAD src0_sel:DWORD src1_sel:BYTE_1
	global_load_dword v7, v7, s[12:13]
	v_and_b32_e32 v10, 0xff000000, v8
	v_and_b32_e32 v11, 0xff0000, v8
	;; [unrolled: 1-line block ×3, first 2 shown]
	s_waitcnt vmcnt(0)
	v_xor_b32_e32 v7, v8, v7
	v_sub_u32_e32 v8, v7, v8
	v_sub_u32_e32 v10, v7, v10
	;; [unrolled: 1-line block ×4, first 2 shown]
	v_perm_b32 v8, v11, v8, s16
	v_and_b32_e32 v10, 0xff000000, v10
	v_and_b32_e32 v7, 0xff00, v7
	v_or3_b32 v26, v8, v10, v7
	v_lshrrev_b32_e32 v7, 18, v20
	v_lshlrev_b32_sdwa v11, v19, v9 dst_sel:DWORD dst_unused:UNUSED_PAD src0_sel:DWORD src1_sel:BYTE_2
	v_and_b32_e32 v10, 0x3f8, v7
	global_load_dword v27, v11, s[12:13]
	global_load_dwordx2 v[7:8], v10, s[14:15]
	v_lshlrev_b32_sdwa v9, v19, v9 dst_sel:DWORD dst_unused:UNUSED_PAD src0_sel:DWORD src1_sel:BYTE_3
	v_lshrrev_b32_e32 v20, 28, v20
	v_cvt_f32_ubyte0_e32 v20, v20
	v_add_f32_e32 v20, 0.5, v20
	s_waitcnt vmcnt(0)
	v_xor_b32_e32 v10, v7, v27
	v_and_b32_e32 v11, 0xff000000, v7
	v_and_b32_e32 v27, 0xff0000, v7
	;; [unrolled: 1-line block ×3, first 2 shown]
	v_sub_u32_e32 v11, v10, v11
	v_sub_u32_e32 v27, v10, v27
	;; [unrolled: 1-line block ×4, first 2 shown]
	v_perm_b32 v7, v27, v7, s16
	v_and_b32_e32 v10, 0xff000000, v11
	v_and_b32_e32 v11, 0xff00, v28
	v_or3_b32 v7, v7, v10, v11
	v_mad_i64_i32 v[10:11], s[0:1], v17, 36, v[1:2]
	v_add_u32_e32 v17, 64, v17
	global_load_dwordx4 v[27:30], v[10:11], off
	s_waitcnt vmcnt(0)
	v_dot4_i32_i8 v21, v21, v28, 0
	v_dot4_i32_i8 v21, v22, v29, v21
	;; [unrolled: 1-line block ×3, first 2 shown]
	global_load_dwordx4 v[28:31], v[10:11], off offset:16
	s_waitcnt vmcnt(0)
	v_dot4_i32_i8 v21, v24, v28, v21
	global_load_dword v22, v9, s[12:13]
	global_load_ushort v23, v[5:6], off
	global_load_dword v24, v[10:11], off offset:32
	v_and_b32_e32 v6, 0xff000000, v8
	v_and_b32_e32 v9, 0xff0000, v8
	;; [unrolled: 1-line block ×3, first 2 shown]
	v_dot4_i32_i8 v21, v25, v29, v21
	v_dot4_i32_i8 v21, v26, v30, v21
	;; [unrolled: 1-line block ×3, first 2 shown]
	v_cvt_f32_f16_e32 v7, v27
	s_waitcnt vmcnt(2)
	v_xor_b32_e32 v5, v8, v22
	v_sub_u32_e32 v8, v5, v8
	v_sub_u32_e32 v6, v5, v6
	;; [unrolled: 1-line block ×4, first 2 shown]
	s_waitcnt vmcnt(1)
	v_cvt_f32_f16_e32 v11, v23
	v_and_b32_e32 v6, 0xff000000, v6
	v_and_b32_e32 v5, 0xff00, v5
	v_perm_b32 v8, v9, v8, s16
	v_or3_b32 v5, v8, v6, v5
	s_waitcnt vmcnt(0)
	v_dot4_i32_i8 v5, v5, v24, v21
	v_cvt_f32_i32_e32 v5, v5
	v_mul_f32_e32 v6, v20, v11
	v_mul_f32_e32 v6, v6, v7
	v_mul_f32_e32 v6, 0.5, v6
	v_fmac_f32_e32 v13, v6, v5
	s_andn2_b64 exec, exec, s[4:5]
	s_cbranch_execnz .LBB90_3
; %bb.4:
	s_or_b64 exec, exec, s[4:5]
.LBB90_5:
	s_or_b64 exec, exec, s[10:11]
	v_mbcnt_lo_u32_b32 v1, -1, 0
	v_mbcnt_hi_u32_b32 v2, -1, v1
	v_and_b32_e32 v1, 64, v2
	v_add_u32_e32 v3, 64, v1
	v_xor_b32_e32 v1, 32, v2
	v_cmp_lt_i32_e32 vcc, v1, v3
	v_cndmask_b32_e32 v1, v2, v1, vcc
	v_lshlrev_b32_e32 v1, 2, v1
	ds_bpermute_b32 v1, v1, v13
	v_xor_b32_e32 v4, 16, v2
	v_cmp_lt_i32_e32 vcc, v4, v3
	v_cndmask_b32_e32 v4, v2, v4, vcc
	v_lshlrev_b32_e32 v4, 2, v4
	s_waitcnt lgkmcnt(0)
	v_add_f32_e32 v1, v13, v1
	ds_bpermute_b32 v4, v4, v1
	v_xor_b32_e32 v5, 8, v2
	v_cmp_lt_i32_e32 vcc, v5, v3
	s_waitcnt lgkmcnt(0)
	v_add_f32_e32 v1, v1, v4
	v_cndmask_b32_e32 v4, v2, v5, vcc
	v_lshlrev_b32_e32 v4, 2, v4
	ds_bpermute_b32 v4, v4, v1
	v_xor_b32_e32 v5, 4, v2
	v_cmp_lt_i32_e32 vcc, v5, v3
	s_waitcnt lgkmcnt(0)
	v_add_f32_e32 v1, v1, v4
	v_cndmask_b32_e32 v4, v2, v5, vcc
	v_lshlrev_b32_e32 v4, 2, v4
	;; [unrolled: 7-line block ×3, first 2 shown]
	ds_bpermute_b32 v4, v4, v1
	v_xor_b32_e32 v5, 1, v2
	v_cmp_lt_i32_e32 vcc, v5, v3
	v_cndmask_b32_e32 v2, v2, v5, vcc
	v_lshlrev_b32_e32 v2, 2, v2
	s_waitcnt lgkmcnt(0)
	v_add_f32_e32 v1, v1, v4
	ds_bpermute_b32 v2, v2, v1
	v_cmp_eq_u32_e32 vcc, 0, v0
	s_and_b64 exec, exec, vcc
	s_cbranch_execz .LBB90_7
; %bb.6:
	s_waitcnt lgkmcnt(0)
	v_add_f32_e32 v0, v1, v2
	s_mul_i32 s0, s9, s7
	v_cvt_f16_f32_e32 v2, v0
	v_add_u32_e32 v0, s0, v12
	v_mov_b32_e32 v1, 0
	v_lshlrev_b64 v[0:1], 1, v[0:1]
	v_mov_b32_e32 v3, s3
	v_add_co_u32_e32 v0, vcc, s2, v0
	v_addc_co_u32_e32 v1, vcc, v3, v1, vcc
	global_store_short v[0:1], v2, off
.LBB90_7:
	s_endpgm
	.section	.rodata,"a",@progbits
	.p2align	6, 0x0
	.amdhsa_kernel _ZL13mul_mat_vec_qIN3c104HalfELi256ELi8E13block_iq3_xxsLi1EXadL_ZL20vec_dot_iq3_xxs_q8_1PKvPK10block_q8_1RKiEEEvS4_S4_PT_iii
		.amdhsa_group_segment_fixed_size 0
		.amdhsa_private_segment_fixed_size 0
		.amdhsa_kernarg_size 296
		.amdhsa_user_sgpr_count 6
		.amdhsa_user_sgpr_private_segment_buffer 1
		.amdhsa_user_sgpr_dispatch_ptr 0
		.amdhsa_user_sgpr_queue_ptr 0
		.amdhsa_user_sgpr_kernarg_segment_ptr 1
		.amdhsa_user_sgpr_dispatch_id 0
		.amdhsa_user_sgpr_flat_scratch_init 0
		.amdhsa_user_sgpr_private_segment_size 0
		.amdhsa_uses_dynamic_stack 0
		.amdhsa_system_sgpr_private_segment_wavefront_offset 0
		.amdhsa_system_sgpr_workgroup_id_x 1
		.amdhsa_system_sgpr_workgroup_id_y 1
		.amdhsa_system_sgpr_workgroup_id_z 0
		.amdhsa_system_sgpr_workgroup_info 0
		.amdhsa_system_vgpr_workitem_id 1
		.amdhsa_next_free_vgpr 32
		.amdhsa_next_free_sgpr 17
		.amdhsa_reserve_vcc 1
		.amdhsa_reserve_flat_scratch 0
		.amdhsa_float_round_mode_32 0
		.amdhsa_float_round_mode_16_64 0
		.amdhsa_float_denorm_mode_32 3
		.amdhsa_float_denorm_mode_16_64 3
		.amdhsa_dx10_clamp 1
		.amdhsa_ieee_mode 1
		.amdhsa_fp16_overflow 0
		.amdhsa_exception_fp_ieee_invalid_op 0
		.amdhsa_exception_fp_denorm_src 0
		.amdhsa_exception_fp_ieee_div_zero 0
		.amdhsa_exception_fp_ieee_overflow 0
		.amdhsa_exception_fp_ieee_underflow 0
		.amdhsa_exception_fp_ieee_inexact 0
		.amdhsa_exception_int_div_zero 0
	.end_amdhsa_kernel
	.section	.text._ZL13mul_mat_vec_qIN3c104HalfELi256ELi8E13block_iq3_xxsLi1EXadL_ZL20vec_dot_iq3_xxs_q8_1PKvPK10block_q8_1RKiEEEvS4_S4_PT_iii,"axG",@progbits,_ZL13mul_mat_vec_qIN3c104HalfELi256ELi8E13block_iq3_xxsLi1EXadL_ZL20vec_dot_iq3_xxs_q8_1PKvPK10block_q8_1RKiEEEvS4_S4_PT_iii,comdat
.Lfunc_end90:
	.size	_ZL13mul_mat_vec_qIN3c104HalfELi256ELi8E13block_iq3_xxsLi1EXadL_ZL20vec_dot_iq3_xxs_q8_1PKvPK10block_q8_1RKiEEEvS4_S4_PT_iii, .Lfunc_end90-_ZL13mul_mat_vec_qIN3c104HalfELi256ELi8E13block_iq3_xxsLi1EXadL_ZL20vec_dot_iq3_xxs_q8_1PKvPK10block_q8_1RKiEEEvS4_S4_PT_iii
                                        ; -- End function
	.set _ZL13mul_mat_vec_qIN3c104HalfELi256ELi8E13block_iq3_xxsLi1EXadL_ZL20vec_dot_iq3_xxs_q8_1PKvPK10block_q8_1RKiEEEvS4_S4_PT_iii.num_vgpr, 32
	.set _ZL13mul_mat_vec_qIN3c104HalfELi256ELi8E13block_iq3_xxsLi1EXadL_ZL20vec_dot_iq3_xxs_q8_1PKvPK10block_q8_1RKiEEEvS4_S4_PT_iii.num_agpr, 0
	.set _ZL13mul_mat_vec_qIN3c104HalfELi256ELi8E13block_iq3_xxsLi1EXadL_ZL20vec_dot_iq3_xxs_q8_1PKvPK10block_q8_1RKiEEEvS4_S4_PT_iii.numbered_sgpr, 17
	.set _ZL13mul_mat_vec_qIN3c104HalfELi256ELi8E13block_iq3_xxsLi1EXadL_ZL20vec_dot_iq3_xxs_q8_1PKvPK10block_q8_1RKiEEEvS4_S4_PT_iii.num_named_barrier, 0
	.set _ZL13mul_mat_vec_qIN3c104HalfELi256ELi8E13block_iq3_xxsLi1EXadL_ZL20vec_dot_iq3_xxs_q8_1PKvPK10block_q8_1RKiEEEvS4_S4_PT_iii.private_seg_size, 0
	.set _ZL13mul_mat_vec_qIN3c104HalfELi256ELi8E13block_iq3_xxsLi1EXadL_ZL20vec_dot_iq3_xxs_q8_1PKvPK10block_q8_1RKiEEEvS4_S4_PT_iii.uses_vcc, 1
	.set _ZL13mul_mat_vec_qIN3c104HalfELi256ELi8E13block_iq3_xxsLi1EXadL_ZL20vec_dot_iq3_xxs_q8_1PKvPK10block_q8_1RKiEEEvS4_S4_PT_iii.uses_flat_scratch, 0
	.set _ZL13mul_mat_vec_qIN3c104HalfELi256ELi8E13block_iq3_xxsLi1EXadL_ZL20vec_dot_iq3_xxs_q8_1PKvPK10block_q8_1RKiEEEvS4_S4_PT_iii.has_dyn_sized_stack, 0
	.set _ZL13mul_mat_vec_qIN3c104HalfELi256ELi8E13block_iq3_xxsLi1EXadL_ZL20vec_dot_iq3_xxs_q8_1PKvPK10block_q8_1RKiEEEvS4_S4_PT_iii.has_recursion, 0
	.set _ZL13mul_mat_vec_qIN3c104HalfELi256ELi8E13block_iq3_xxsLi1EXadL_ZL20vec_dot_iq3_xxs_q8_1PKvPK10block_q8_1RKiEEEvS4_S4_PT_iii.has_indirect_call, 0
	.section	.AMDGPU.csdata,"",@progbits
; Kernel info:
; codeLenInByte = 1632
; TotalNumSgprs: 21
; NumVgprs: 32
; ScratchSize: 0
; MemoryBound: 0
; FloatMode: 240
; IeeeMode: 1
; LDSByteSize: 0 bytes/workgroup (compile time only)
; SGPRBlocks: 2
; VGPRBlocks: 7
; NumSGPRsForWavesPerEU: 21
; NumVGPRsForWavesPerEU: 32
; Occupancy: 8
; WaveLimiterHint : 0
; COMPUTE_PGM_RSRC2:SCRATCH_EN: 0
; COMPUTE_PGM_RSRC2:USER_SGPR: 6
; COMPUTE_PGM_RSRC2:TRAP_HANDLER: 0
; COMPUTE_PGM_RSRC2:TGID_X_EN: 1
; COMPUTE_PGM_RSRC2:TGID_Y_EN: 1
; COMPUTE_PGM_RSRC2:TGID_Z_EN: 0
; COMPUTE_PGM_RSRC2:TIDIG_COMP_CNT: 1
	.section	.text._ZL13mul_mat_vec_qIN3c104HalfELi256ELi8E11block_iq1_sLi1EXadL_ZL18vec_dot_iq1_s_q8_1PKvPK10block_q8_1RKiEEEvS4_S4_PT_iii,"axG",@progbits,_ZL13mul_mat_vec_qIN3c104HalfELi256ELi8E11block_iq1_sLi1EXadL_ZL18vec_dot_iq1_s_q8_1PKvPK10block_q8_1RKiEEEvS4_S4_PT_iii,comdat
	.globl	_ZL13mul_mat_vec_qIN3c104HalfELi256ELi8E11block_iq1_sLi1EXadL_ZL18vec_dot_iq1_s_q8_1PKvPK10block_q8_1RKiEEEvS4_S4_PT_iii ; -- Begin function _ZL13mul_mat_vec_qIN3c104HalfELi256ELi8E11block_iq1_sLi1EXadL_ZL18vec_dot_iq1_s_q8_1PKvPK10block_q8_1RKiEEEvS4_S4_PT_iii
	.p2align	8
	.type	_ZL13mul_mat_vec_qIN3c104HalfELi256ELi8E11block_iq1_sLi1EXadL_ZL18vec_dot_iq1_s_q8_1PKvPK10block_q8_1RKiEEEvS4_S4_PT_iii,@function
_ZL13mul_mat_vec_qIN3c104HalfELi256ELi8E11block_iq1_sLi1EXadL_ZL18vec_dot_iq1_s_q8_1PKvPK10block_q8_1RKiEEEvS4_S4_PT_iii: ; @_ZL13mul_mat_vec_qIN3c104HalfELi256ELi8E11block_iq1_sLi1EXadL_ZL18vec_dot_iq1_s_q8_1PKvPK10block_q8_1RKiEEEvS4_S4_PT_iii
; %bb.0:
	s_load_dword s8, s[4:5], 0x34
	s_load_dwordx4 s[0:3], s[4:5], 0x18
	s_waitcnt lgkmcnt(0)
	s_lshr_b32 s3, s8, 16
	s_mul_i32 s6, s6, s3
	v_add_u32_e32 v9, s6, v1
	s_cmp_lt_u32 s7, s2
	v_cmp_gt_u32_e32 vcc, s1, v9
	s_cselect_b64 s[2:3], -1, 0
	s_and_b64 s[2:3], s[2:3], vcc
	s_and_saveexec_b64 s[8:9], s[2:3]
	s_cbranch_execz .LBB91_7
; %bb.1:
	s_load_dwordx2 s[2:3], s[4:5], 0x10
	s_ashr_i32 s6, s0, 31
	s_lshr_b32 s6, s6, 24
	s_add_i32 s6, s0, s6
	s_ashr_i32 s6, s6, 8
	v_lshrrev_b32_e32 v11, 3, v0
	v_cmp_gt_u32_e32 vcc, s6, v11
	v_mov_b32_e32 v10, 0
	s_and_saveexec_b64 s[12:13], vcc
	s_cbranch_execz .LBB91_5
; %bb.2:
	s_load_dwordx4 s[8:11], s[4:5], 0x0
	s_addk_i32 s0, 0x1ff
	s_ashr_i32 s4, s0, 31
	s_lshr_b32 s4, s4, 23
	v_and_b32_e32 v1, 7, v0
	s_add_i32 s0, s0, s4
	v_mul_lo_u32 v12, v9, s6
	s_waitcnt lgkmcnt(0)
	v_mad_u64_u32 v[5:6], s[4:5], v1, 36, s[10:11]
	s_ashr_i32 s0, s0, 9
	s_mul_i32 s0, s7, s0
	v_lshlrev_b32_e32 v2, 1, v1
	v_lshlrev_b32_e32 v3, 3, v11
	v_mov_b32_e32 v10, 0
	v_lshl_add_u32 v13, s0, 4, v3
	s_mov_b64 s[4:5], 0
	v_lshlrev_b32_e32 v14, 1, v2
	v_lshlrev_b32_e32 v15, 1, v1
	s_movk_i32 s0, 0x700
.LBB91_3:                               ; =>This Inner Loop Header: Depth=1
	v_add_u32_e32 v1, v12, v11
	v_mad_i64_i32 v[7:8], s[10:11], v1, 50, s[8:9]
	v_mad_i64_i32 v[21:22], s[10:11], v13, 36, v[5:6]
	v_add_co_u32_e32 v1, vcc, v7, v14
	v_addc_co_u32_e32 v2, vcc, 0, v8, vcc
	v_add_co_u32_e32 v3, vcc, v7, v15
	v_addc_co_u32_e32 v4, vcc, 0, v8, vcc
	global_load_dword v17, v[1:2], off offset:2
	global_load_ushort v16, v[3:4], off offset:34
	s_nop 0
	global_load_dwordx4 v[1:4], v[21:22], off
	global_load_ushort v23, v[7:8], off
	s_getpc_b64 s[10:11]
	s_add_u32 s10, s10, _ZL13iq1s_grid_gpu@rel32@lo+4
	s_addc_u32 s11, s11, _ZL13iq1s_grid_gpu@rel32@hi+12
	v_add_u32_e32 v11, 8, v11
	v_cmp_le_u32_e32 vcc, s6, v11
	v_add_u32_e32 v13, 64, v13
	s_or_b64 s[4:5], vcc, s[4:5]
	s_waitcnt vmcnt(3)
	v_and_b32_e32 v7, 0xff, v17
	s_waitcnt vmcnt(2)
	v_lshlrev_b32_e32 v8, 8, v16
	v_bfe_u32 v18, v17, 8, 8
	v_lshlrev_b32_e32 v19, 5, v16
	v_bfe_u32 v20, v17, 16, 8
	v_lshlrev_b32_e32 v24, 2, v16
	v_lshrrev_b32_e32 v17, 24, v17
	v_lshrrev_b32_e32 v25, 1, v16
	v_and_or_b32 v7, v8, s0, v7
	v_and_or_b32 v8, v19, s0, v18
	;; [unrolled: 1-line block ×4, first 2 shown]
	global_load_dwordx4 v[17:20], v[21:22], off offset:16
	v_lshlrev_b32_e32 v7, 3, v7
	v_lshlrev_b32_e32 v8, 3, v8
	;; [unrolled: 1-line block ×4, first 2 shown]
	global_load_dword v26, v7, s[10:11]
	global_load_dword v27, v8, s[10:11]
                                        ; kill: killed $vgpr8
                                        ; kill: killed $vgpr7
	s_nop 0
	global_load_dword v7, v24, s[10:11]
	global_load_dword v8, v25, s[10:11]
                                        ; kill: killed $vgpr25
                                        ; kill: killed $sgpr10_sgpr11
                                        ; kill: killed $vgpr24
	s_nop 0
	global_load_dword v21, v[21:22], off offset:32
	s_waitcnt vmcnt(4)
	v_and_b32_e32 v22, 0xf0f0f0f, v26
	v_lshrrev_b32_e32 v24, 4, v26
	v_and_b32_e32 v24, 0xf0f0f0f, v24
	v_dot4_i32_i8 v2, v22, v2, 0
	v_dot4_i32_i8 v2, v24, v3, v2
	s_waitcnt vmcnt(3)
	v_and_b32_e32 v3, 0xf0f0f0f, v27
	v_dot4_i32_i8 v2, v3, v4, v2
	v_lshrrev_b32_e32 v4, 4, v27
	v_and_b32_e32 v4, 0xf0f0f0f, v4
	v_dot4_i32_i8 v2, v4, v17, v2
	s_waitcnt vmcnt(2)
	v_and_b32_e32 v4, 0xf0f0f0f, v7
	v_lshrrev_b32_e32 v7, 4, v7
	v_dot4_i32_i8 v2, v4, v18, v2
	v_and_b32_e32 v7, 0xf0f0f0f, v7
	v_dot4_i32_i8 v2, v7, v19, v2
	s_waitcnt vmcnt(1)
	v_and_b32_e32 v7, 0xf0f0f0f, v8
	v_dot4_i32_i8 v2, v7, v20, v2
	v_and_b32_e32 v7, 0x8000, v16
	v_lshrrev_b32_e32 v8, 4, v8
	v_cvt_f32_u32_e32 v7, v7
	v_and_b32_e32 v8, 0xf0f0f0f, v8
	v_cvt_f32_f16_sdwa v4, v1 dst_sel:DWORD dst_unused:UNUSED_PAD src0_sel:WORD_1
	s_waitcnt vmcnt(0)
	v_dot4_i32_i8 v2, v8, v21, v2
	v_cvt_f32_f16_e32 v17, v23
	v_cvt_f32_i32_e32 v2, v2
	v_mov_b32_e32 v3, 0xbf600000
	v_lshrrev_b32_e32 v16, 11, v16
	v_and_or_b32 v16, v16, 14, 1
	v_fmac_f32_e32 v3, 0xb7000000, v7
	v_cvt_f32_ubyte0_e32 v16, v16
	v_mul_f32_e32 v3, v3, v4
	v_mul_f32_e32 v8, v16, v17
	v_fma_mix_f32 v1, v2, v1, v3 op_sel_hi:[0,1,0]
	v_fmac_f32_e32 v10, v8, v1
	s_andn2_b64 exec, exec, s[4:5]
	s_cbranch_execnz .LBB91_3
; %bb.4:
	s_or_b64 exec, exec, s[4:5]
.LBB91_5:
	s_or_b64 exec, exec, s[12:13]
	v_mbcnt_lo_u32_b32 v1, -1, 0
	v_mbcnt_hi_u32_b32 v2, -1, v1
	v_and_b32_e32 v1, 64, v2
	v_add_u32_e32 v3, 64, v1
	v_xor_b32_e32 v1, 32, v2
	v_cmp_lt_i32_e32 vcc, v1, v3
	v_cndmask_b32_e32 v1, v2, v1, vcc
	v_lshlrev_b32_e32 v1, 2, v1
	ds_bpermute_b32 v1, v1, v10
	v_xor_b32_e32 v4, 16, v2
	v_cmp_lt_i32_e32 vcc, v4, v3
	v_cndmask_b32_e32 v4, v2, v4, vcc
	v_lshlrev_b32_e32 v4, 2, v4
	s_waitcnt lgkmcnt(0)
	v_add_f32_e32 v1, v10, v1
	ds_bpermute_b32 v4, v4, v1
	v_xor_b32_e32 v5, 8, v2
	v_cmp_lt_i32_e32 vcc, v5, v3
	s_waitcnt lgkmcnt(0)
	v_add_f32_e32 v1, v1, v4
	v_cndmask_b32_e32 v4, v2, v5, vcc
	v_lshlrev_b32_e32 v4, 2, v4
	ds_bpermute_b32 v4, v4, v1
	v_xor_b32_e32 v5, 4, v2
	v_cmp_lt_i32_e32 vcc, v5, v3
	s_waitcnt lgkmcnt(0)
	v_add_f32_e32 v1, v1, v4
	v_cndmask_b32_e32 v4, v2, v5, vcc
	v_lshlrev_b32_e32 v4, 2, v4
	;; [unrolled: 7-line block ×3, first 2 shown]
	ds_bpermute_b32 v4, v4, v1
	v_xor_b32_e32 v5, 1, v2
	v_cmp_lt_i32_e32 vcc, v5, v3
	v_cndmask_b32_e32 v2, v2, v5, vcc
	v_lshlrev_b32_e32 v2, 2, v2
	s_waitcnt lgkmcnt(0)
	v_add_f32_e32 v1, v1, v4
	ds_bpermute_b32 v2, v2, v1
	v_cmp_eq_u32_e32 vcc, 0, v0
	s_and_b64 exec, exec, vcc
	s_cbranch_execz .LBB91_7
; %bb.6:
	s_waitcnt lgkmcnt(0)
	v_add_f32_e32 v0, v1, v2
	s_mul_i32 s0, s1, s7
	v_cvt_f16_f32_e32 v2, v0
	v_add_u32_e32 v0, s0, v9
	v_mov_b32_e32 v1, 0
	v_lshlrev_b64 v[0:1], 1, v[0:1]
	v_mov_b32_e32 v3, s3
	v_add_co_u32_e32 v0, vcc, s2, v0
	v_addc_co_u32_e32 v1, vcc, v3, v1, vcc
	global_store_short v[0:1], v2, off
.LBB91_7:
	s_endpgm
	.section	.rodata,"a",@progbits
	.p2align	6, 0x0
	.amdhsa_kernel _ZL13mul_mat_vec_qIN3c104HalfELi256ELi8E11block_iq1_sLi1EXadL_ZL18vec_dot_iq1_s_q8_1PKvPK10block_q8_1RKiEEEvS4_S4_PT_iii
		.amdhsa_group_segment_fixed_size 0
		.amdhsa_private_segment_fixed_size 0
		.amdhsa_kernarg_size 296
		.amdhsa_user_sgpr_count 6
		.amdhsa_user_sgpr_private_segment_buffer 1
		.amdhsa_user_sgpr_dispatch_ptr 0
		.amdhsa_user_sgpr_queue_ptr 0
		.amdhsa_user_sgpr_kernarg_segment_ptr 1
		.amdhsa_user_sgpr_dispatch_id 0
		.amdhsa_user_sgpr_flat_scratch_init 0
		.amdhsa_user_sgpr_private_segment_size 0
		.amdhsa_uses_dynamic_stack 0
		.amdhsa_system_sgpr_private_segment_wavefront_offset 0
		.amdhsa_system_sgpr_workgroup_id_x 1
		.amdhsa_system_sgpr_workgroup_id_y 1
		.amdhsa_system_sgpr_workgroup_id_z 0
		.amdhsa_system_sgpr_workgroup_info 0
		.amdhsa_system_vgpr_workitem_id 1
		.amdhsa_next_free_vgpr 28
		.amdhsa_next_free_sgpr 14
		.amdhsa_reserve_vcc 1
		.amdhsa_reserve_flat_scratch 0
		.amdhsa_float_round_mode_32 0
		.amdhsa_float_round_mode_16_64 0
		.amdhsa_float_denorm_mode_32 3
		.amdhsa_float_denorm_mode_16_64 3
		.amdhsa_dx10_clamp 1
		.amdhsa_ieee_mode 1
		.amdhsa_fp16_overflow 0
		.amdhsa_exception_fp_ieee_invalid_op 0
		.amdhsa_exception_fp_denorm_src 0
		.amdhsa_exception_fp_ieee_div_zero 0
		.amdhsa_exception_fp_ieee_overflow 0
		.amdhsa_exception_fp_ieee_underflow 0
		.amdhsa_exception_fp_ieee_inexact 0
		.amdhsa_exception_int_div_zero 0
	.end_amdhsa_kernel
	.section	.text._ZL13mul_mat_vec_qIN3c104HalfELi256ELi8E11block_iq1_sLi1EXadL_ZL18vec_dot_iq1_s_q8_1PKvPK10block_q8_1RKiEEEvS4_S4_PT_iii,"axG",@progbits,_ZL13mul_mat_vec_qIN3c104HalfELi256ELi8E11block_iq1_sLi1EXadL_ZL18vec_dot_iq1_s_q8_1PKvPK10block_q8_1RKiEEEvS4_S4_PT_iii,comdat
.Lfunc_end91:
	.size	_ZL13mul_mat_vec_qIN3c104HalfELi256ELi8E11block_iq1_sLi1EXadL_ZL18vec_dot_iq1_s_q8_1PKvPK10block_q8_1RKiEEEvS4_S4_PT_iii, .Lfunc_end91-_ZL13mul_mat_vec_qIN3c104HalfELi256ELi8E11block_iq1_sLi1EXadL_ZL18vec_dot_iq1_s_q8_1PKvPK10block_q8_1RKiEEEvS4_S4_PT_iii
                                        ; -- End function
	.set _ZL13mul_mat_vec_qIN3c104HalfELi256ELi8E11block_iq1_sLi1EXadL_ZL18vec_dot_iq1_s_q8_1PKvPK10block_q8_1RKiEEEvS4_S4_PT_iii.num_vgpr, 28
	.set _ZL13mul_mat_vec_qIN3c104HalfELi256ELi8E11block_iq1_sLi1EXadL_ZL18vec_dot_iq1_s_q8_1PKvPK10block_q8_1RKiEEEvS4_S4_PT_iii.num_agpr, 0
	.set _ZL13mul_mat_vec_qIN3c104HalfELi256ELi8E11block_iq1_sLi1EXadL_ZL18vec_dot_iq1_s_q8_1PKvPK10block_q8_1RKiEEEvS4_S4_PT_iii.numbered_sgpr, 14
	.set _ZL13mul_mat_vec_qIN3c104HalfELi256ELi8E11block_iq1_sLi1EXadL_ZL18vec_dot_iq1_s_q8_1PKvPK10block_q8_1RKiEEEvS4_S4_PT_iii.num_named_barrier, 0
	.set _ZL13mul_mat_vec_qIN3c104HalfELi256ELi8E11block_iq1_sLi1EXadL_ZL18vec_dot_iq1_s_q8_1PKvPK10block_q8_1RKiEEEvS4_S4_PT_iii.private_seg_size, 0
	.set _ZL13mul_mat_vec_qIN3c104HalfELi256ELi8E11block_iq1_sLi1EXadL_ZL18vec_dot_iq1_s_q8_1PKvPK10block_q8_1RKiEEEvS4_S4_PT_iii.uses_vcc, 1
	.set _ZL13mul_mat_vec_qIN3c104HalfELi256ELi8E11block_iq1_sLi1EXadL_ZL18vec_dot_iq1_s_q8_1PKvPK10block_q8_1RKiEEEvS4_S4_PT_iii.uses_flat_scratch, 0
	.set _ZL13mul_mat_vec_qIN3c104HalfELi256ELi8E11block_iq1_sLi1EXadL_ZL18vec_dot_iq1_s_q8_1PKvPK10block_q8_1RKiEEEvS4_S4_PT_iii.has_dyn_sized_stack, 0
	.set _ZL13mul_mat_vec_qIN3c104HalfELi256ELi8E11block_iq1_sLi1EXadL_ZL18vec_dot_iq1_s_q8_1PKvPK10block_q8_1RKiEEEvS4_S4_PT_iii.has_recursion, 0
	.set _ZL13mul_mat_vec_qIN3c104HalfELi256ELi8E11block_iq1_sLi1EXadL_ZL18vec_dot_iq1_s_q8_1PKvPK10block_q8_1RKiEEEvS4_S4_PT_iii.has_indirect_call, 0
	.section	.AMDGPU.csdata,"",@progbits
; Kernel info:
; codeLenInByte = 992
; TotalNumSgprs: 18
; NumVgprs: 28
; ScratchSize: 0
; MemoryBound: 0
; FloatMode: 240
; IeeeMode: 1
; LDSByteSize: 0 bytes/workgroup (compile time only)
; SGPRBlocks: 2
; VGPRBlocks: 6
; NumSGPRsForWavesPerEU: 18
; NumVGPRsForWavesPerEU: 28
; Occupancy: 9
; WaveLimiterHint : 0
; COMPUTE_PGM_RSRC2:SCRATCH_EN: 0
; COMPUTE_PGM_RSRC2:USER_SGPR: 6
; COMPUTE_PGM_RSRC2:TRAP_HANDLER: 0
; COMPUTE_PGM_RSRC2:TGID_X_EN: 1
; COMPUTE_PGM_RSRC2:TGID_Y_EN: 1
; COMPUTE_PGM_RSRC2:TGID_Z_EN: 0
; COMPUTE_PGM_RSRC2:TIDIG_COMP_CNT: 1
	.section	.text._ZL13mul_mat_vec_qIN3c104HalfELi32ELi4E12block_iq4_nlLi2EXadL_ZL19vec_dot_iq4_nl_q8_1PKvPK10block_q8_1RKiEEEvS4_S4_PT_iii,"axG",@progbits,_ZL13mul_mat_vec_qIN3c104HalfELi32ELi4E12block_iq4_nlLi2EXadL_ZL19vec_dot_iq4_nl_q8_1PKvPK10block_q8_1RKiEEEvS4_S4_PT_iii,comdat
	.globl	_ZL13mul_mat_vec_qIN3c104HalfELi32ELi4E12block_iq4_nlLi2EXadL_ZL19vec_dot_iq4_nl_q8_1PKvPK10block_q8_1RKiEEEvS4_S4_PT_iii ; -- Begin function _ZL13mul_mat_vec_qIN3c104HalfELi32ELi4E12block_iq4_nlLi2EXadL_ZL19vec_dot_iq4_nl_q8_1PKvPK10block_q8_1RKiEEEvS4_S4_PT_iii
	.p2align	8
	.type	_ZL13mul_mat_vec_qIN3c104HalfELi32ELi4E12block_iq4_nlLi2EXadL_ZL19vec_dot_iq4_nl_q8_1PKvPK10block_q8_1RKiEEEvS4_S4_PT_iii,@function
_ZL13mul_mat_vec_qIN3c104HalfELi32ELi4E12block_iq4_nlLi2EXadL_ZL19vec_dot_iq4_nl_q8_1PKvPK10block_q8_1RKiEEEvS4_S4_PT_iii: ; @_ZL13mul_mat_vec_qIN3c104HalfELi32ELi4E12block_iq4_nlLi2EXadL_ZL19vec_dot_iq4_nl_q8_1PKvPK10block_q8_1RKiEEEvS4_S4_PT_iii
; %bb.0:
	s_load_dword s8, s[4:5], 0x34
	s_load_dwordx4 s[0:3], s[4:5], 0x18
	s_waitcnt lgkmcnt(0)
	s_lshr_b32 s3, s8, 16
	s_mul_i32 s6, s6, s3
	v_add_u32_e32 v5, s6, v1
	s_cmp_lt_u32 s7, s2
	v_cmp_gt_u32_e32 vcc, s1, v5
	s_cselect_b64 s[2:3], -1, 0
	s_and_b64 s[2:3], s[2:3], vcc
	s_and_saveexec_b64 s[8:9], s[2:3]
	s_cbranch_execz .LBB92_7
; %bb.1:
	s_load_dwordx2 s[2:3], s[4:5], 0x10
	s_ashr_i32 s6, s0, 31
	s_lshr_b32 s6, s6, 27
	s_add_i32 s6, s0, s6
	s_ashr_i32 s6, s6, 5
	v_lshrrev_b32_e32 v7, 1, v0
	v_cmp_gt_u32_e32 vcc, s6, v7
	v_mov_b32_e32 v6, 0
	s_and_saveexec_b64 s[12:13], vcc
	s_cbranch_execz .LBB92_5
; %bb.2:
	s_addk_i32 s0, 0x1ff
	s_load_dwordx4 s[8:11], s[4:5], 0x0
	s_ashr_i32 s4, s0, 31
	s_lshr_b32 s4, s4, 23
	s_add_i32 s0, s0, s4
	v_mul_lo_u32 v8, v5, s6
	v_lshlrev_b32_e32 v1, 1, v0
	s_ashr_i32 s0, s0, 9
	v_and_b32_e32 v1, 2, v1
	s_mul_i32 s0, s7, s0
	v_lshlrev_b32_e32 v2, 1, v1
	s_lshl_b32 s0, s0, 4
	v_mov_b32_e32 v6, 0
	s_mov_b64 s[4:5], 0
	v_lshlrev_b32_e32 v9, 1, v2
	v_lshlrev_b32_e32 v10, 2, v1
.LBB92_3:                               ; =>This Inner Loop Header: Depth=1
	v_add_u32_e32 v1, v8, v7
	s_waitcnt lgkmcnt(0)
	v_mad_i64_i32 v[3:4], s[14:15], v1, 18, s[8:9]
	v_add_u32_e32 v2, s0, v7
	v_mad_i64_i32 v[1:2], s[14:15], v2, 36, s[10:11]
	v_add_co_u32_e32 v11, vcc, v3, v9
	v_addc_co_u32_e32 v12, vcc, 0, v4, vcc
	global_load_dwordx2 v[11:12], v[11:12], off offset:2
	s_getpc_b64 s[14:15]
	s_add_u32 s14, s14, _ZL13kvalues_iq4nl@rel32@lo+4
	s_addc_u32 s15, s15, _ZL13kvalues_iq4nl@rel32@hi+12
	v_add_co_u32_e32 v13, vcc, v1, v10
	v_addc_co_u32_e32 v14, vcc, 0, v2, vcc
	v_add_u32_e32 v7, 32, v7
	v_cmp_le_u32_e32 vcc, s6, v7
	s_or_b64 s[4:5], vcc, s[4:5]
	s_waitcnt vmcnt(0)
	v_and_b32_e32 v16, 15, v11
	v_bfe_u32 v17, v11, 8, 4
	v_bfe_u32 v18, v11, 16, 4
	;; [unrolled: 1-line block ×3, first 2 shown]
	global_load_ubyte v16, v16, s[14:15]
	s_nop 0
	global_load_ubyte v17, v17, s[14:15]
	s_nop 0
	global_load_ubyte v19, v18, s[14:15]
	global_load_ubyte v20, v15, s[14:15]
	s_waitcnt vmcnt(1)
	v_lshlrev_b32_e32 v18, 16, v19
	s_waitcnt vmcnt(0)
	v_lshlrev_b32_e32 v15, 24, v20
	v_lshl_or_b32 v16, v17, 8, v16
	v_or3_b32 v17, v16, v18, v15
	v_bfe_u32 v15, v11, 12, 4
	v_bfe_u32 v16, v11, 20, 4
	v_lshrrev_b32_e32 v18, 28, v11
	v_bfe_u32 v11, v11, 4, 4
	global_load_ubyte v19, v11, s[14:15]
	global_load_ubyte v20, v15, s[14:15]
	;; [unrolled: 1-line block ×4, first 2 shown]
	v_bfe_u32 v18, v12, 8, 4
	global_load_ubyte v18, v18, s[14:15]
	s_waitcnt vmcnt(3)
	v_lshl_or_b32 v16, v20, 8, v19
	s_waitcnt vmcnt(2)
	v_lshlrev_b32_e32 v15, 16, v21
	s_waitcnt vmcnt(1)
	v_lshlrev_b32_e32 v11, 24, v22
	v_or3_b32 v11, v16, v15, v11
	global_load_dwordx2 v[15:16], v[13:14], off offset:4
	v_bfe_u32 v19, v12, 16, 4
	global_load_dwordx2 v[13:14], v[13:14], off offset:20
	s_waitcnt vmcnt(1)
	v_dot4_i32_i8 v15, v17, v15, 0
	v_and_b32_e32 v17, 15, v12
	s_waitcnt vmcnt(0)
	v_dot4_i32_i8 v11, v11, v13, 0
	v_bfe_u32 v13, v12, 24, 4
	global_load_ubyte v17, v17, s[14:15]
	s_nop 0
	global_load_ubyte v20, v19, s[14:15]
	global_load_ubyte v21, v13, s[14:15]
	s_waitcnt vmcnt(1)
	v_lshlrev_b32_e32 v19, 16, v20
	s_waitcnt vmcnt(0)
	v_lshlrev_b32_e32 v13, 24, v21
	v_lshl_or_b32 v17, v18, 8, v17
	v_or3_b32 v13, v17, v19, v13
	v_bfe_u32 v17, v12, 12, 4
	v_bfe_u32 v18, v12, 20, 4
	v_lshrrev_b32_e32 v19, 28, v12
	v_bfe_u32 v12, v12, 4, 4
	global_load_ubyte v20, v12, s[14:15]
	global_load_ubyte v21, v17, s[14:15]
	;; [unrolled: 1-line block ×4, first 2 shown]
	v_dot4_i32_i8 v13, v13, v16, v15
	global_load_ushort v3, v[3:4], off
	s_waitcnt vmcnt(3)
	v_lshl_or_b32 v18, v21, 8, v20
	global_load_dword v1, v[1:2], off
	s_waitcnt vmcnt(2)
	v_lshlrev_b32_e32 v12, 24, v23
	v_lshlrev_b32_e32 v17, 16, v22
	v_or3_b32 v12, v18, v17, v12
	v_dot4_i32_i8 v11, v12, v14, v11
	s_waitcnt vmcnt(1)
	v_cvt_f32_f16_e32 v3, v3
	v_add_u32_e32 v2, v11, v13
	v_cvt_f32_i32_e32 v2, v2
	s_waitcnt vmcnt(0)
	v_cvt_f32_f16_e32 v1, v1
	v_mul_f32_e32 v1, v3, v1
	v_fmac_f32_e32 v6, v1, v2
	s_andn2_b64 exec, exec, s[4:5]
	s_cbranch_execnz .LBB92_3
; %bb.4:
	s_or_b64 exec, exec, s[4:5]
.LBB92_5:
	s_or_b64 exec, exec, s[12:13]
	v_mbcnt_lo_u32_b32 v1, -1, 0
	v_mbcnt_hi_u32_b32 v2, -1, v1
	v_and_b32_e32 v1, 64, v2
	v_add_u32_e32 v3, 64, v1
	v_xor_b32_e32 v1, 32, v2
	v_cmp_lt_i32_e32 vcc, v1, v3
	v_cndmask_b32_e32 v1, v2, v1, vcc
	v_lshlrev_b32_e32 v1, 2, v1
	ds_bpermute_b32 v1, v1, v6
	v_xor_b32_e32 v4, 16, v2
	v_cmp_lt_i32_e32 vcc, v4, v3
	v_cndmask_b32_e32 v4, v2, v4, vcc
	v_lshlrev_b32_e32 v4, 2, v4
	s_waitcnt lgkmcnt(0)
	v_add_f32_e32 v1, v6, v1
	ds_bpermute_b32 v4, v4, v1
	v_xor_b32_e32 v6, 8, v2
	v_cmp_lt_i32_e32 vcc, v6, v3
	s_waitcnt lgkmcnt(0)
	v_add_f32_e32 v1, v1, v4
	v_cndmask_b32_e32 v4, v2, v6, vcc
	v_lshlrev_b32_e32 v4, 2, v4
	ds_bpermute_b32 v4, v4, v1
	v_xor_b32_e32 v6, 4, v2
	v_cmp_lt_i32_e32 vcc, v6, v3
	s_waitcnt lgkmcnt(0)
	v_add_f32_e32 v1, v1, v4
	v_cndmask_b32_e32 v4, v2, v6, vcc
	v_lshlrev_b32_e32 v4, 2, v4
	;; [unrolled: 7-line block ×3, first 2 shown]
	ds_bpermute_b32 v4, v4, v1
	v_xor_b32_e32 v6, 1, v2
	v_cmp_lt_i32_e32 vcc, v6, v3
	v_cndmask_b32_e32 v2, v2, v6, vcc
	v_lshlrev_b32_e32 v2, 2, v2
	s_waitcnt lgkmcnt(0)
	v_add_f32_e32 v1, v1, v4
	ds_bpermute_b32 v2, v2, v1
	v_cmp_eq_u32_e32 vcc, 0, v0
	s_and_b64 exec, exec, vcc
	s_cbranch_execz .LBB92_7
; %bb.6:
	s_waitcnt lgkmcnt(0)
	v_add_f32_e32 v0, v1, v2
	s_mul_i32 s0, s1, s7
	v_cvt_f16_f32_e32 v2, v0
	v_add_u32_e32 v0, s0, v5
	v_mov_b32_e32 v1, 0
	v_lshlrev_b64 v[0:1], 1, v[0:1]
	v_mov_b32_e32 v3, s3
	v_add_co_u32_e32 v0, vcc, s2, v0
	v_addc_co_u32_e32 v1, vcc, v3, v1, vcc
	global_store_short v[0:1], v2, off
.LBB92_7:
	s_endpgm
	.section	.rodata,"a",@progbits
	.p2align	6, 0x0
	.amdhsa_kernel _ZL13mul_mat_vec_qIN3c104HalfELi32ELi4E12block_iq4_nlLi2EXadL_ZL19vec_dot_iq4_nl_q8_1PKvPK10block_q8_1RKiEEEvS4_S4_PT_iii
		.amdhsa_group_segment_fixed_size 0
		.amdhsa_private_segment_fixed_size 0
		.amdhsa_kernarg_size 296
		.amdhsa_user_sgpr_count 6
		.amdhsa_user_sgpr_private_segment_buffer 1
		.amdhsa_user_sgpr_dispatch_ptr 0
		.amdhsa_user_sgpr_queue_ptr 0
		.amdhsa_user_sgpr_kernarg_segment_ptr 1
		.amdhsa_user_sgpr_dispatch_id 0
		.amdhsa_user_sgpr_flat_scratch_init 0
		.amdhsa_user_sgpr_private_segment_size 0
		.amdhsa_uses_dynamic_stack 0
		.amdhsa_system_sgpr_private_segment_wavefront_offset 0
		.amdhsa_system_sgpr_workgroup_id_x 1
		.amdhsa_system_sgpr_workgroup_id_y 1
		.amdhsa_system_sgpr_workgroup_id_z 0
		.amdhsa_system_sgpr_workgroup_info 0
		.amdhsa_system_vgpr_workitem_id 1
		.amdhsa_next_free_vgpr 24
		.amdhsa_next_free_sgpr 16
		.amdhsa_reserve_vcc 1
		.amdhsa_reserve_flat_scratch 0
		.amdhsa_float_round_mode_32 0
		.amdhsa_float_round_mode_16_64 0
		.amdhsa_float_denorm_mode_32 3
		.amdhsa_float_denorm_mode_16_64 3
		.amdhsa_dx10_clamp 1
		.amdhsa_ieee_mode 1
		.amdhsa_fp16_overflow 0
		.amdhsa_exception_fp_ieee_invalid_op 0
		.amdhsa_exception_fp_denorm_src 0
		.amdhsa_exception_fp_ieee_div_zero 0
		.amdhsa_exception_fp_ieee_overflow 0
		.amdhsa_exception_fp_ieee_underflow 0
		.amdhsa_exception_fp_ieee_inexact 0
		.amdhsa_exception_int_div_zero 0
	.end_amdhsa_kernel
	.section	.text._ZL13mul_mat_vec_qIN3c104HalfELi32ELi4E12block_iq4_nlLi2EXadL_ZL19vec_dot_iq4_nl_q8_1PKvPK10block_q8_1RKiEEEvS4_S4_PT_iii,"axG",@progbits,_ZL13mul_mat_vec_qIN3c104HalfELi32ELi4E12block_iq4_nlLi2EXadL_ZL19vec_dot_iq4_nl_q8_1PKvPK10block_q8_1RKiEEEvS4_S4_PT_iii,comdat
.Lfunc_end92:
	.size	_ZL13mul_mat_vec_qIN3c104HalfELi32ELi4E12block_iq4_nlLi2EXadL_ZL19vec_dot_iq4_nl_q8_1PKvPK10block_q8_1RKiEEEvS4_S4_PT_iii, .Lfunc_end92-_ZL13mul_mat_vec_qIN3c104HalfELi32ELi4E12block_iq4_nlLi2EXadL_ZL19vec_dot_iq4_nl_q8_1PKvPK10block_q8_1RKiEEEvS4_S4_PT_iii
                                        ; -- End function
	.set _ZL13mul_mat_vec_qIN3c104HalfELi32ELi4E12block_iq4_nlLi2EXadL_ZL19vec_dot_iq4_nl_q8_1PKvPK10block_q8_1RKiEEEvS4_S4_PT_iii.num_vgpr, 24
	.set _ZL13mul_mat_vec_qIN3c104HalfELi32ELi4E12block_iq4_nlLi2EXadL_ZL19vec_dot_iq4_nl_q8_1PKvPK10block_q8_1RKiEEEvS4_S4_PT_iii.num_agpr, 0
	.set _ZL13mul_mat_vec_qIN3c104HalfELi32ELi4E12block_iq4_nlLi2EXadL_ZL19vec_dot_iq4_nl_q8_1PKvPK10block_q8_1RKiEEEvS4_S4_PT_iii.numbered_sgpr, 16
	.set _ZL13mul_mat_vec_qIN3c104HalfELi32ELi4E12block_iq4_nlLi2EXadL_ZL19vec_dot_iq4_nl_q8_1PKvPK10block_q8_1RKiEEEvS4_S4_PT_iii.num_named_barrier, 0
	.set _ZL13mul_mat_vec_qIN3c104HalfELi32ELi4E12block_iq4_nlLi2EXadL_ZL19vec_dot_iq4_nl_q8_1PKvPK10block_q8_1RKiEEEvS4_S4_PT_iii.private_seg_size, 0
	.set _ZL13mul_mat_vec_qIN3c104HalfELi32ELi4E12block_iq4_nlLi2EXadL_ZL19vec_dot_iq4_nl_q8_1PKvPK10block_q8_1RKiEEEvS4_S4_PT_iii.uses_vcc, 1
	.set _ZL13mul_mat_vec_qIN3c104HalfELi32ELi4E12block_iq4_nlLi2EXadL_ZL19vec_dot_iq4_nl_q8_1PKvPK10block_q8_1RKiEEEvS4_S4_PT_iii.uses_flat_scratch, 0
	.set _ZL13mul_mat_vec_qIN3c104HalfELi32ELi4E12block_iq4_nlLi2EXadL_ZL19vec_dot_iq4_nl_q8_1PKvPK10block_q8_1RKiEEEvS4_S4_PT_iii.has_dyn_sized_stack, 0
	.set _ZL13mul_mat_vec_qIN3c104HalfELi32ELi4E12block_iq4_nlLi2EXadL_ZL19vec_dot_iq4_nl_q8_1PKvPK10block_q8_1RKiEEEvS4_S4_PT_iii.has_recursion, 0
	.set _ZL13mul_mat_vec_qIN3c104HalfELi32ELi4E12block_iq4_nlLi2EXadL_ZL19vec_dot_iq4_nl_q8_1PKvPK10block_q8_1RKiEEEvS4_S4_PT_iii.has_indirect_call, 0
	.section	.AMDGPU.csdata,"",@progbits
; Kernel info:
; codeLenInByte = 1040
; TotalNumSgprs: 20
; NumVgprs: 24
; ScratchSize: 0
; MemoryBound: 0
; FloatMode: 240
; IeeeMode: 1
; LDSByteSize: 0 bytes/workgroup (compile time only)
; SGPRBlocks: 2
; VGPRBlocks: 5
; NumSGPRsForWavesPerEU: 20
; NumVGPRsForWavesPerEU: 24
; Occupancy: 10
; WaveLimiterHint : 0
; COMPUTE_PGM_RSRC2:SCRATCH_EN: 0
; COMPUTE_PGM_RSRC2:USER_SGPR: 6
; COMPUTE_PGM_RSRC2:TRAP_HANDLER: 0
; COMPUTE_PGM_RSRC2:TGID_X_EN: 1
; COMPUTE_PGM_RSRC2:TGID_Y_EN: 1
; COMPUTE_PGM_RSRC2:TGID_Z_EN: 0
; COMPUTE_PGM_RSRC2:TIDIG_COMP_CNT: 1
	.section	.text._ZL13mul_mat_vec_qIN3c104HalfELi256ELi8E11block_iq3_sLi1EXadL_ZL18vec_dot_iq3_s_q8_1PKvPK10block_q8_1RKiEEEvS4_S4_PT_iii,"axG",@progbits,_ZL13mul_mat_vec_qIN3c104HalfELi256ELi8E11block_iq3_sLi1EXadL_ZL18vec_dot_iq3_s_q8_1PKvPK10block_q8_1RKiEEEvS4_S4_PT_iii,comdat
	.globl	_ZL13mul_mat_vec_qIN3c104HalfELi256ELi8E11block_iq3_sLi1EXadL_ZL18vec_dot_iq3_s_q8_1PKvPK10block_q8_1RKiEEEvS4_S4_PT_iii ; -- Begin function _ZL13mul_mat_vec_qIN3c104HalfELi256ELi8E11block_iq3_sLi1EXadL_ZL18vec_dot_iq3_s_q8_1PKvPK10block_q8_1RKiEEEvS4_S4_PT_iii
	.p2align	8
	.type	_ZL13mul_mat_vec_qIN3c104HalfELi256ELi8E11block_iq3_sLi1EXadL_ZL18vec_dot_iq3_s_q8_1PKvPK10block_q8_1RKiEEEvS4_S4_PT_iii,@function
_ZL13mul_mat_vec_qIN3c104HalfELi256ELi8E11block_iq3_sLi1EXadL_ZL18vec_dot_iq3_s_q8_1PKvPK10block_q8_1RKiEEEvS4_S4_PT_iii: ; @_ZL13mul_mat_vec_qIN3c104HalfELi256ELi8E11block_iq3_sLi1EXadL_ZL18vec_dot_iq3_s_q8_1PKvPK10block_q8_1RKiEEEvS4_S4_PT_iii
; %bb.0:
	s_load_dword s0, s[4:5], 0x34
	s_load_dwordx4 s[8:11], s[4:5], 0x18
	s_waitcnt lgkmcnt(0)
	s_lshr_b32 s0, s0, 16
	s_mul_i32 s6, s6, s0
	v_add_u32_e32 v19, s6, v1
	s_cmp_lt_u32 s7, s10
	v_cmp_gt_u32_e32 vcc, s9, v19
	s_cselect_b64 s[0:1], -1, 0
	s_and_b64 s[0:1], s[0:1], vcc
	s_and_saveexec_b64 s[2:3], s[0:1]
	s_cbranch_execz .LBB93_9
; %bb.1:
	s_load_dwordx2 s[10:11], s[4:5], 0x10
	s_ashr_i32 s0, s8, 31
	s_lshr_b32 s0, s0, 24
	s_add_i32 s0, s8, s0
	s_ashr_i32 s6, s0, 8
	v_lshrrev_b32_e32 v21, 3, v0
	v_cmp_gt_u32_e32 vcc, s6, v21
	v_mov_b32_e32 v20, 0
	s_and_saveexec_b64 s[12:13], vcc
	s_cbranch_execz .LBB93_7
; %bb.2:
	s_load_dwordx4 s[0:3], s[4:5], 0x0
	v_and_b32_e32 v23, 7, v0
	v_lshlrev_b32_e32 v3, 2, v0
	v_and_b32_e32 v25, 4, v3
	v_lshlrev_b32_e32 v3, 2, v23
	s_waitcnt lgkmcnt(0)
	v_mad_u64_u32 v[1:2], s[2:3], v23, 36, s[2:3]
	v_mov_b32_e32 v4, s1
	v_add_co_u32_e32 v3, vcc, s0, v3
	s_add_i32 s4, s8, 0x1ff
	v_addc_co_u32_e32 v4, vcc, 0, v4, vcc
	s_movk_i32 s2, 0x4a
	s_ashr_i32 s5, s4, 31
	v_add_co_u32_e32 v3, vcc, s2, v3
	s_lshr_b32 s5, s5, 23
	v_mul_lo_u32 v22, v19, s6
	v_lshlrev_b32_e32 v5, 3, v23
	v_addc_co_u32_e32 v4, vcc, 0, v4, vcc
	s_add_i32 s4, s4, s5
	v_mov_b32_e32 v6, s1
	v_add_co_u32_e32 v5, vcc, s0, v5
	s_ashr_i32 s4, s4, 9
	v_addc_co_u32_e32 v6, vcc, 0, v6, vcc
	s_mul_i32 s4, s7, s4
	v_add_co_u32_e32 v5, vcc, 2, v5
	v_mov_b32_e32 v8, s1
	s_lshl_b32 s8, s4, 4
	v_mov_b32_e32 v20, 0
	v_bfe_u32 v24, v0, 1, 2
	v_add_u32_e32 v26, v21, v22
	v_addc_co_u32_e32 v6, vcc, 0, v6, vcc
	s_mov_b64 s[14:15], 0
	s_movk_i32 s16, 0x6e
	s_movk_i32 s17, 0x100
	s_mov_b32 s18, 0x1010101
	s_mov_b32 s19, 0x1000000
	;; [unrolled: 1-line block ×3, first 2 shown]
	v_mov_b32_e32 v7, s0
	v_mov_b32_e32 v27, 0xff0000
	;; [unrolled: 1-line block ×4, first 2 shown]
.LBB93_3:                               ; =>This Loop Header: Depth=1
                                        ;     Child Loop BB93_4 Depth 2
	v_add_u32_e32 v9, v21, v22
	v_mad_i64_i32 v[9:10], s[0:1], v9, s16, v[7:8]
	v_mad_i64_i32 v[13:14], s[0:1], v26, s16, v[3:4]
	v_add_co_u32_e32 v11, vcc, v9, v23
	v_addc_co_u32_e32 v12, vcc, 0, v10, vcc
	global_load_ubyte v31, v[11:12], off offset:66
	v_lshl_add_u32 v11, v21, 3, s8
	v_mad_i64_i32 v[11:12], s[0:1], v11, 36, v[1:2]
	v_mad_i64_i32 v[15:16], s[0:1], v26, s16, v[5:6]
	v_add_co_u32_e32 v17, vcc, 4, v11
	v_addc_co_u32_e32 v18, vcc, 0, v12, vcc
	s_mov_b32 s21, 7
	v_mov_b32_e32 v30, 0
.LBB93_4:                               ;   Parent Loop BB93_3 Depth=1
                                        ; =>  This Inner Loop Header: Depth=2
	global_load_ushort v32, v[15:16], off
	global_load_ubyte v34, v[13:14], off
	s_add_i32 s2, s21, 1
	s_waitcnt vmcnt(2)
	v_lshlrev_b32_e32 v33, s21, v31
	v_lshlrev_b32_e32 v35, s2, v31
	s_getpc_b64 s[0:1]
	s_add_u32 s0, s0, _ZL10iq3xs_grid@rel32@lo+4
	s_addc_u32 s1, s1, _ZL10iq3xs_grid@rel32@hi+12
	v_add_co_u32_e64 v15, s[2:3], 2, v15
	s_add_i32 s21, s21, -2
	s_cmp_lg_u32 s21, -1
	s_waitcnt vmcnt(1)
	v_and_b32_e32 v36, 0xff, v32
	v_lshrrev_b16_e32 v32, 8, v32
	v_and_or_b32 v35, v35, s17, v36
	v_and_or_b32 v32, v33, s17, v32
	v_lshlrev_b32_e32 v33, 2, v35
	v_lshlrev_b32_e32 v32, 2, v32
	global_load_dword v35, v33, s[0:1]
	global_load_dword v36, v32, s[0:1]
	s_nop 0
	global_load_dwordx2 v[32:33], v[17:18], off
	s_waitcnt vmcnt(3)
	v_and_b32_e32 v37, 15, v34
	v_lshrrev_b16_e32 v34, 4, v34
	v_and_b32_e32 v37, 0xffff, v37
	v_mul_lo_u32 v34, v34, s18
	v_mul_lo_u32 v37, v37, s18
	v_add_co_u32_e32 v17, vcc, 8, v17
	v_add_co_u32_e64 v13, s[0:1], 1, v13
	v_not_b32_e32 v34, v34
	v_addc_co_u32_e32 v18, vcc, 0, v18, vcc
	v_addc_co_u32_e64 v14, vcc, 0, v14, s[0:1]
	v_addc_co_u32_e64 v16, vcc, 0, v16, s[2:3]
	v_not_b32_e32 v37, v37
	v_and_b32_e32 v38, 0x8040201, v34
	v_and_b32_e32 v39, 0x40000, v34
	;; [unrolled: 1-line block ×8, first 2 shown]
	v_cmp_gt_u32_e32 vcc, s19, v38
	v_cmp_eq_u32_e64 s[2:3], 0, v40
	v_cmp_eq_u32_e64 s[4:5], 0, v34
	;; [unrolled: 1-line block ×3, first 2 shown]
	v_cndmask_b32_e64 v34, 0, -1, vcc
	v_cndmask_b32_e64 v39, 0, v28, s[2:3]
	v_cndmask_b32_e64 v40, 0, v29, s[4:5]
	v_cmp_gt_u32_e32 vcc, s19, v41
	v_cmp_eq_u32_e64 s[2:3], 0, v43
	v_cmp_eq_u32_e64 s[4:5], 0, v37
	v_cndmask_b32_e64 v38, 0, v27, s[0:1]
	v_cmp_eq_u32_e64 s[0:1], 0, v42
	v_cndmask_b32_e64 v37, 0, -1, vcc
	v_cndmask_b32_e64 v42, 0, v28, s[2:3]
	v_cndmask_b32_e64 v43, 0, v29, s[4:5]
	;; [unrolled: 1-line block ×3, first 2 shown]
	v_lshlrev_b32_e32 v37, 24, v37
	v_or_b32_e32 v45, v42, v43
	v_lshlrev_b32_e32 v34, 24, v34
	v_or_b32_e32 v44, v39, v40
	v_or3_b32 v45, v45, v41, v37
	v_or3_b32 v44, v44, v38, v34
	s_waitcnt vmcnt(2)
	v_xor_b32_e32 v35, v45, v35
	s_waitcnt vmcnt(1)
	v_xor_b32_e32 v36, v44, v36
	v_sub_u32_e32 v37, v35, v37
	v_sub_u32_e32 v41, v35, v41
	;; [unrolled: 1-line block ×8, first 2 shown]
	v_and_b32_e32 v37, 0xff000000, v37
	v_and_b32_e32 v40, 0xff00, v42
	v_perm_b32 v35, v41, v35, s20
	v_and_b32_e32 v34, 0xff000000, v34
	v_and_b32_e32 v39, 0xff00, v39
	v_perm_b32 v36, v38, v36, s20
	v_or3_b32 v35, v35, v37, v40
	v_or3_b32 v34, v36, v34, v39
	s_waitcnt vmcnt(0)
	v_dot4_i32_i8 v30, v35, v32, v30
	v_dot4_i32_i8 v30, v34, v33, v30
	s_cbranch_scc1 .LBB93_4
; %bb.5:                                ;   in Loop: Header=BB93_3 Depth=1
	global_load_ushort v13, v[9:10], off
	v_add_co_u32_e32 v9, vcc, v9, v24
	v_addc_co_u32_e32 v10, vcc, 0, v10, vcc
	global_load_dword v14, v[11:12], off
	global_load_ubyte v15, v[9:10], off offset:106
	v_cvt_f32_i32_e32 v9, v30
	v_add_u32_e32 v21, 8, v21
	v_cmp_le_u32_e32 vcc, s6, v21
	s_or_b64 s[14:15], vcc, s[14:15]
	v_add_u32_e32 v26, 8, v26
	s_waitcnt vmcnt(2)
	v_cvt_f32_f16_e32 v10, v13
	s_waitcnt vmcnt(1)
	v_cvt_f32_f16_e32 v11, v14
	s_waitcnt vmcnt(0)
	v_bfe_u32 v12, v15, v25, 4
	v_cvt_f32_ubyte0_e32 v12, v12
	v_add_f32_e32 v12, 0.5, v12
	v_mul_f32_e32 v10, v12, v10
	v_mul_f32_e32 v10, v10, v11
	v_mul_f32_e32 v10, 0.5, v10
	v_fmac_f32_e32 v20, v10, v9
	s_andn2_b64 exec, exec, s[14:15]
	s_cbranch_execnz .LBB93_3
; %bb.6:
	s_or_b64 exec, exec, s[14:15]
.LBB93_7:
	s_or_b64 exec, exec, s[12:13]
	v_mbcnt_lo_u32_b32 v1, -1, 0
	v_mbcnt_hi_u32_b32 v2, -1, v1
	v_and_b32_e32 v1, 64, v2
	v_add_u32_e32 v3, 64, v1
	v_xor_b32_e32 v1, 32, v2
	v_cmp_lt_i32_e32 vcc, v1, v3
	v_cndmask_b32_e32 v1, v2, v1, vcc
	v_lshlrev_b32_e32 v1, 2, v1
	ds_bpermute_b32 v1, v1, v20
	v_xor_b32_e32 v4, 16, v2
	v_cmp_lt_i32_e32 vcc, v4, v3
	v_cndmask_b32_e32 v4, v2, v4, vcc
	v_lshlrev_b32_e32 v4, 2, v4
	s_waitcnt lgkmcnt(0)
	v_add_f32_e32 v1, v20, v1
	ds_bpermute_b32 v4, v4, v1
	v_xor_b32_e32 v5, 8, v2
	v_cmp_lt_i32_e32 vcc, v5, v3
	s_waitcnt lgkmcnt(0)
	v_add_f32_e32 v1, v1, v4
	v_cndmask_b32_e32 v4, v2, v5, vcc
	v_lshlrev_b32_e32 v4, 2, v4
	ds_bpermute_b32 v4, v4, v1
	v_xor_b32_e32 v5, 4, v2
	v_cmp_lt_i32_e32 vcc, v5, v3
	s_waitcnt lgkmcnt(0)
	v_add_f32_e32 v1, v1, v4
	v_cndmask_b32_e32 v4, v2, v5, vcc
	v_lshlrev_b32_e32 v4, 2, v4
	;; [unrolled: 7-line block ×3, first 2 shown]
	ds_bpermute_b32 v4, v4, v1
	v_xor_b32_e32 v5, 1, v2
	v_cmp_lt_i32_e32 vcc, v5, v3
	v_cndmask_b32_e32 v2, v2, v5, vcc
	v_lshlrev_b32_e32 v2, 2, v2
	s_waitcnt lgkmcnt(0)
	v_add_f32_e32 v1, v1, v4
	ds_bpermute_b32 v2, v2, v1
	v_cmp_eq_u32_e32 vcc, 0, v0
	s_and_b64 exec, exec, vcc
	s_cbranch_execz .LBB93_9
; %bb.8:
	s_waitcnt lgkmcnt(0)
	v_add_f32_e32 v0, v1, v2
	s_mul_i32 s0, s9, s7
	v_cvt_f16_f32_e32 v2, v0
	v_add_u32_e32 v0, s0, v19
	v_mov_b32_e32 v1, 0
	v_lshlrev_b64 v[0:1], 1, v[0:1]
	v_mov_b32_e32 v3, s11
	v_add_co_u32_e32 v0, vcc, s10, v0
	v_addc_co_u32_e32 v1, vcc, v3, v1, vcc
	global_store_short v[0:1], v2, off
.LBB93_9:
	s_endpgm
	.section	.rodata,"a",@progbits
	.p2align	6, 0x0
	.amdhsa_kernel _ZL13mul_mat_vec_qIN3c104HalfELi256ELi8E11block_iq3_sLi1EXadL_ZL18vec_dot_iq3_s_q8_1PKvPK10block_q8_1RKiEEEvS4_S4_PT_iii
		.amdhsa_group_segment_fixed_size 0
		.amdhsa_private_segment_fixed_size 0
		.amdhsa_kernarg_size 296
		.amdhsa_user_sgpr_count 6
		.amdhsa_user_sgpr_private_segment_buffer 1
		.amdhsa_user_sgpr_dispatch_ptr 0
		.amdhsa_user_sgpr_queue_ptr 0
		.amdhsa_user_sgpr_kernarg_segment_ptr 1
		.amdhsa_user_sgpr_dispatch_id 0
		.amdhsa_user_sgpr_flat_scratch_init 0
		.amdhsa_user_sgpr_private_segment_size 0
		.amdhsa_uses_dynamic_stack 0
		.amdhsa_system_sgpr_private_segment_wavefront_offset 0
		.amdhsa_system_sgpr_workgroup_id_x 1
		.amdhsa_system_sgpr_workgroup_id_y 1
		.amdhsa_system_sgpr_workgroup_id_z 0
		.amdhsa_system_sgpr_workgroup_info 0
		.amdhsa_system_vgpr_workitem_id 1
		.amdhsa_next_free_vgpr 46
		.amdhsa_next_free_sgpr 22
		.amdhsa_reserve_vcc 1
		.amdhsa_reserve_flat_scratch 0
		.amdhsa_float_round_mode_32 0
		.amdhsa_float_round_mode_16_64 0
		.amdhsa_float_denorm_mode_32 3
		.amdhsa_float_denorm_mode_16_64 3
		.amdhsa_dx10_clamp 1
		.amdhsa_ieee_mode 1
		.amdhsa_fp16_overflow 0
		.amdhsa_exception_fp_ieee_invalid_op 0
		.amdhsa_exception_fp_denorm_src 0
		.amdhsa_exception_fp_ieee_div_zero 0
		.amdhsa_exception_fp_ieee_overflow 0
		.amdhsa_exception_fp_ieee_underflow 0
		.amdhsa_exception_fp_ieee_inexact 0
		.amdhsa_exception_int_div_zero 0
	.end_amdhsa_kernel
	.section	.text._ZL13mul_mat_vec_qIN3c104HalfELi256ELi8E11block_iq3_sLi1EXadL_ZL18vec_dot_iq3_s_q8_1PKvPK10block_q8_1RKiEEEvS4_S4_PT_iii,"axG",@progbits,_ZL13mul_mat_vec_qIN3c104HalfELi256ELi8E11block_iq3_sLi1EXadL_ZL18vec_dot_iq3_s_q8_1PKvPK10block_q8_1RKiEEEvS4_S4_PT_iii,comdat
.Lfunc_end93:
	.size	_ZL13mul_mat_vec_qIN3c104HalfELi256ELi8E11block_iq3_sLi1EXadL_ZL18vec_dot_iq3_s_q8_1PKvPK10block_q8_1RKiEEEvS4_S4_PT_iii, .Lfunc_end93-_ZL13mul_mat_vec_qIN3c104HalfELi256ELi8E11block_iq3_sLi1EXadL_ZL18vec_dot_iq3_s_q8_1PKvPK10block_q8_1RKiEEEvS4_S4_PT_iii
                                        ; -- End function
	.set _ZL13mul_mat_vec_qIN3c104HalfELi256ELi8E11block_iq3_sLi1EXadL_ZL18vec_dot_iq3_s_q8_1PKvPK10block_q8_1RKiEEEvS4_S4_PT_iii.num_vgpr, 46
	.set _ZL13mul_mat_vec_qIN3c104HalfELi256ELi8E11block_iq3_sLi1EXadL_ZL18vec_dot_iq3_s_q8_1PKvPK10block_q8_1RKiEEEvS4_S4_PT_iii.num_agpr, 0
	.set _ZL13mul_mat_vec_qIN3c104HalfELi256ELi8E11block_iq3_sLi1EXadL_ZL18vec_dot_iq3_s_q8_1PKvPK10block_q8_1RKiEEEvS4_S4_PT_iii.numbered_sgpr, 22
	.set _ZL13mul_mat_vec_qIN3c104HalfELi256ELi8E11block_iq3_sLi1EXadL_ZL18vec_dot_iq3_s_q8_1PKvPK10block_q8_1RKiEEEvS4_S4_PT_iii.num_named_barrier, 0
	.set _ZL13mul_mat_vec_qIN3c104HalfELi256ELi8E11block_iq3_sLi1EXadL_ZL18vec_dot_iq3_s_q8_1PKvPK10block_q8_1RKiEEEvS4_S4_PT_iii.private_seg_size, 0
	.set _ZL13mul_mat_vec_qIN3c104HalfELi256ELi8E11block_iq3_sLi1EXadL_ZL18vec_dot_iq3_s_q8_1PKvPK10block_q8_1RKiEEEvS4_S4_PT_iii.uses_vcc, 1
	.set _ZL13mul_mat_vec_qIN3c104HalfELi256ELi8E11block_iq3_sLi1EXadL_ZL18vec_dot_iq3_s_q8_1PKvPK10block_q8_1RKiEEEvS4_S4_PT_iii.uses_flat_scratch, 0
	.set _ZL13mul_mat_vec_qIN3c104HalfELi256ELi8E11block_iq3_sLi1EXadL_ZL18vec_dot_iq3_s_q8_1PKvPK10block_q8_1RKiEEEvS4_S4_PT_iii.has_dyn_sized_stack, 0
	.set _ZL13mul_mat_vec_qIN3c104HalfELi256ELi8E11block_iq3_sLi1EXadL_ZL18vec_dot_iq3_s_q8_1PKvPK10block_q8_1RKiEEEvS4_S4_PT_iii.has_recursion, 0
	.set _ZL13mul_mat_vec_qIN3c104HalfELi256ELi8E11block_iq3_sLi1EXadL_ZL18vec_dot_iq3_s_q8_1PKvPK10block_q8_1RKiEEEvS4_S4_PT_iii.has_indirect_call, 0
	.section	.AMDGPU.csdata,"",@progbits
; Kernel info:
; codeLenInByte = 1336
; TotalNumSgprs: 26
; NumVgprs: 46
; ScratchSize: 0
; MemoryBound: 0
; FloatMode: 240
; IeeeMode: 1
; LDSByteSize: 0 bytes/workgroup (compile time only)
; SGPRBlocks: 3
; VGPRBlocks: 11
; NumSGPRsForWavesPerEU: 26
; NumVGPRsForWavesPerEU: 46
; Occupancy: 5
; WaveLimiterHint : 0
; COMPUTE_PGM_RSRC2:SCRATCH_EN: 0
; COMPUTE_PGM_RSRC2:USER_SGPR: 6
; COMPUTE_PGM_RSRC2:TRAP_HANDLER: 0
; COMPUTE_PGM_RSRC2:TGID_X_EN: 1
; COMPUTE_PGM_RSRC2:TGID_Y_EN: 1
; COMPUTE_PGM_RSRC2:TGID_Z_EN: 0
; COMPUTE_PGM_RSRC2:TIDIG_COMP_CNT: 1
	.section	.text._ZL13mul_mat_vec_qIN3c104HalfELi256ELi8E11block_iq2_sLi1EXadL_ZL18vec_dot_iq2_s_q8_1PKvPK10block_q8_1RKiEEEvS4_S4_PT_iii,"axG",@progbits,_ZL13mul_mat_vec_qIN3c104HalfELi256ELi8E11block_iq2_sLi1EXadL_ZL18vec_dot_iq2_s_q8_1PKvPK10block_q8_1RKiEEEvS4_S4_PT_iii,comdat
	.globl	_ZL13mul_mat_vec_qIN3c104HalfELi256ELi8E11block_iq2_sLi1EXadL_ZL18vec_dot_iq2_s_q8_1PKvPK10block_q8_1RKiEEEvS4_S4_PT_iii ; -- Begin function _ZL13mul_mat_vec_qIN3c104HalfELi256ELi8E11block_iq2_sLi1EXadL_ZL18vec_dot_iq2_s_q8_1PKvPK10block_q8_1RKiEEEvS4_S4_PT_iii
	.p2align	8
	.type	_ZL13mul_mat_vec_qIN3c104HalfELi256ELi8E11block_iq2_sLi1EXadL_ZL18vec_dot_iq2_s_q8_1PKvPK10block_q8_1RKiEEEvS4_S4_PT_iii,@function
_ZL13mul_mat_vec_qIN3c104HalfELi256ELi8E11block_iq2_sLi1EXadL_ZL18vec_dot_iq2_s_q8_1PKvPK10block_q8_1RKiEEEvS4_S4_PT_iii: ; @_ZL13mul_mat_vec_qIN3c104HalfELi256ELi8E11block_iq2_sLi1EXadL_ZL18vec_dot_iq2_s_q8_1PKvPK10block_q8_1RKiEEEvS4_S4_PT_iii
; %bb.0:
	s_load_dword s0, s[4:5], 0x34
	s_load_dwordx4 s[8:11], s[4:5], 0x18
	s_waitcnt lgkmcnt(0)
	s_lshr_b32 s0, s0, 16
	s_mul_i32 s6, s6, s0
	v_add_u32_e32 v11, s6, v1
	s_cmp_lt_u32 s7, s10
	v_cmp_gt_u32_e32 vcc, s9, v11
	s_cselect_b64 s[0:1], -1, 0
	s_and_b64 s[0:1], s[0:1], vcc
	s_and_saveexec_b64 s[2:3], s[0:1]
	s_cbranch_execz .LBB94_7
; %bb.1:
	s_load_dwordx2 s[2:3], s[4:5], 0x10
	s_ashr_i32 s0, s8, 31
	s_lshr_b32 s0, s0, 24
	s_add_i32 s0, s8, s0
	s_ashr_i32 s6, s0, 8
	v_lshrrev_b32_e32 v13, 3, v0
	v_cmp_gt_u32_e32 vcc, s6, v13
	v_mov_b32_e32 v12, 0
	s_and_saveexec_b64 s[10:11], vcc
	s_cbranch_execz .LBB94_5
; %bb.2:
	s_load_dwordx4 s[12:15], s[4:5], 0x0
	s_add_i32 s0, s8, 0x1ff
	s_ashr_i32 s1, s0, 31
	s_lshr_b32 s1, s1, 23
	s_add_i32 s0, s0, s1
	s_ashr_i32 s0, s0, 9
	v_and_b32_e32 v15, 7, v0
	s_mul_i32 s4, s7, s0
	v_mul_lo_u32 v14, v11, s6
	s_waitcnt lgkmcnt(0)
	v_mad_u64_u32 v[1:2], s[0:1], v15, 36, s[14:15]
	v_lshlrev_b32_e32 v3, 3, v13
	v_lshl_add_u32 v17, s4, 4, v3
	v_mov_b32_e32 v3, s12
	v_mov_b32_e32 v12, 0
	v_lshlrev_b32_e32 v16, 2, v15
	s_mov_b64 s[4:5], 0
	s_movk_i32 s8, 0x52
	v_mov_b32_e32 v4, s13
	s_movk_i32 s12, 0x300
	s_mov_b32 s13, 0x1010101
	s_mov_b32 s14, 0x1000000
	v_mov_b32_e32 v18, 0xff0000
	v_mov_b32_e32 v19, 0xff00
	;; [unrolled: 1-line block ×3, first 2 shown]
	s_mov_b32 s15, 0xc060c00
	v_mov_b32_e32 v21, 4
.LBB94_3:                               ; =>This Inner Loop Header: Depth=1
	v_add_u32_e32 v7, v14, v13
	v_mad_i64_i32 v[7:8], s[16:17], v7, s8, v[3:4]
	s_getpc_b64 s[0:1]
	s_add_u32 s0, s0, _ZL9iq2s_grid@rel32@lo+4
	s_addc_u32 s1, s1, _ZL9iq2s_grid@rel32@hi+12
	v_mad_i64_i32 v[5:6], s[16:17], v17, 36, v[1:2]
	v_add_co_u32_e32 v9, vcc, v7, v16
	v_addc_co_u32_e32 v10, vcc, 0, v8, vcc
	v_add_co_u32_e32 v24, vcc, v7, v15
	v_addc_co_u32_e32 v25, vcc, 0, v8, vcc
	global_load_ushort v23, v[7:8], off
	global_load_dword v26, v[9:10], off offset:2
	global_load_ubyte v27, v[24:25], off offset:66
	global_load_ubyte v22, v[24:25], off offset:74
	global_load_dword v28, v[9:10], off offset:34
	v_add_u32_e32 v13, 8, v13
	v_add_u32_e32 v17, 64, v17
	s_waitcnt vmcnt(4)
	v_cvt_f32_f16_e32 v23, v23
	s_waitcnt vmcnt(3)
	v_and_b32_e32 v7, 0xff, v26
	s_waitcnt vmcnt(2)
	v_lshlrev_b32_e32 v8, 8, v27
	v_bfe_u32 v9, v26, 8, 8
	v_lshlrev_b32_e32 v10, 6, v27
	s_waitcnt vmcnt(0)
	v_lshrrev_b16_e32 v25, 4, v28
	v_lshrrev_b32_e32 v30, 8, v28
	v_bfe_u32 v29, v28, 8, 4
	v_bfe_u32 v31, v26, 16, 8
	v_lshlrev_b32_e32 v32, 4, v27
	v_lshrrev_b32_e32 v26, 24, v26
	v_lshlrev_b32_e32 v27, 2, v27
	v_and_or_b32 v7, v8, s12, v7
	v_and_or_b32 v8, v10, s12, v9
	v_and_b32_e32 v9, 15, v25
	v_lshrrev_b16_e32 v10, 4, v30
	v_bfe_u32 v33, v28, 16, 4
	v_bfe_u32 v35, v28, 24, 4
	v_mul_lo_u32 v25, v29, s13
	v_and_or_b32 v29, v32, s12, v31
	v_and_or_b32 v26, v27, s12, v26
	v_and_b32_e32 v9, 0xffff, v9
	v_lshlrev_b32_e32 v7, 3, v7
	v_lshlrev_b32_e32 v8, 3, v8
	v_and_b32_e32 v10, 15, v10
	v_mul_lo_u32 v36, v33, s13
	v_mul_lo_u32 v27, v35, s13
	v_lshlrev_b32_e32 v29, 3, v29
	v_lshlrev_b32_e32 v26, 3, v26
	v_mul_lo_u32 v35, v9, s13
	v_and_b32_e32 v37, 0xffff, v10
	global_load_dwordx2 v[30:31], v7, s[0:1]
	global_load_dwordx2 v[32:33], v8, s[0:1]
	global_load_dwordx2 v[9:10], v29, s[0:1]
	s_nop 0
	global_load_dwordx2 v[7:8], v26, s[0:1]
	v_and_b32_e32 v24, 15, v28
	v_bfe_u32 v34, v28, 20, 4
	v_mul_lo_u32 v24, v24, s13
	v_mul_lo_u32 v34, v34, s13
	v_not_b32_e32 v26, v36
	v_not_b32_e32 v25, v25
	;; [unrolled: 1-line block ×4, first 2 shown]
	v_and_b32_e32 v34, 0x8040201, v24
	v_and_b32_e32 v36, 0x40000, v24
	v_cmp_gt_u32_e32 vcc, s14, v34
	v_and_b32_e32 v38, 0x200, v24
	v_cndmask_b32_e64 v34, 0, -1, vcc
	v_cmp_eq_u32_e32 vcc, 0, v36
	v_and_b32_e32 v24, 1, v24
	v_cndmask_b32_e32 v36, 0, v18, vcc
	v_cmp_eq_u32_e32 vcc, 0, v38
	v_and_b32_e32 v39, 0x8040201, v25
	v_cndmask_b32_e32 v38, 0, v19, vcc
	;; [unrolled: 3-line block ×3, first 2 shown]
	v_cmp_gt_u32_e32 vcc, s14, v39
	v_and_b32_e32 v41, 0x200, v25
	v_cndmask_b32_e64 v39, 0, -1, vcc
	v_cmp_eq_u32_e32 vcc, 0, v40
	v_and_b32_e32 v42, 1, v25
	v_cndmask_b32_e32 v24, 0, v18, vcc
	v_cmp_eq_u32_e32 vcc, 0, v41
	v_and_b32_e32 v49, 0x8040201, v26
	v_cndmask_b32_e32 v25, 0, v19, vcc
	v_cmp_eq_u32_e32 vcc, 0, v42
	v_and_b32_e32 v43, 0x40000, v26
	v_and_b32_e32 v44, 0x200, v26
	;; [unrolled: 1-line block ×4, first 2 shown]
	v_cndmask_b32_e32 v26, 0, v20, vcc
	v_cmp_gt_u32_e32 vcc, s14, v49
	v_cndmask_b32_e64 v40, 0, -1, vcc
	v_cmp_gt_u32_e32 vcc, s14, v46
	v_lshrrev_b16_sdwa v28, v21, v28 dst_sel:DWORD dst_unused:UNUSED_PAD src0_sel:DWORD src1_sel:BYTE_3
	v_cndmask_b32_e64 v41, 0, -1, vcc
	v_cmp_eq_u32_e32 vcc, 0, v43
	v_mul_lo_u32 v28, v28, s13
	v_cndmask_b32_e32 v42, 0, v18, vcc
	v_cmp_eq_u32_e32 vcc, 0, v44
	v_and_b32_e32 v47, 0x40000, v29
	v_cndmask_b32_e32 v43, 0, v19, vcc
	v_cmp_eq_u32_e32 vcc, 0, v45
	v_and_b32_e32 v48, 0x200, v29
	v_cndmask_b32_e32 v44, 0, v20, vcc
	v_cmp_eq_u32_e32 vcc, 0, v47
	v_not_b32_e32 v27, v27
	v_and_b32_e32 v29, 1, v29
	v_cndmask_b32_e32 v45, 0, v18, vcc
	v_cmp_eq_u32_e32 vcc, 0, v48
	v_not_b32_e32 v28, v28
	v_and_b32_e32 v50, 0x40000, v27
	v_and_b32_e32 v51, 0x200, v27
	;; [unrolled: 1-line block ×4, first 2 shown]
	v_cndmask_b32_e32 v46, 0, v19, vcc
	v_cmp_eq_u32_e32 vcc, 0, v29
	v_and_b32_e32 v53, 0x40000, v28
	v_and_b32_e32 v54, 0x200, v28
	;; [unrolled: 1-line block ×4, first 2 shown]
	v_cndmask_b32_e32 v47, 0, v20, vcc
	v_cmp_gt_u32_e32 vcc, s14, v27
	v_cndmask_b32_e64 v48, 0, -1, vcc
	v_cmp_gt_u32_e32 vcc, s14, v28
	v_cndmask_b32_e64 v49, 0, -1, vcc
	v_cmp_eq_u32_e32 vcc, 0, v50
	v_cndmask_b32_e32 v50, 0, v18, vcc
	v_cmp_eq_u32_e32 vcc, 0, v51
	v_cndmask_b32_e32 v51, 0, v19, vcc
	;; [unrolled: 2-line block ×3, first 2 shown]
	v_cmp_eq_u32_e32 vcc, 0, v53
	v_mul_lo_u32 v37, v37, s13
	v_not_b32_e32 v35, v35
	v_cndmask_b32_e32 v27, 0, v18, vcc
	v_cmp_eq_u32_e32 vcc, 0, v54
	v_cndmask_b32_e32 v28, 0, v19, vcc
	v_cmp_eq_u32_e32 vcc, 0, v55
	v_and_b32_e32 v53, 0x8040201, v35
	v_cndmask_b32_e32 v29, 0, v20, vcc
	v_and_b32_e32 v54, 0x40000, v35
	v_cmp_gt_u32_e32 vcc, s14, v53
	v_and_b32_e32 v55, 0x200, v35
	v_cndmask_b32_e64 v53, 0, -1, vcc
	v_cmp_eq_u32_e32 vcc, 0, v54
	v_and_b32_e32 v35, 1, v35
	v_not_b32_e32 v37, v37
	v_cndmask_b32_e32 v54, 0, v18, vcc
	v_cmp_eq_u32_e32 vcc, 0, v55
	v_cndmask_b32_e32 v55, 0, v19, vcc
	v_cmp_eq_u32_e32 vcc, 0, v35
	v_and_b32_e32 v59, 0x8040201, v37
	v_cndmask_b32_e32 v35, 0, v20, vcc
	v_and_b32_e32 v60, 0x40000, v37
	v_and_b32_e32 v61, 0x200, v37
	v_and_b32_e32 v37, 1, v37
	v_cmp_gt_u32_e64 s[0:1], s14, v59
	v_lshlrev_b32_e32 v53, 24, v53
	v_cmp_eq_u32_e32 vcc, 0, v37
	v_or_b32_e32 v37, v55, v35
	v_cndmask_b32_e64 v59, 0, -1, s[0:1]
	v_cmp_eq_u32_e64 s[0:1], 0, v60
	v_lshlrev_b32_e32 v34, 24, v34
	v_or_b32_e32 v57, v38, v56
	v_cndmask_b32_e64 v60, 0, v18, s[0:1]
	v_cmp_eq_u32_e64 s[0:1], 0, v61
	v_or3_b32 v37, v37, v54, v53
	v_lshlrev_b32_e32 v39, 24, v39
	v_or_b32_e32 v58, v25, v26
	v_or3_b32 v57, v57, v36, v34
	v_cndmask_b32_e64 v61, 0, v19, s[0:1]
	s_waitcnt vmcnt(3)
	v_xor_b32_e32 v31, v37, v31
	v_cndmask_b32_e32 v37, 0, v20, vcc
	v_or3_b32 v58, v58, v24, v39
	v_xor_b32_e32 v30, v57, v30
	v_lshlrev_b32_e32 v57, 24, v59
	v_or_b32_e32 v59, v61, v37
	v_lshlrev_b32_e32 v40, 24, v40
	v_or3_b32 v59, v59, v60, v57
	s_waitcnt vmcnt(2)
	v_xor_b32_e32 v58, v58, v32
	v_or_b32_e32 v32, v43, v44
	v_lshlrev_b32_e32 v41, 24, v41
	v_xor_b32_e32 v59, v59, v33
	v_or_b32_e32 v33, v46, v47
	v_or3_b32 v32, v32, v42, v40
	v_lshlrev_b32_e32 v48, 24, v48
	v_or3_b32 v33, v33, v45, v41
	s_waitcnt vmcnt(1)
	v_xor_b32_e32 v9, v32, v9
	v_or_b32_e32 v32, v51, v52
	v_lshlrev_b32_e32 v49, 24, v49
	v_xor_b32_e32 v10, v33, v10
	v_or_b32_e32 v33, v28, v29
	v_or3_b32 v32, v32, v50, v48
	v_or3_b32 v33, v33, v27, v49
	s_waitcnt vmcnt(0)
	v_xor_b32_e32 v32, v32, v7
	v_xor_b32_e32 v62, v33, v8
	v_sub_u32_e32 v40, v9, v40
	v_sub_u32_e32 v42, v9, v42
	;; [unrolled: 1-line block ×8, first 2 shown]
	global_load_dwordx4 v[7:10], v[5:6], off offset:16
	v_sub_u32_e32 v48, v32, v48
	v_sub_u32_e32 v50, v32, v50
	;; [unrolled: 1-line block ×12, first 2 shown]
	global_load_dwordx4 v[30:33], v[5:6], off
	global_load_dword v63, v[5:6], off offset:32
	v_sub_u32_e32 v6, v58, v24
	v_sub_u32_e32 v24, v58, v25
	;; [unrolled: 1-line block ×3, first 2 shown]
	v_perm_b32 v42, v42, v44, s15
	v_and_b32_e32 v40, 0xff000000, v40
	v_and_b32_e32 v43, 0xff00, v43
	v_perm_b32 v36, v36, v56, s15
	v_perm_b32 v6, v6, v25, s15
	v_and_b32_e32 v25, 0xff000000, v34
	v_and_b32_e32 v34, 0xff00, v38
	v_sub_u32_e32 v5, v58, v39
	v_perm_b32 v44, v45, v47, s15
	v_and_b32_e32 v41, 0xff000000, v41
	v_and_b32_e32 v45, 0xff00, v46
	v_perm_b32 v46, v50, v52, s15
	v_perm_b32 v35, v54, v35, s15
	v_and_b32_e32 v38, 0xff000000, v53
	v_and_b32_e32 v50, 0xff00, v55
	v_or3_b32 v40, v42, v40, v43
	v_or3_b32 v25, v36, v25, v34
	v_sub_u32_e32 v39, v59, v60
	v_sub_u32_e32 v37, v59, v37
	v_sub_u32_e32 v49, v62, v49
	v_sub_u32_e32 v27, v62, v27
	v_sub_u32_e32 v28, v62, v28
	v_sub_u32_e32 v29, v62, v29
	v_and_b32_e32 v47, 0xff000000, v48
	v_and_b32_e32 v48, 0xff00, v51
	;; [unrolled: 1-line block ×4, first 2 shown]
	v_or3_b32 v41, v44, v41, v45
	v_or3_b32 v34, v35, v38, v50
	v_perm_b32 v37, v39, v37, s15
	v_perm_b32 v27, v27, v29, s15
	v_and_b32_e32 v29, 0xff000000, v49
	v_and_b32_e32 v28, 0xff00, v28
	v_or3_b32 v42, v46, v47, v48
	v_or3_b32 v5, v6, v5, v24
	;; [unrolled: 1-line block ×3, first 2 shown]
	v_lshrrev_b16_e32 v58, 4, v22
	v_and_b32_e32 v22, 15, v22
	v_cvt_f32_ubyte0_e32 v58, v58
	v_cvt_f32_ubyte0_e32 v22, v22
	v_add_f32_e32 v58, 0.5, v58
	v_add_f32_e32 v22, 0.5, v22
	v_cmp_le_u32_e32 vcc, s6, v13
	s_or_b64 s[4:5], vcc, s[4:5]
	s_waitcnt vmcnt(2)
	v_dot4_i32_i8 v8, v40, v8, 0
	v_dot4_i32_i8 v8, v41, v9, v8
	v_dot4_i32_i8 v8, v42, v10, v8
	s_waitcnt vmcnt(1)
	v_cvt_f32_f16_e32 v26, v30
	v_sub_u32_e32 v30, v59, v57
	v_sub_u32_e32 v57, v59, v61
	v_dot4_i32_i8 v25, v25, v31, 0
	v_and_b32_e32 v30, 0xff000000, v30
	v_and_b32_e32 v39, 0xff00, v57
	v_dot4_i32_i8 v9, v34, v32, v25
	v_or3_b32 v6, v37, v30, v39
	v_dot4_i32_i8 v5, v5, v33, v9
	v_dot4_i32_i8 v5, v6, v7, v5
	s_waitcnt vmcnt(0)
	v_dot4_i32_i8 v6, v24, v63, v8
	v_cvt_f32_i32_e32 v6, v6
	v_cvt_f32_i32_e32 v5, v5
	v_mul_f32_e32 v7, v23, v26
	v_mul_f32_e32 v7, 0x3e800000, v7
	;; [unrolled: 1-line block ×3, first 2 shown]
	v_fmac_f32_e32 v6, v22, v5
	v_fmac_f32_e32 v12, v7, v6
	s_andn2_b64 exec, exec, s[4:5]
	s_cbranch_execnz .LBB94_3
; %bb.4:
	s_or_b64 exec, exec, s[4:5]
.LBB94_5:
	s_or_b64 exec, exec, s[10:11]
	v_mbcnt_lo_u32_b32 v1, -1, 0
	v_mbcnt_hi_u32_b32 v2, -1, v1
	v_and_b32_e32 v1, 64, v2
	v_add_u32_e32 v3, 64, v1
	v_xor_b32_e32 v1, 32, v2
	v_cmp_lt_i32_e32 vcc, v1, v3
	v_cndmask_b32_e32 v1, v2, v1, vcc
	v_lshlrev_b32_e32 v1, 2, v1
	ds_bpermute_b32 v1, v1, v12
	v_xor_b32_e32 v4, 16, v2
	v_cmp_lt_i32_e32 vcc, v4, v3
	v_cndmask_b32_e32 v4, v2, v4, vcc
	v_lshlrev_b32_e32 v4, 2, v4
	s_waitcnt lgkmcnt(0)
	v_add_f32_e32 v1, v12, v1
	ds_bpermute_b32 v4, v4, v1
	v_xor_b32_e32 v5, 8, v2
	v_cmp_lt_i32_e32 vcc, v5, v3
	s_waitcnt lgkmcnt(0)
	v_add_f32_e32 v1, v1, v4
	v_cndmask_b32_e32 v4, v2, v5, vcc
	v_lshlrev_b32_e32 v4, 2, v4
	ds_bpermute_b32 v4, v4, v1
	v_xor_b32_e32 v5, 4, v2
	v_cmp_lt_i32_e32 vcc, v5, v3
	s_waitcnt lgkmcnt(0)
	v_add_f32_e32 v1, v1, v4
	v_cndmask_b32_e32 v4, v2, v5, vcc
	v_lshlrev_b32_e32 v4, 2, v4
	;; [unrolled: 7-line block ×3, first 2 shown]
	ds_bpermute_b32 v4, v4, v1
	v_xor_b32_e32 v5, 1, v2
	v_cmp_lt_i32_e32 vcc, v5, v3
	v_cndmask_b32_e32 v2, v2, v5, vcc
	v_lshlrev_b32_e32 v2, 2, v2
	s_waitcnt lgkmcnt(0)
	v_add_f32_e32 v1, v1, v4
	ds_bpermute_b32 v2, v2, v1
	v_cmp_eq_u32_e32 vcc, 0, v0
	s_and_b64 exec, exec, vcc
	s_cbranch_execz .LBB94_7
; %bb.6:
	s_waitcnt lgkmcnt(0)
	v_add_f32_e32 v0, v1, v2
	s_mul_i32 s0, s9, s7
	v_cvt_f16_f32_e32 v2, v0
	v_add_u32_e32 v0, s0, v11
	v_mov_b32_e32 v1, 0
	v_lshlrev_b64 v[0:1], 1, v[0:1]
	v_mov_b32_e32 v3, s3
	v_add_co_u32_e32 v0, vcc, s2, v0
	v_addc_co_u32_e32 v1, vcc, v3, v1, vcc
	global_store_short v[0:1], v2, off
.LBB94_7:
	s_endpgm
	.section	.rodata,"a",@progbits
	.p2align	6, 0x0
	.amdhsa_kernel _ZL13mul_mat_vec_qIN3c104HalfELi256ELi8E11block_iq2_sLi1EXadL_ZL18vec_dot_iq2_s_q8_1PKvPK10block_q8_1RKiEEEvS4_S4_PT_iii
		.amdhsa_group_segment_fixed_size 0
		.amdhsa_private_segment_fixed_size 0
		.amdhsa_kernarg_size 296
		.amdhsa_user_sgpr_count 6
		.amdhsa_user_sgpr_private_segment_buffer 1
		.amdhsa_user_sgpr_dispatch_ptr 0
		.amdhsa_user_sgpr_queue_ptr 0
		.amdhsa_user_sgpr_kernarg_segment_ptr 1
		.amdhsa_user_sgpr_dispatch_id 0
		.amdhsa_user_sgpr_flat_scratch_init 0
		.amdhsa_user_sgpr_private_segment_size 0
		.amdhsa_uses_dynamic_stack 0
		.amdhsa_system_sgpr_private_segment_wavefront_offset 0
		.amdhsa_system_sgpr_workgroup_id_x 1
		.amdhsa_system_sgpr_workgroup_id_y 1
		.amdhsa_system_sgpr_workgroup_id_z 0
		.amdhsa_system_sgpr_workgroup_info 0
		.amdhsa_system_vgpr_workitem_id 1
		.amdhsa_next_free_vgpr 64
		.amdhsa_next_free_sgpr 18
		.amdhsa_reserve_vcc 1
		.amdhsa_reserve_flat_scratch 0
		.amdhsa_float_round_mode_32 0
		.amdhsa_float_round_mode_16_64 0
		.amdhsa_float_denorm_mode_32 3
		.amdhsa_float_denorm_mode_16_64 3
		.amdhsa_dx10_clamp 1
		.amdhsa_ieee_mode 1
		.amdhsa_fp16_overflow 0
		.amdhsa_exception_fp_ieee_invalid_op 0
		.amdhsa_exception_fp_denorm_src 0
		.amdhsa_exception_fp_ieee_div_zero 0
		.amdhsa_exception_fp_ieee_overflow 0
		.amdhsa_exception_fp_ieee_underflow 0
		.amdhsa_exception_fp_ieee_inexact 0
		.amdhsa_exception_int_div_zero 0
	.end_amdhsa_kernel
	.section	.text._ZL13mul_mat_vec_qIN3c104HalfELi256ELi8E11block_iq2_sLi1EXadL_ZL18vec_dot_iq2_s_q8_1PKvPK10block_q8_1RKiEEEvS4_S4_PT_iii,"axG",@progbits,_ZL13mul_mat_vec_qIN3c104HalfELi256ELi8E11block_iq2_sLi1EXadL_ZL18vec_dot_iq2_s_q8_1PKvPK10block_q8_1RKiEEEvS4_S4_PT_iii,comdat
.Lfunc_end94:
	.size	_ZL13mul_mat_vec_qIN3c104HalfELi256ELi8E11block_iq2_sLi1EXadL_ZL18vec_dot_iq2_s_q8_1PKvPK10block_q8_1RKiEEEvS4_S4_PT_iii, .Lfunc_end94-_ZL13mul_mat_vec_qIN3c104HalfELi256ELi8E11block_iq2_sLi1EXadL_ZL18vec_dot_iq2_s_q8_1PKvPK10block_q8_1RKiEEEvS4_S4_PT_iii
                                        ; -- End function
	.set _ZL13mul_mat_vec_qIN3c104HalfELi256ELi8E11block_iq2_sLi1EXadL_ZL18vec_dot_iq2_s_q8_1PKvPK10block_q8_1RKiEEEvS4_S4_PT_iii.num_vgpr, 64
	.set _ZL13mul_mat_vec_qIN3c104HalfELi256ELi8E11block_iq2_sLi1EXadL_ZL18vec_dot_iq2_s_q8_1PKvPK10block_q8_1RKiEEEvS4_S4_PT_iii.num_agpr, 0
	.set _ZL13mul_mat_vec_qIN3c104HalfELi256ELi8E11block_iq2_sLi1EXadL_ZL18vec_dot_iq2_s_q8_1PKvPK10block_q8_1RKiEEEvS4_S4_PT_iii.numbered_sgpr, 18
	.set _ZL13mul_mat_vec_qIN3c104HalfELi256ELi8E11block_iq2_sLi1EXadL_ZL18vec_dot_iq2_s_q8_1PKvPK10block_q8_1RKiEEEvS4_S4_PT_iii.num_named_barrier, 0
	.set _ZL13mul_mat_vec_qIN3c104HalfELi256ELi8E11block_iq2_sLi1EXadL_ZL18vec_dot_iq2_s_q8_1PKvPK10block_q8_1RKiEEEvS4_S4_PT_iii.private_seg_size, 0
	.set _ZL13mul_mat_vec_qIN3c104HalfELi256ELi8E11block_iq2_sLi1EXadL_ZL18vec_dot_iq2_s_q8_1PKvPK10block_q8_1RKiEEEvS4_S4_PT_iii.uses_vcc, 1
	.set _ZL13mul_mat_vec_qIN3c104HalfELi256ELi8E11block_iq2_sLi1EXadL_ZL18vec_dot_iq2_s_q8_1PKvPK10block_q8_1RKiEEEvS4_S4_PT_iii.uses_flat_scratch, 0
	.set _ZL13mul_mat_vec_qIN3c104HalfELi256ELi8E11block_iq2_sLi1EXadL_ZL18vec_dot_iq2_s_q8_1PKvPK10block_q8_1RKiEEEvS4_S4_PT_iii.has_dyn_sized_stack, 0
	.set _ZL13mul_mat_vec_qIN3c104HalfELi256ELi8E11block_iq2_sLi1EXadL_ZL18vec_dot_iq2_s_q8_1PKvPK10block_q8_1RKiEEEvS4_S4_PT_iii.has_recursion, 0
	.set _ZL13mul_mat_vec_qIN3c104HalfELi256ELi8E11block_iq2_sLi1EXadL_ZL18vec_dot_iq2_s_q8_1PKvPK10block_q8_1RKiEEEvS4_S4_PT_iii.has_indirect_call, 0
	.section	.AMDGPU.csdata,"",@progbits
; Kernel info:
; codeLenInByte = 2232
; TotalNumSgprs: 22
; NumVgprs: 64
; ScratchSize: 0
; MemoryBound: 0
; FloatMode: 240
; IeeeMode: 1
; LDSByteSize: 0 bytes/workgroup (compile time only)
; SGPRBlocks: 2
; VGPRBlocks: 15
; NumSGPRsForWavesPerEU: 22
; NumVGPRsForWavesPerEU: 64
; Occupancy: 4
; WaveLimiterHint : 0
; COMPUTE_PGM_RSRC2:SCRATCH_EN: 0
; COMPUTE_PGM_RSRC2:USER_SGPR: 6
; COMPUTE_PGM_RSRC2:TRAP_HANDLER: 0
; COMPUTE_PGM_RSRC2:TGID_X_EN: 1
; COMPUTE_PGM_RSRC2:TGID_Y_EN: 1
; COMPUTE_PGM_RSRC2:TGID_Z_EN: 0
; COMPUTE_PGM_RSRC2:TIDIG_COMP_CNT: 1
	.section	.text._ZL13mul_mat_vec_qIN3c104HalfELi256ELi8E12block_iq4_xsLi1EXadL_ZL19vec_dot_iq4_xs_q8_1PKvPK10block_q8_1RKiEEEvS4_S4_PT_iii,"axG",@progbits,_ZL13mul_mat_vec_qIN3c104HalfELi256ELi8E12block_iq4_xsLi1EXadL_ZL19vec_dot_iq4_xs_q8_1PKvPK10block_q8_1RKiEEEvS4_S4_PT_iii,comdat
	.globl	_ZL13mul_mat_vec_qIN3c104HalfELi256ELi8E12block_iq4_xsLi1EXadL_ZL19vec_dot_iq4_xs_q8_1PKvPK10block_q8_1RKiEEEvS4_S4_PT_iii ; -- Begin function _ZL13mul_mat_vec_qIN3c104HalfELi256ELi8E12block_iq4_xsLi1EXadL_ZL19vec_dot_iq4_xs_q8_1PKvPK10block_q8_1RKiEEEvS4_S4_PT_iii
	.p2align	8
	.type	_ZL13mul_mat_vec_qIN3c104HalfELi256ELi8E12block_iq4_xsLi1EXadL_ZL19vec_dot_iq4_xs_q8_1PKvPK10block_q8_1RKiEEEvS4_S4_PT_iii,@function
_ZL13mul_mat_vec_qIN3c104HalfELi256ELi8E12block_iq4_xsLi1EXadL_ZL19vec_dot_iq4_xs_q8_1PKvPK10block_q8_1RKiEEEvS4_S4_PT_iii: ; @_ZL13mul_mat_vec_qIN3c104HalfELi256ELi8E12block_iq4_xsLi1EXadL_ZL19vec_dot_iq4_xs_q8_1PKvPK10block_q8_1RKiEEEvS4_S4_PT_iii
; %bb.0:
	s_load_dword s8, s[4:5], 0x34
	s_load_dwordx4 s[0:3], s[4:5], 0x18
	s_waitcnt lgkmcnt(0)
	s_lshr_b32 s3, s8, 16
	s_mul_i32 s6, s6, s3
	v_add_u32_e32 v7, s6, v1
	s_cmp_lt_u32 s7, s2
	v_cmp_gt_u32_e32 vcc, s1, v7
	s_cselect_b64 s[2:3], -1, 0
	s_and_b64 s[2:3], s[2:3], vcc
	s_and_saveexec_b64 s[8:9], s[2:3]
	s_cbranch_execz .LBB95_7
; %bb.1:
	s_load_dwordx2 s[2:3], s[4:5], 0x10
	s_ashr_i32 s6, s0, 31
	s_lshr_b32 s6, s6, 24
	s_add_i32 s6, s0, s6
	s_ashr_i32 s6, s6, 8
	v_lshrrev_b32_e32 v9, 3, v0
	v_cmp_gt_u32_e32 vcc, s6, v9
	v_mov_b32_e32 v8, 0
	s_and_saveexec_b64 s[8:9], vcc
	s_cbranch_execz .LBB95_5
; %bb.2:
	s_load_dwordx4 s[12:15], s[4:5], 0x0
	s_addk_i32 s0, 0x1ff
	s_ashr_i32 s4, s0, 31
	s_lshr_b32 s4, s4, 23
	s_add_i32 s0, s0, s4
	v_and_b32_e32 v3, 7, v0
	s_ashr_i32 s0, s0, 9
	v_mul_lo_u32 v10, v7, s6
	s_waitcnt lgkmcnt(0)
	v_mad_u64_u32 v[1:2], s[4:5], v3, 36, s[14:15]
	s_mul_i32 s0, s7, s0
	v_lshlrev_b32_e32 v5, 2, v3
	v_lshlrev_b32_e32 v4, 2, v0
	;; [unrolled: 1-line block ×4, first 2 shown]
	v_and_b32_e32 v12, 4, v4
	v_lshl_add_u32 v14, s0, 4, v3
	v_mov_b32_e32 v3, s12
	v_mov_b32_e32 v8, 0
	v_bfe_u32 v11, v0, 1, 2
	s_mov_b64 s[4:5], 0
	s_movk_i32 s0, 0x88
	v_mov_b32_e32 v4, s13
	v_lshlrev_b32_e32 v15, 2, v5
	s_getpc_b64 s[10:11]
	s_add_u32 s10, s10, _ZL13kvalues_iq4nl@rel32@lo+4
	s_addc_u32 s11, s11, _ZL13kvalues_iq4nl@rel32@hi+12
.LBB95_3:                               ; =>This Inner Loop Header: Depth=1
	v_add_u32_e32 v5, v10, v9
	v_mad_i64_i32 v[5:6], s[12:13], v5, s0, v[3:4]
	v_mad_i64_i32 v[28:29], s[12:13], v14, 36, v[1:2]
	v_add_co_u32_e32 v16, vcc, v5, v15
	v_addc_co_u32_e32 v17, vcc, 0, v6, vcc
	global_load_dwordx4 v[16:19], v[16:17], off offset:8
	v_add_u32_e32 v9, 8, v9
	v_add_u32_e32 v14, 64, v14
	s_waitcnt vmcnt(0)
	v_and_b32_e32 v21, 15, v16
	v_bfe_u32 v22, v16, 8, 4
	global_load_ubyte v23, v21, s[10:11]
	global_load_ubyte v24, v22, s[10:11]
	v_bfe_u32 v20, v16, 24, 4
	v_bfe_u32 v22, v16, 16, 4
	s_waitcnt vmcnt(0)
	v_lshl_or_b32 v21, v24, 8, v23
	global_load_ubyte v23, v20, s[10:11]
	global_load_ubyte v24, v22, s[10:11]
	s_waitcnt vmcnt(1)
	v_lshlrev_b32_e32 v20, 24, v23
	s_waitcnt vmcnt(0)
	v_lshlrev_b32_e32 v22, 16, v24
	v_or3_b32 v24, v21, v22, v20
	v_bfe_u32 v20, v16, 4, 4
	v_bfe_u32 v21, v16, 12, 4
	global_load_ubyte v22, v20, s[10:11]
	global_load_ubyte v23, v21, s[10:11]
	v_lshrrev_b32_e32 v21, 28, v16
	v_bfe_u32 v16, v16, 20, 4
	global_load_ubyte v21, v21, s[10:11]
	s_waitcnt vmcnt(1)
	v_lshl_or_b32 v20, v23, 8, v22
	v_bfe_u32 v22, v17, 16, 4
	global_load_ubyte v22, v22, s[10:11]
	s_waitcnt vmcnt(0)
	v_lshlrev_b32_e32 v22, 16, v22
	global_load_ubyte v16, v16, s[10:11]
	v_lshlrev_b32_e32 v21, 24, v21
	s_waitcnt vmcnt(0)
	v_lshlrev_b32_e32 v16, 16, v16
	v_or3_b32 v16, v20, v16, v21
	v_and_b32_e32 v20, 15, v17
	v_bfe_u32 v21, v17, 8, 4
	global_load_ubyte v20, v20, s[10:11]
	s_nop 0
	global_load_ubyte v21, v21, s[10:11]
	s_waitcnt vmcnt(0)
	v_lshl_or_b32 v20, v21, 8, v20
	v_bfe_u32 v21, v17, 24, 4
	global_load_ubyte v21, v21, s[10:11]
	s_waitcnt vmcnt(0)
	v_lshlrev_b32_e32 v21, 24, v21
	v_or3_b32 v25, v20, v22, v21
	v_bfe_u32 v20, v17, 4, 4
	v_bfe_u32 v21, v17, 12, 4
	global_load_ubyte v20, v20, s[10:11]
	v_bfe_u32 v22, v18, 16, 4
	global_load_ubyte v21, v21, s[10:11]
	s_nop 0
	global_load_ubyte v22, v22, s[10:11]
	s_waitcnt vmcnt(1)
	v_lshl_or_b32 v20, v21, 8, v20
	v_lshrrev_b32_e32 v21, 28, v17
	v_bfe_u32 v17, v17, 20, 4
	global_load_ubyte v21, v21, s[10:11]
	s_waitcnt vmcnt(1)
	v_lshlrev_b32_e32 v22, 16, v22
	global_load_ubyte v17, v17, s[10:11]
	s_waitcnt vmcnt(1)
	v_lshlrev_b32_e32 v21, 24, v21
	s_waitcnt vmcnt(0)
	v_lshlrev_b32_e32 v17, 16, v17
	v_or3_b32 v17, v20, v17, v21
	v_and_b32_e32 v20, 15, v18
	v_bfe_u32 v21, v18, 8, 4
	global_load_ubyte v20, v20, s[10:11]
	s_nop 0
	global_load_ubyte v21, v21, s[10:11]
	s_waitcnt vmcnt(0)
	v_lshl_or_b32 v20, v21, 8, v20
	v_bfe_u32 v21, v18, 24, 4
	global_load_ubyte v21, v21, s[10:11]
	s_waitcnt vmcnt(0)
	v_lshlrev_b32_e32 v21, 24, v21
	v_or3_b32 v30, v20, v22, v21
	v_bfe_u32 v20, v18, 4, 4
	v_bfe_u32 v21, v18, 12, 4
	global_load_ubyte v20, v20, s[10:11]
	v_bfe_u32 v22, v19, 16, 4
	global_load_ubyte v21, v21, s[10:11]
	s_nop 0
	global_load_ubyte v22, v22, s[10:11]
	s_waitcnt vmcnt(1)
	v_lshl_or_b32 v20, v21, 8, v20
	v_lshrrev_b32_e32 v21, 28, v18
	v_bfe_u32 v18, v18, 20, 4
	global_load_ubyte v21, v21, s[10:11]
	s_waitcnt vmcnt(1)
	v_lshlrev_b32_e32 v22, 16, v22
	global_load_ubyte v18, v18, s[10:11]
	s_waitcnt vmcnt(1)
	v_lshlrev_b32_e32 v21, 24, v21
	s_waitcnt vmcnt(0)
	v_lshlrev_b32_e32 v18, 16, v18
	v_or3_b32 v18, v20, v18, v21
	v_and_b32_e32 v20, 15, v19
	v_bfe_u32 v21, v19, 8, 4
	global_load_ubyte v20, v20, s[10:11]
	s_nop 0
	global_load_ubyte v21, v21, s[10:11]
	s_waitcnt vmcnt(0)
	v_lshl_or_b32 v20, v21, 8, v20
	v_bfe_u32 v21, v19, 24, 4
	global_load_ubyte v21, v21, s[10:11]
	s_waitcnt vmcnt(0)
	v_lshlrev_b32_e32 v21, 24, v21
	v_or3_b32 v31, v20, v22, v21
	global_load_dwordx4 v[20:23], v[28:29], off
	s_waitcnt vmcnt(0)
	v_dot4_i32_i8 v21, v24, v21, 0
	v_dot4_i32_i8 v21, v25, v22, v21
	global_load_dwordx4 v[24:27], v[28:29], off offset:16
	v_dot4_i32_i8 v21, v30, v23, v21
	v_bfe_u32 v22, v19, 4, 4
	v_bfe_u32 v23, v19, 12, 4
	s_waitcnt vmcnt(0)
	v_dot4_i32_i8 v16, v16, v25, 0
	v_dot4_i32_i8 v16, v17, v26, v16
	v_add_co_u32_e32 v25, vcc, v5, v11
	v_dot4_i32_i8 v17, v18, v27, v16
	v_dot4_i32_i8 v18, v31, v24, v21
	v_cvt_f32_f16_e32 v16, v20
	v_bfe_u32 v20, v19, 20, 4
	v_lshrrev_b32_e32 v21, 28, v19
	global_load_dword v19, v[28:29], off offset:32
	v_addc_co_u32_e32 v26, vcc, 0, v6, vcc
	global_load_dword v24, v[5:6], off
	global_load_ubyte v27, v[25:26], off offset:4
	v_cmp_le_u32_e32 vcc, s6, v9
	s_or_b64 s[4:5], vcc, s[4:5]
	s_waitcnt vmcnt(1)
	v_lshrrev_b32_sdwa v5, v13, v24 dst_sel:DWORD dst_unused:UNUSED_PAD src0_sel:DWORD src1_sel:WORD_1
	v_lshlrev_b32_e32 v5, 4, v5
	s_waitcnt vmcnt(0)
	v_bfe_u32 v6, v27, v12, 4
	v_and_or_b32 v5, v5, 48, v6
	global_load_ubyte v6, v22, s[10:11]
	global_load_ubyte v25, v23, s[10:11]
	s_nop 0
	global_load_ubyte v22, v21, s[10:11]
	global_load_ubyte v23, v20, s[10:11]
	v_subrev_u32_e32 v5, 32, v5
	v_cvt_f32_f16_e32 v20, v24
	v_cvt_f32_i32_e32 v5, v5
	v_mul_f32_e32 v5, v20, v5
	v_mul_f32_e32 v5, v5, v16
	s_waitcnt vmcnt(2)
	v_lshl_or_b32 v6, v25, 8, v6
	s_waitcnt vmcnt(1)
	v_lshlrev_b32_e32 v21, 24, v22
	s_waitcnt vmcnt(0)
	v_lshlrev_b32_e32 v22, 16, v23
	v_or3_b32 v6, v6, v22, v21
	v_dot4_i32_i8 v6, v6, v19, v17
	v_add_u32_e32 v6, v6, v18
	v_cvt_f32_i32_e32 v6, v6
	v_fmac_f32_e32 v8, v5, v6
	s_andn2_b64 exec, exec, s[4:5]
	s_cbranch_execnz .LBB95_3
; %bb.4:
	s_or_b64 exec, exec, s[4:5]
.LBB95_5:
	s_or_b64 exec, exec, s[8:9]
	v_mbcnt_lo_u32_b32 v1, -1, 0
	v_mbcnt_hi_u32_b32 v2, -1, v1
	v_and_b32_e32 v1, 64, v2
	v_add_u32_e32 v3, 64, v1
	v_xor_b32_e32 v1, 32, v2
	v_cmp_lt_i32_e32 vcc, v1, v3
	v_cndmask_b32_e32 v1, v2, v1, vcc
	v_lshlrev_b32_e32 v1, 2, v1
	ds_bpermute_b32 v1, v1, v8
	v_xor_b32_e32 v4, 16, v2
	v_cmp_lt_i32_e32 vcc, v4, v3
	v_cndmask_b32_e32 v4, v2, v4, vcc
	v_lshlrev_b32_e32 v4, 2, v4
	s_waitcnt lgkmcnt(0)
	v_add_f32_e32 v1, v8, v1
	ds_bpermute_b32 v4, v4, v1
	v_xor_b32_e32 v5, 8, v2
	v_cmp_lt_i32_e32 vcc, v5, v3
	s_waitcnt lgkmcnt(0)
	v_add_f32_e32 v1, v1, v4
	v_cndmask_b32_e32 v4, v2, v5, vcc
	v_lshlrev_b32_e32 v4, 2, v4
	ds_bpermute_b32 v4, v4, v1
	v_xor_b32_e32 v5, 4, v2
	v_cmp_lt_i32_e32 vcc, v5, v3
	s_waitcnt lgkmcnt(0)
	v_add_f32_e32 v1, v1, v4
	v_cndmask_b32_e32 v4, v2, v5, vcc
	v_lshlrev_b32_e32 v4, 2, v4
	ds_bpermute_b32 v4, v4, v1
	v_xor_b32_e32 v5, 2, v2
	v_cmp_lt_i32_e32 vcc, v5, v3
	s_waitcnt lgkmcnt(0)
	v_add_f32_e32 v1, v1, v4
	v_cndmask_b32_e32 v4, v2, v5, vcc
	v_lshlrev_b32_e32 v4, 2, v4
	ds_bpermute_b32 v4, v4, v1
	v_xor_b32_e32 v5, 1, v2
	v_cmp_lt_i32_e32 vcc, v5, v3
	v_cndmask_b32_e32 v2, v2, v5, vcc
	v_lshlrev_b32_e32 v2, 2, v2
	s_waitcnt lgkmcnt(0)
	v_add_f32_e32 v1, v1, v4
	ds_bpermute_b32 v2, v2, v1
	v_cmp_eq_u32_e32 vcc, 0, v0
	s_and_b64 exec, exec, vcc
	s_cbranch_execz .LBB95_7
; %bb.6:
	s_waitcnt lgkmcnt(0)
	v_add_f32_e32 v0, v1, v2
	s_mul_i32 s0, s1, s7
	v_cvt_f16_f32_e32 v2, v0
	v_add_u32_e32 v0, s0, v7
	v_mov_b32_e32 v1, 0
	v_lshlrev_b64 v[0:1], 1, v[0:1]
	v_mov_b32_e32 v3, s3
	v_add_co_u32_e32 v0, vcc, s2, v0
	v_addc_co_u32_e32 v1, vcc, v3, v1, vcc
	global_store_short v[0:1], v2, off
.LBB95_7:
	s_endpgm
	.section	.rodata,"a",@progbits
	.p2align	6, 0x0
	.amdhsa_kernel _ZL13mul_mat_vec_qIN3c104HalfELi256ELi8E12block_iq4_xsLi1EXadL_ZL19vec_dot_iq4_xs_q8_1PKvPK10block_q8_1RKiEEEvS4_S4_PT_iii
		.amdhsa_group_segment_fixed_size 0
		.amdhsa_private_segment_fixed_size 0
		.amdhsa_kernarg_size 296
		.amdhsa_user_sgpr_count 6
		.amdhsa_user_sgpr_private_segment_buffer 1
		.amdhsa_user_sgpr_dispatch_ptr 0
		.amdhsa_user_sgpr_queue_ptr 0
		.amdhsa_user_sgpr_kernarg_segment_ptr 1
		.amdhsa_user_sgpr_dispatch_id 0
		.amdhsa_user_sgpr_flat_scratch_init 0
		.amdhsa_user_sgpr_private_segment_size 0
		.amdhsa_uses_dynamic_stack 0
		.amdhsa_system_sgpr_private_segment_wavefront_offset 0
		.amdhsa_system_sgpr_workgroup_id_x 1
		.amdhsa_system_sgpr_workgroup_id_y 1
		.amdhsa_system_sgpr_workgroup_id_z 0
		.amdhsa_system_sgpr_workgroup_info 0
		.amdhsa_system_vgpr_workitem_id 1
		.amdhsa_next_free_vgpr 32
		.amdhsa_next_free_sgpr 16
		.amdhsa_reserve_vcc 1
		.amdhsa_reserve_flat_scratch 0
		.amdhsa_float_round_mode_32 0
		.amdhsa_float_round_mode_16_64 0
		.amdhsa_float_denorm_mode_32 3
		.amdhsa_float_denorm_mode_16_64 3
		.amdhsa_dx10_clamp 1
		.amdhsa_ieee_mode 1
		.amdhsa_fp16_overflow 0
		.amdhsa_exception_fp_ieee_invalid_op 0
		.amdhsa_exception_fp_denorm_src 0
		.amdhsa_exception_fp_ieee_div_zero 0
		.amdhsa_exception_fp_ieee_overflow 0
		.amdhsa_exception_fp_ieee_underflow 0
		.amdhsa_exception_fp_ieee_inexact 0
		.amdhsa_exception_int_div_zero 0
	.end_amdhsa_kernel
	.section	.text._ZL13mul_mat_vec_qIN3c104HalfELi256ELi8E12block_iq4_xsLi1EXadL_ZL19vec_dot_iq4_xs_q8_1PKvPK10block_q8_1RKiEEEvS4_S4_PT_iii,"axG",@progbits,_ZL13mul_mat_vec_qIN3c104HalfELi256ELi8E12block_iq4_xsLi1EXadL_ZL19vec_dot_iq4_xs_q8_1PKvPK10block_q8_1RKiEEEvS4_S4_PT_iii,comdat
.Lfunc_end95:
	.size	_ZL13mul_mat_vec_qIN3c104HalfELi256ELi8E12block_iq4_xsLi1EXadL_ZL19vec_dot_iq4_xs_q8_1PKvPK10block_q8_1RKiEEEvS4_S4_PT_iii, .Lfunc_end95-_ZL13mul_mat_vec_qIN3c104HalfELi256ELi8E12block_iq4_xsLi1EXadL_ZL19vec_dot_iq4_xs_q8_1PKvPK10block_q8_1RKiEEEvS4_S4_PT_iii
                                        ; -- End function
	.set _ZL13mul_mat_vec_qIN3c104HalfELi256ELi8E12block_iq4_xsLi1EXadL_ZL19vec_dot_iq4_xs_q8_1PKvPK10block_q8_1RKiEEEvS4_S4_PT_iii.num_vgpr, 32
	.set _ZL13mul_mat_vec_qIN3c104HalfELi256ELi8E12block_iq4_xsLi1EXadL_ZL19vec_dot_iq4_xs_q8_1PKvPK10block_q8_1RKiEEEvS4_S4_PT_iii.num_agpr, 0
	.set _ZL13mul_mat_vec_qIN3c104HalfELi256ELi8E12block_iq4_xsLi1EXadL_ZL19vec_dot_iq4_xs_q8_1PKvPK10block_q8_1RKiEEEvS4_S4_PT_iii.numbered_sgpr, 16
	.set _ZL13mul_mat_vec_qIN3c104HalfELi256ELi8E12block_iq4_xsLi1EXadL_ZL19vec_dot_iq4_xs_q8_1PKvPK10block_q8_1RKiEEEvS4_S4_PT_iii.num_named_barrier, 0
	.set _ZL13mul_mat_vec_qIN3c104HalfELi256ELi8E12block_iq4_xsLi1EXadL_ZL19vec_dot_iq4_xs_q8_1PKvPK10block_q8_1RKiEEEvS4_S4_PT_iii.private_seg_size, 0
	.set _ZL13mul_mat_vec_qIN3c104HalfELi256ELi8E12block_iq4_xsLi1EXadL_ZL19vec_dot_iq4_xs_q8_1PKvPK10block_q8_1RKiEEEvS4_S4_PT_iii.uses_vcc, 1
	.set _ZL13mul_mat_vec_qIN3c104HalfELi256ELi8E12block_iq4_xsLi1EXadL_ZL19vec_dot_iq4_xs_q8_1PKvPK10block_q8_1RKiEEEvS4_S4_PT_iii.uses_flat_scratch, 0
	.set _ZL13mul_mat_vec_qIN3c104HalfELi256ELi8E12block_iq4_xsLi1EXadL_ZL19vec_dot_iq4_xs_q8_1PKvPK10block_q8_1RKiEEEvS4_S4_PT_iii.has_dyn_sized_stack, 0
	.set _ZL13mul_mat_vec_qIN3c104HalfELi256ELi8E12block_iq4_xsLi1EXadL_ZL19vec_dot_iq4_xs_q8_1PKvPK10block_q8_1RKiEEEvS4_S4_PT_iii.has_recursion, 0
	.set _ZL13mul_mat_vec_qIN3c104HalfELi256ELi8E12block_iq4_xsLi1EXadL_ZL19vec_dot_iq4_xs_q8_1PKvPK10block_q8_1RKiEEEvS4_S4_PT_iii.has_indirect_call, 0
	.section	.AMDGPU.csdata,"",@progbits
; Kernel info:
; codeLenInByte = 1564
; TotalNumSgprs: 20
; NumVgprs: 32
; ScratchSize: 0
; MemoryBound: 0
; FloatMode: 240
; IeeeMode: 1
; LDSByteSize: 0 bytes/workgroup (compile time only)
; SGPRBlocks: 2
; VGPRBlocks: 7
; NumSGPRsForWavesPerEU: 20
; NumVGPRsForWavesPerEU: 32
; Occupancy: 8
; WaveLimiterHint : 0
; COMPUTE_PGM_RSRC2:SCRATCH_EN: 0
; COMPUTE_PGM_RSRC2:USER_SGPR: 6
; COMPUTE_PGM_RSRC2:TRAP_HANDLER: 0
; COMPUTE_PGM_RSRC2:TGID_X_EN: 1
; COMPUTE_PGM_RSRC2:TGID_Y_EN: 1
; COMPUTE_PGM_RSRC2:TGID_Z_EN: 0
; COMPUTE_PGM_RSRC2:TIDIG_COMP_CNT: 1
	.section	.text._ZL13mul_mat_vec_qIN3c104HalfELi256ELi8E11block_iq1_mLi1EXadL_ZL18vec_dot_iq1_m_q8_1PKvPK10block_q8_1RKiEEEvS4_S4_PT_iii,"axG",@progbits,_ZL13mul_mat_vec_qIN3c104HalfELi256ELi8E11block_iq1_mLi1EXadL_ZL18vec_dot_iq1_m_q8_1PKvPK10block_q8_1RKiEEEvS4_S4_PT_iii,comdat
	.globl	_ZL13mul_mat_vec_qIN3c104HalfELi256ELi8E11block_iq1_mLi1EXadL_ZL18vec_dot_iq1_m_q8_1PKvPK10block_q8_1RKiEEEvS4_S4_PT_iii ; -- Begin function _ZL13mul_mat_vec_qIN3c104HalfELi256ELi8E11block_iq1_mLi1EXadL_ZL18vec_dot_iq1_m_q8_1PKvPK10block_q8_1RKiEEEvS4_S4_PT_iii
	.p2align	8
	.type	_ZL13mul_mat_vec_qIN3c104HalfELi256ELi8E11block_iq1_mLi1EXadL_ZL18vec_dot_iq1_m_q8_1PKvPK10block_q8_1RKiEEEvS4_S4_PT_iii,@function
_ZL13mul_mat_vec_qIN3c104HalfELi256ELi8E11block_iq1_mLi1EXadL_ZL18vec_dot_iq1_m_q8_1PKvPK10block_q8_1RKiEEEvS4_S4_PT_iii: ; @_ZL13mul_mat_vec_qIN3c104HalfELi256ELi8E11block_iq1_mLi1EXadL_ZL18vec_dot_iq1_m_q8_1PKvPK10block_q8_1RKiEEEvS4_S4_PT_iii
; %bb.0:
	s_load_dword s8, s[4:5], 0x34
	s_load_dwordx4 s[0:3], s[4:5], 0x18
	s_waitcnt lgkmcnt(0)
	s_lshr_b32 s3, s8, 16
	s_mul_i32 s6, s6, s3
	v_add_u32_e32 v13, s6, v1
	s_cmp_lt_u32 s7, s2
	v_cmp_gt_u32_e32 vcc, s1, v13
	s_cselect_b64 s[2:3], -1, 0
	s_and_b64 s[2:3], s[2:3], vcc
	s_and_saveexec_b64 s[8:9], s[2:3]
	s_cbranch_execz .LBB96_7
; %bb.1:
	s_load_dwordx2 s[2:3], s[4:5], 0x10
	s_ashr_i32 s6, s0, 31
	s_lshr_b32 s6, s6, 24
	s_add_i32 s6, s0, s6
	s_ashr_i32 s6, s6, 8
	v_lshrrev_b32_e32 v15, 3, v0
	v_cmp_gt_u32_e32 vcc, s6, v15
	v_mov_b32_e32 v14, 0
	s_and_saveexec_b64 s[12:13], vcc
	s_cbranch_execz .LBB96_5
; %bb.2:
	s_load_dwordx4 s[8:11], s[4:5], 0x0
	s_addk_i32 s0, 0x1ff
	s_ashr_i32 s4, s0, 31
	s_lshr_b32 s4, s4, 23
	v_and_b32_e32 v1, 7, v0
	s_add_i32 s0, s0, s4
	v_mul_lo_u32 v16, v13, s6
	s_waitcnt lgkmcnt(0)
	v_mad_u64_u32 v[9:10], s[4:5], v1, 36, s[10:11]
	s_ashr_i32 s0, s0, 9
	v_and_b32_e32 v3, 1, v0
	s_mul_i32 s0, s7, s0
	v_bfe_u32 v2, v0, 1, 2
	v_cmp_eq_u32_e32 vcc, 1, v3
	v_lshlrev_b32_e32 v3, 3, v15
	v_mov_b32_e32 v14, 0
	v_lshlrev_b32_e32 v17, 1, v1
	v_cndmask_b32_e64 v18, 0, 6, vcc
	v_lshl_add_u32 v19, s0, 4, v3
	s_mov_b64 s[4:5], 0
	v_lshlrev_b32_e32 v20, 2, v1
	s_mov_b32 s0, 0x1010101
	s_mov_b32 s14, 0x8000c
	s_movk_i32 s15, 0xf0
	v_lshlrev_b32_e32 v21, 1, v2
	s_movk_i32 s16, 0x700
	v_mov_b32_e32 v22, 4
	v_mov_b32_e32 v23, 8
.LBB96_3:                               ; =>This Inner Loop Header: Depth=1
	v_add_u32_e32 v1, v16, v15
	v_mad_i64_i32 v[11:12], s[10:11], v1, 56, s[8:9]
	v_mad_i64_i32 v[27:28], s[10:11], v19, 36, v[9:10]
	v_add_co_u32_e32 v1, vcc, v11, v20
	v_addc_co_u32_e32 v2, vcc, 0, v12, vcc
	v_add_co_u32_e32 v3, vcc, v11, v17
	v_addc_co_u32_e32 v4, vcc, 0, v12, vcc
	global_load_dword v26, v[1:2], off
	global_load_ushort v24, v[3:4], off offset:32
	s_nop 0
	global_load_dwordx4 v[1:4], v[27:28], off offset:16
	global_load_dword v25, v[27:28], off offset:32
	global_load_dwordx4 v[5:8], v[27:28], off
	v_add_co_u32_e32 v27, vcc, v11, v21
	v_addc_co_u32_e32 v28, vcc, 0, v12, vcc
	global_load_dwordx2 v[11:12], v[11:12], off offset:48
	s_nop 0
	global_load_ushort v27, v[27:28], off offset:48
	v_mov_b32_e32 v29, 0xbf600000
	s_getpc_b64 s[10:11]
	s_add_u32 s10, s10, _ZL13iq1s_grid_gpu@rel32@lo+4
	s_addc_u32 s11, s11, _ZL13iq1s_grid_gpu@rel32@hi+12
	v_mov_b32_e32 v30, 0xbf600000
	v_add_u32_e32 v15, 8, v15
	v_cmp_le_u32_e32 vcc, s6, v15
	v_add_u32_e32 v19, 64, v19
	s_or_b64 s[4:5], vcc, s[4:5]
	s_waitcnt vmcnt(6)
	v_and_b32_e32 v28, 0xff, v26
	s_waitcnt vmcnt(5)
	v_lshlrev_b32_e32 v31, 8, v24
	v_bfe_u32 v32, v26, 8, 8
	v_lshlrev_b32_e32 v33, 4, v24
	v_and_or_b32 v28, v31, s16, v28
	v_bfe_u32 v31, v26, 16, 8
	v_and_or_b32 v32, v33, s16, v32
	v_lshlrev_b32_sdwa v33, v23, v24 dst_sel:DWORD dst_unused:UNUSED_PAD src0_sel:DWORD src1_sel:BYTE_1
	v_and_or_b32 v31, v33, s16, v31
	v_and_b32_sdwa v33, v24, v23 dst_sel:DWORD dst_unused:UNUSED_PAD src0_sel:BYTE_1 src1_sel:DWORD
	v_cvt_f32_ubyte0_e32 v33, v33
	v_fmac_f32_e32 v29, 0xbd000000, v33
	v_lshrrev_b32_sdwa v33, v22, v24 dst_sel:DWORD dst_unused:UNUSED_PAD src0_sel:DWORD src1_sel:BYTE_1
	v_alignbit_b32 v26, v33, v26, 24
	v_lshlrev_b32_e32 v28, 3, v28
	v_and_b32_e32 v26, 0x7ff, v26
	global_load_dword v28, v28, s[10:11]
	v_lshlrev_b32_e32 v31, 3, v31
	v_lshlrev_b32_e32 v32, 3, v32
	;; [unrolled: 1-line block ×3, first 2 shown]
	global_load_dword v31, v31, s[10:11]
	s_nop 0
	global_load_dword v26, v26, s[10:11]
	s_nop 0
	global_load_dword v32, v32, s[10:11]
	v_and_b32_e32 v33, 8, v33
	v_cvt_f32_ubyte0_e32 v33, v33
	v_fmac_f32_e32 v30, 0xbd000000, v33
	s_waitcnt vmcnt(8)
	v_dot4_i32_i8 v33, v2, s0, 0
	v_dot4_i32_i8 v33, v3, s0, v33
	v_cvt_f32_i32_e32 v33, v33
	s_waitcnt vmcnt(5)
	v_pk_lshrrev_b16 v11, s14, v11
	s_waitcnt vmcnt(4)
	v_lshrrev_b32_e32 v27, v18, v27
	v_pk_lshrrev_b16 v12, 4, v12
	v_fma_f32 v29, v29, v33, 0
	v_dot4_i32_i8 v33, v4, s0, 0
	v_dot4_i32_i8 v33, v25, s0, v33
	v_cvt_f32_i32_e32 v33, v33
	v_and_b32_e32 v12, 0xf0000f00, v12
	v_cvt_f32_f16_e32 v5, v5
	v_fmac_f32_e32 v29, v30, v33
	v_and_b32_e32 v33, 8, v24
	v_bfe_u32 v24, v24, 4, 4
	v_mov_b32_e32 v30, 0xbf600000
	v_cvt_f32_ubyte0_e32 v33, v33
	v_and_b32_e32 v24, 8, v24
	v_fmac_f32_e32 v30, 0xbd000000, v33
	v_mov_b32_e32 v33, 0xbf600000
	v_cvt_f32_ubyte0_e32 v24, v24
	v_fmac_f32_e32 v33, 0xbd000000, v24
	v_dot4_i32_i8 v24, v6, s0, 0
	v_dot4_i32_i8 v24, v7, s0, v24
	v_cvt_f32_i32_e32 v24, v24
	v_fma_f32 v24, v30, v24, 0
	v_dot4_i32_i8 v30, v8, s0, 0
	v_dot4_i32_i8 v30, v1, s0, v30
	v_cvt_f32_i32_e32 v30, v30
	v_fmac_f32_e32 v24, v33, v30
	v_and_b32_sdwa v30, v11, s15 dst_sel:DWORD dst_unused:UNUSED_PAD src0_sel:WORD_1 src1_sel:DWORD
	v_or_b32_e32 v11, v30, v11
	v_lshlrev_b32_e32 v30, 1, v27
	v_and_b32_e32 v30, 14, v30
	v_or_b32_e32 v11, v11, v12
	v_or_b32_e32 v30, 1, v30
	v_or_b32_sdwa v11, v11, v12 dst_sel:DWORD dst_unused:UNUSED_PAD src0_sel:DWORD src1_sel:WORD_1
	v_cvt_f32_ubyte0_e32 v12, v30
	v_lshrrev_b32_e32 v27, 2, v27
	v_and_b32_e32 v27, 14, v27
	v_cvt_f32_f16_e32 v11, v11
	v_or_b32_e32 v27, 1, v27
	v_cvt_f32_ubyte0_e32 v27, v27
	s_waitcnt vmcnt(3)
	v_and_b32_e32 v30, 0xf0f0f0f, v28
	v_lshrrev_b32_e32 v28, 4, v28
	v_and_b32_e32 v28, 0xf0f0f0f, v28
	v_dot4_i32_i8 v6, v30, v6, 0
	v_dot4_i32_i8 v6, v28, v7, v6
	s_waitcnt vmcnt(0)
	v_and_b32_e32 v7, 0xf0f0f0f, v32
	v_dot4_i32_i8 v6, v7, v8, v6
	v_and_b32_e32 v7, 0xf0f0f0f, v31
	v_lshrrev_b32_e32 v8, 4, v31
	v_and_b32_e32 v8, 0xf0f0f0f, v8
	v_dot4_i32_i8 v2, v7, v2, 0
	v_and_b32_e32 v7, 0xf0f0f0f, v26
	v_lshrrev_b32_e32 v26, 4, v26
	v_dot4_i32_i8 v2, v8, v3, v2
	v_lshrrev_b32_e32 v28, 4, v32
	v_and_b32_e32 v8, 0xf0f0f0f, v26
	v_dot4_i32_i8 v2, v7, v4, v2
	v_and_b32_e32 v3, 0xf0f0f0f, v28
	v_dot4_i32_i8 v2, v8, v25, v2
	v_dot4_i32_i8 v1, v3, v1, v6
	v_cvt_f32_i32_e32 v2, v2
	v_cvt_f32_i32_e32 v1, v1
	v_mul_f32_e32 v3, v5, v11
	v_add_f32_e32 v2, v29, v2
	v_add_f32_e32 v1, v24, v1
	v_mul_f32_e32 v2, v2, v27
	v_fmac_f32_e32 v2, v1, v12
	v_fmac_f32_e32 v14, v3, v2
	s_andn2_b64 exec, exec, s[4:5]
	s_cbranch_execnz .LBB96_3
; %bb.4:
	s_or_b64 exec, exec, s[4:5]
.LBB96_5:
	s_or_b64 exec, exec, s[12:13]
	v_mbcnt_lo_u32_b32 v1, -1, 0
	v_mbcnt_hi_u32_b32 v2, -1, v1
	v_and_b32_e32 v1, 64, v2
	v_add_u32_e32 v3, 64, v1
	v_xor_b32_e32 v1, 32, v2
	v_cmp_lt_i32_e32 vcc, v1, v3
	v_cndmask_b32_e32 v1, v2, v1, vcc
	v_lshlrev_b32_e32 v1, 2, v1
	ds_bpermute_b32 v1, v1, v14
	v_xor_b32_e32 v4, 16, v2
	v_cmp_lt_i32_e32 vcc, v4, v3
	v_cndmask_b32_e32 v4, v2, v4, vcc
	v_lshlrev_b32_e32 v4, 2, v4
	s_waitcnt lgkmcnt(0)
	v_add_f32_e32 v1, v14, v1
	ds_bpermute_b32 v4, v4, v1
	v_xor_b32_e32 v5, 8, v2
	v_cmp_lt_i32_e32 vcc, v5, v3
	s_waitcnt lgkmcnt(0)
	v_add_f32_e32 v1, v1, v4
	v_cndmask_b32_e32 v4, v2, v5, vcc
	v_lshlrev_b32_e32 v4, 2, v4
	ds_bpermute_b32 v4, v4, v1
	v_xor_b32_e32 v5, 4, v2
	v_cmp_lt_i32_e32 vcc, v5, v3
	s_waitcnt lgkmcnt(0)
	v_add_f32_e32 v1, v1, v4
	v_cndmask_b32_e32 v4, v2, v5, vcc
	v_lshlrev_b32_e32 v4, 2, v4
	;; [unrolled: 7-line block ×3, first 2 shown]
	ds_bpermute_b32 v4, v4, v1
	v_xor_b32_e32 v5, 1, v2
	v_cmp_lt_i32_e32 vcc, v5, v3
	v_cndmask_b32_e32 v2, v2, v5, vcc
	v_lshlrev_b32_e32 v2, 2, v2
	s_waitcnt lgkmcnt(0)
	v_add_f32_e32 v1, v1, v4
	ds_bpermute_b32 v2, v2, v1
	v_cmp_eq_u32_e32 vcc, 0, v0
	s_and_b64 exec, exec, vcc
	s_cbranch_execz .LBB96_7
; %bb.6:
	s_waitcnt lgkmcnt(0)
	v_add_f32_e32 v0, v1, v2
	s_mul_i32 s0, s1, s7
	v_cvt_f16_f32_e32 v2, v0
	v_add_u32_e32 v0, s0, v13
	v_mov_b32_e32 v1, 0
	v_lshlrev_b64 v[0:1], 1, v[0:1]
	v_mov_b32_e32 v3, s3
	v_add_co_u32_e32 v0, vcc, s2, v0
	v_addc_co_u32_e32 v1, vcc, v3, v1, vcc
	global_store_short v[0:1], v2, off
.LBB96_7:
	s_endpgm
	.section	.rodata,"a",@progbits
	.p2align	6, 0x0
	.amdhsa_kernel _ZL13mul_mat_vec_qIN3c104HalfELi256ELi8E11block_iq1_mLi1EXadL_ZL18vec_dot_iq1_m_q8_1PKvPK10block_q8_1RKiEEEvS4_S4_PT_iii
		.amdhsa_group_segment_fixed_size 0
		.amdhsa_private_segment_fixed_size 0
		.amdhsa_kernarg_size 296
		.amdhsa_user_sgpr_count 6
		.amdhsa_user_sgpr_private_segment_buffer 1
		.amdhsa_user_sgpr_dispatch_ptr 0
		.amdhsa_user_sgpr_queue_ptr 0
		.amdhsa_user_sgpr_kernarg_segment_ptr 1
		.amdhsa_user_sgpr_dispatch_id 0
		.amdhsa_user_sgpr_flat_scratch_init 0
		.amdhsa_user_sgpr_private_segment_size 0
		.amdhsa_uses_dynamic_stack 0
		.amdhsa_system_sgpr_private_segment_wavefront_offset 0
		.amdhsa_system_sgpr_workgroup_id_x 1
		.amdhsa_system_sgpr_workgroup_id_y 1
		.amdhsa_system_sgpr_workgroup_id_z 0
		.amdhsa_system_sgpr_workgroup_info 0
		.amdhsa_system_vgpr_workitem_id 1
		.amdhsa_next_free_vgpr 34
		.amdhsa_next_free_sgpr 17
		.amdhsa_reserve_vcc 1
		.amdhsa_reserve_flat_scratch 0
		.amdhsa_float_round_mode_32 0
		.amdhsa_float_round_mode_16_64 0
		.amdhsa_float_denorm_mode_32 3
		.amdhsa_float_denorm_mode_16_64 3
		.amdhsa_dx10_clamp 1
		.amdhsa_ieee_mode 1
		.amdhsa_fp16_overflow 0
		.amdhsa_exception_fp_ieee_invalid_op 0
		.amdhsa_exception_fp_denorm_src 0
		.amdhsa_exception_fp_ieee_div_zero 0
		.amdhsa_exception_fp_ieee_overflow 0
		.amdhsa_exception_fp_ieee_underflow 0
		.amdhsa_exception_fp_ieee_inexact 0
		.amdhsa_exception_int_div_zero 0
	.end_amdhsa_kernel
	.section	.text._ZL13mul_mat_vec_qIN3c104HalfELi256ELi8E11block_iq1_mLi1EXadL_ZL18vec_dot_iq1_m_q8_1PKvPK10block_q8_1RKiEEEvS4_S4_PT_iii,"axG",@progbits,_ZL13mul_mat_vec_qIN3c104HalfELi256ELi8E11block_iq1_mLi1EXadL_ZL18vec_dot_iq1_m_q8_1PKvPK10block_q8_1RKiEEEvS4_S4_PT_iii,comdat
.Lfunc_end96:
	.size	_ZL13mul_mat_vec_qIN3c104HalfELi256ELi8E11block_iq1_mLi1EXadL_ZL18vec_dot_iq1_m_q8_1PKvPK10block_q8_1RKiEEEvS4_S4_PT_iii, .Lfunc_end96-_ZL13mul_mat_vec_qIN3c104HalfELi256ELi8E11block_iq1_mLi1EXadL_ZL18vec_dot_iq1_m_q8_1PKvPK10block_q8_1RKiEEEvS4_S4_PT_iii
                                        ; -- End function
	.set _ZL13mul_mat_vec_qIN3c104HalfELi256ELi8E11block_iq1_mLi1EXadL_ZL18vec_dot_iq1_m_q8_1PKvPK10block_q8_1RKiEEEvS4_S4_PT_iii.num_vgpr, 34
	.set _ZL13mul_mat_vec_qIN3c104HalfELi256ELi8E11block_iq1_mLi1EXadL_ZL18vec_dot_iq1_m_q8_1PKvPK10block_q8_1RKiEEEvS4_S4_PT_iii.num_agpr, 0
	.set _ZL13mul_mat_vec_qIN3c104HalfELi256ELi8E11block_iq1_mLi1EXadL_ZL18vec_dot_iq1_m_q8_1PKvPK10block_q8_1RKiEEEvS4_S4_PT_iii.numbered_sgpr, 17
	.set _ZL13mul_mat_vec_qIN3c104HalfELi256ELi8E11block_iq1_mLi1EXadL_ZL18vec_dot_iq1_m_q8_1PKvPK10block_q8_1RKiEEEvS4_S4_PT_iii.num_named_barrier, 0
	.set _ZL13mul_mat_vec_qIN3c104HalfELi256ELi8E11block_iq1_mLi1EXadL_ZL18vec_dot_iq1_m_q8_1PKvPK10block_q8_1RKiEEEvS4_S4_PT_iii.private_seg_size, 0
	.set _ZL13mul_mat_vec_qIN3c104HalfELi256ELi8E11block_iq1_mLi1EXadL_ZL18vec_dot_iq1_m_q8_1PKvPK10block_q8_1RKiEEEvS4_S4_PT_iii.uses_vcc, 1
	.set _ZL13mul_mat_vec_qIN3c104HalfELi256ELi8E11block_iq1_mLi1EXadL_ZL18vec_dot_iq1_m_q8_1PKvPK10block_q8_1RKiEEEvS4_S4_PT_iii.uses_flat_scratch, 0
	.set _ZL13mul_mat_vec_qIN3c104HalfELi256ELi8E11block_iq1_mLi1EXadL_ZL18vec_dot_iq1_m_q8_1PKvPK10block_q8_1RKiEEEvS4_S4_PT_iii.has_dyn_sized_stack, 0
	.set _ZL13mul_mat_vec_qIN3c104HalfELi256ELi8E11block_iq1_mLi1EXadL_ZL18vec_dot_iq1_m_q8_1PKvPK10block_q8_1RKiEEEvS4_S4_PT_iii.has_recursion, 0
	.set _ZL13mul_mat_vec_qIN3c104HalfELi256ELi8E11block_iq1_mLi1EXadL_ZL18vec_dot_iq1_m_q8_1PKvPK10block_q8_1RKiEEEvS4_S4_PT_iii.has_indirect_call, 0
	.section	.AMDGPU.csdata,"",@progbits
; Kernel info:
; codeLenInByte = 1332
; TotalNumSgprs: 21
; NumVgprs: 34
; ScratchSize: 0
; MemoryBound: 0
; FloatMode: 240
; IeeeMode: 1
; LDSByteSize: 0 bytes/workgroup (compile time only)
; SGPRBlocks: 2
; VGPRBlocks: 8
; NumSGPRsForWavesPerEU: 21
; NumVGPRsForWavesPerEU: 34
; Occupancy: 7
; WaveLimiterHint : 0
; COMPUTE_PGM_RSRC2:SCRATCH_EN: 0
; COMPUTE_PGM_RSRC2:USER_SGPR: 6
; COMPUTE_PGM_RSRC2:TRAP_HANDLER: 0
; COMPUTE_PGM_RSRC2:TGID_X_EN: 1
; COMPUTE_PGM_RSRC2:TGID_Y_EN: 1
; COMPUTE_PGM_RSRC2:TGID_Z_EN: 0
; COMPUTE_PGM_RSRC2:TIDIG_COMP_CNT: 1
	.section	.text._ZL13quantize_q8_1IN3c108BFloat16EEvPKT_Pvii,"axG",@progbits,_ZL13quantize_q8_1IN3c108BFloat16EEvPKT_Pvii,comdat
	.globl	_ZL13quantize_q8_1IN3c108BFloat16EEvPKT_Pvii ; -- Begin function _ZL13quantize_q8_1IN3c108BFloat16EEvPKT_Pvii
	.p2align	8
	.type	_ZL13quantize_q8_1IN3c108BFloat16EEvPKT_Pvii,@function
_ZL13quantize_q8_1IN3c108BFloat16EEvPKT_Pvii: ; @_ZL13quantize_q8_1IN3c108BFloat16EEvPKT_Pvii
; %bb.0:
	s_load_dword s2, s[4:5], 0x24
	s_load_dwordx2 s[0:1], s[4:5], 0x10
	s_add_u32 s8, s4, 24
	s_addc_u32 s9, s5, 0
	s_waitcnt lgkmcnt(0)
	s_and_b32 s2, s2, 0xffff
	s_mul_i32 s6, s6, s2
	v_add_u32_e32 v0, s6, v0
	v_cmp_gt_u32_e32 vcc, s1, v0
	s_and_saveexec_b64 s[2:3], vcc
	s_cbranch_execz .LBB97_7
; %bb.1:
	s_load_dword s6, s[8:9], 0xc
	s_load_dwordx2 s[2:3], s[4:5], 0x8
	v_cmp_gt_u32_e32 vcc, s0, v0
	v_mov_b32_e32 v2, 0
	v_mov_b32_e32 v3, 0
	s_waitcnt lgkmcnt(0)
	s_lshr_b32 s6, s6, 16
	s_mul_i32 s7, s7, s6
	v_add_u32_e32 v1, s7, v1
	s_and_saveexec_b64 s[6:7], vcc
	s_cbranch_execz .LBB97_3
; %bb.2:
	v_mad_u64_u32 v[3:4], s[8:9], v1, s0, v[0:1]
	s_load_dwordx2 s[4:5], s[4:5], 0x0
	v_mov_b32_e32 v4, 0
	v_lshlrev_b64 v[3:4], 1, v[3:4]
	s_waitcnt lgkmcnt(0)
	v_mov_b32_e32 v5, s5
	v_add_co_u32_e32 v3, vcc, s4, v3
	v_addc_co_u32_e32 v4, vcc, v5, v4, vcc
	global_load_ushort v3, v[3:4], off
	s_waitcnt vmcnt(0)
	v_lshlrev_b32_e32 v3, 16, v3
.LBB97_3:
	s_or_b64 exec, exec, s[6:7]
	v_mbcnt_lo_u32_b32 v5, -1, 0
	v_mbcnt_hi_u32_b32 v5, -1, v5
	v_and_b32_e32 v6, 0x60, v5
	v_add_u32_e32 v6, 32, v6
	v_xor_b32_e32 v7, 16, v5
	v_cmp_lt_i32_e32 vcc, v7, v6
	v_cndmask_b32_e32 v7, v5, v7, vcc
	v_and_b32_e32 v4, 0x7fffffff, v3
	v_lshlrev_b32_e32 v7, 2, v7
	ds_bpermute_b32 v4, v7, v4
	v_max_f32_e64 v8, |v3|, |v3|
	s_mov_b32 s6, 0x42fe0000
	ds_bpermute_b32 v7, v7, v3
	s_brev_b32 s0, -2
	s_waitcnt lgkmcnt(1)
	v_max_f32_e32 v4, v4, v4
	v_max_f32_e32 v4, v8, v4
	v_xor_b32_e32 v8, 8, v5
	v_cmp_lt_i32_e32 vcc, v8, v6
	v_cndmask_b32_e32 v8, v5, v8, vcc
	v_lshlrev_b32_e32 v8, 2, v8
	ds_bpermute_b32 v9, v8, v4
	s_waitcnt lgkmcnt(1)
	v_add_f32_e32 v7, v3, v7
	ds_bpermute_b32 v8, v8, v7
	s_waitcnt lgkmcnt(1)
	v_max_f32_e32 v9, v9, v9
	v_max_f32_e32 v4, v4, v9
	v_xor_b32_e32 v9, 4, v5
	v_cmp_lt_i32_e32 vcc, v9, v6
	v_cndmask_b32_e32 v9, v5, v9, vcc
	v_lshlrev_b32_e32 v9, 2, v9
	ds_bpermute_b32 v10, v9, v4
	s_waitcnt lgkmcnt(1)
	v_add_f32_e32 v7, v7, v8
	s_waitcnt lgkmcnt(0)
	v_max_f32_e32 v10, v10, v10
	v_max_f32_e32 v4, v4, v10
	v_xor_b32_e32 v10, 2, v5
	v_cmp_lt_i32_e32 vcc, v10, v6
	v_cndmask_b32_e32 v10, v5, v10, vcc
	v_lshlrev_b32_e32 v10, 2, v10
	ds_bpermute_b32 v11, v10, v4
	s_waitcnt lgkmcnt(0)
	v_max_f32_e32 v11, v11, v11
	v_max_f32_e32 v4, v4, v11
	v_xor_b32_e32 v11, 1, v5
	v_cmp_lt_i32_e32 vcc, v11, v6
	v_cndmask_b32_e32 v5, v5, v11, vcc
	v_lshlrev_b32_e32 v5, 2, v5
	ds_bpermute_b32 v6, v5, v4
	s_waitcnt lgkmcnt(0)
	v_max_f32_e32 v6, v6, v6
	v_max_f32_e32 v11, v4, v6
	v_div_scale_f32 v4, s[4:5], s6, s6, v11
	v_div_scale_f32 v6, vcc, v11, s6, v11
	v_rcp_f32_e32 v12, v4
	v_fma_f32 v8, -v4, v12, 1.0
	v_fmac_f32_e32 v12, v8, v12
	v_mul_f32_e32 v8, v6, v12
	v_fma_f32 v13, -v4, v8, v6
	v_fmac_f32_e32 v8, v13, v12
	v_fma_f32 v4, -v4, v8, v6
	v_div_fmas_f32 v6, v4, v12, v8
	ds_bpermute_b32 v4, v9, v7
	v_cmp_neq_f32_e32 vcc, 0, v11
	s_waitcnt lgkmcnt(0)
	v_add_f32_e32 v4, v7, v4
	ds_bpermute_b32 v7, v10, v4
	s_waitcnt lgkmcnt(0)
	v_add_f32_e32 v4, v4, v7
	ds_bpermute_b32 v5, v5, v4
	v_div_fixup_f32 v6, v6, s6, v11
	s_and_saveexec_b64 s[4:5], vcc
	s_cbranch_execz .LBB97_5
; %bb.4:
	v_div_scale_f32 v2, s[6:7], v6, v6, v3
	v_div_scale_f32 v7, vcc, v3, v6, v3
	v_rcp_f32_e32 v8, v2
	v_fma_f32 v9, -v2, v8, 1.0
	v_fmac_f32_e32 v8, v9, v8
	v_mul_f32_e32 v9, v7, v8
	v_fma_f32 v10, -v2, v9, v7
	v_fmac_f32_e32 v9, v10, v8
	v_fma_f32 v2, -v2, v9, v7
	v_div_fmas_f32 v2, v2, v8, v9
	v_div_fixup_f32 v2, v2, v6, v3
	v_trunc_f32_e32 v3, v2
	v_sub_f32_e32 v7, v2, v3
	v_cmp_ge_f32_e64 s[6:7], |v7|, 0.5
	v_cndmask_b32_e64 v7, 0, 1.0, s[6:7]
	v_bfi_b32 v2, s0, v7, v2
	v_add_f32_e32 v2, v3, v2
	v_cvt_i32_f32_e32 v2, v2
.LBB97_5:
	s_or_b64 exec, exec, s[4:5]
	v_mad_u64_u32 v[7:8], s[0:1], v1, s1, v[0:1]
	v_ashrrev_i32_e32 v0, 31, v7
	v_lshrrev_b32_e32 v0, 27, v0
	v_add_u32_e32 v0, v7, v0
	v_ashrrev_i32_e32 v1, 5, v0
	v_and_b32_e32 v3, 0xffffffe0, v0
	v_mad_i64_i32 v[0:1], s[0:1], v1, 36, s[2:3]
	v_sub_u32_e32 v3, v7, v3
	v_ashrrev_i32_e32 v8, 31, v3
	v_add_co_u32_e32 v7, vcc, v0, v3
	v_addc_co_u32_e32 v8, vcc, v1, v8, vcc
	v_cmp_gt_i32_e32 vcc, 1, v3
	global_store_byte v[7:8], v2, off offset:4
	s_and_b64 exec, exec, vcc
	s_cbranch_execz .LBB97_7
; %bb.6:
	s_waitcnt lgkmcnt(0)
	v_add_f32_e32 v2, v4, v5
	v_cvt_f16_f32_e32 v2, v2
	v_cvt_f16_f32_e32 v3, v6
	v_pack_b32_f16 v2, v3, v2
	global_store_dword v[0:1], v2, off
.LBB97_7:
	s_endpgm
	.section	.rodata,"a",@progbits
	.p2align	6, 0x0
	.amdhsa_kernel _ZL13quantize_q8_1IN3c108BFloat16EEvPKT_Pvii
		.amdhsa_group_segment_fixed_size 0
		.amdhsa_private_segment_fixed_size 0
		.amdhsa_kernarg_size 280
		.amdhsa_user_sgpr_count 6
		.amdhsa_user_sgpr_private_segment_buffer 1
		.amdhsa_user_sgpr_dispatch_ptr 0
		.amdhsa_user_sgpr_queue_ptr 0
		.amdhsa_user_sgpr_kernarg_segment_ptr 1
		.amdhsa_user_sgpr_dispatch_id 0
		.amdhsa_user_sgpr_flat_scratch_init 0
		.amdhsa_user_sgpr_private_segment_size 0
		.amdhsa_uses_dynamic_stack 0
		.amdhsa_system_sgpr_private_segment_wavefront_offset 0
		.amdhsa_system_sgpr_workgroup_id_x 1
		.amdhsa_system_sgpr_workgroup_id_y 1
		.amdhsa_system_sgpr_workgroup_id_z 0
		.amdhsa_system_sgpr_workgroup_info 0
		.amdhsa_system_vgpr_workitem_id 1
		.amdhsa_next_free_vgpr 14
		.amdhsa_next_free_sgpr 10
		.amdhsa_reserve_vcc 1
		.amdhsa_reserve_flat_scratch 0
		.amdhsa_float_round_mode_32 0
		.amdhsa_float_round_mode_16_64 0
		.amdhsa_float_denorm_mode_32 3
		.amdhsa_float_denorm_mode_16_64 3
		.amdhsa_dx10_clamp 1
		.amdhsa_ieee_mode 1
		.amdhsa_fp16_overflow 0
		.amdhsa_exception_fp_ieee_invalid_op 0
		.amdhsa_exception_fp_denorm_src 0
		.amdhsa_exception_fp_ieee_div_zero 0
		.amdhsa_exception_fp_ieee_overflow 0
		.amdhsa_exception_fp_ieee_underflow 0
		.amdhsa_exception_fp_ieee_inexact 0
		.amdhsa_exception_int_div_zero 0
	.end_amdhsa_kernel
	.section	.text._ZL13quantize_q8_1IN3c108BFloat16EEvPKT_Pvii,"axG",@progbits,_ZL13quantize_q8_1IN3c108BFloat16EEvPKT_Pvii,comdat
.Lfunc_end97:
	.size	_ZL13quantize_q8_1IN3c108BFloat16EEvPKT_Pvii, .Lfunc_end97-_ZL13quantize_q8_1IN3c108BFloat16EEvPKT_Pvii
                                        ; -- End function
	.set _ZL13quantize_q8_1IN3c108BFloat16EEvPKT_Pvii.num_vgpr, 14
	.set _ZL13quantize_q8_1IN3c108BFloat16EEvPKT_Pvii.num_agpr, 0
	.set _ZL13quantize_q8_1IN3c108BFloat16EEvPKT_Pvii.numbered_sgpr, 10
	.set _ZL13quantize_q8_1IN3c108BFloat16EEvPKT_Pvii.num_named_barrier, 0
	.set _ZL13quantize_q8_1IN3c108BFloat16EEvPKT_Pvii.private_seg_size, 0
	.set _ZL13quantize_q8_1IN3c108BFloat16EEvPKT_Pvii.uses_vcc, 1
	.set _ZL13quantize_q8_1IN3c108BFloat16EEvPKT_Pvii.uses_flat_scratch, 0
	.set _ZL13quantize_q8_1IN3c108BFloat16EEvPKT_Pvii.has_dyn_sized_stack, 0
	.set _ZL13quantize_q8_1IN3c108BFloat16EEvPKT_Pvii.has_recursion, 0
	.set _ZL13quantize_q8_1IN3c108BFloat16EEvPKT_Pvii.has_indirect_call, 0
	.section	.AMDGPU.csdata,"",@progbits
; Kernel info:
; codeLenInByte = 792
; TotalNumSgprs: 14
; NumVgprs: 14
; ScratchSize: 0
; MemoryBound: 0
; FloatMode: 240
; IeeeMode: 1
; LDSByteSize: 0 bytes/workgroup (compile time only)
; SGPRBlocks: 1
; VGPRBlocks: 3
; NumSGPRsForWavesPerEU: 14
; NumVGPRsForWavesPerEU: 14
; Occupancy: 10
; WaveLimiterHint : 0
; COMPUTE_PGM_RSRC2:SCRATCH_EN: 0
; COMPUTE_PGM_RSRC2:USER_SGPR: 6
; COMPUTE_PGM_RSRC2:TRAP_HANDLER: 0
; COMPUTE_PGM_RSRC2:TGID_X_EN: 1
; COMPUTE_PGM_RSRC2:TGID_Y_EN: 1
; COMPUTE_PGM_RSRC2:TGID_Z_EN: 0
; COMPUTE_PGM_RSRC2:TIDIG_COMP_CNT: 1
	.section	.text._ZL13mul_mat_vec_qIN3c108BFloat16ELi32ELi4E10block_q4_0Li2EXadL_ZL17vec_dot_q4_0_q8_1PKvPK10block_q8_1RKiEEEvS4_S4_PT_iii,"axG",@progbits,_ZL13mul_mat_vec_qIN3c108BFloat16ELi32ELi4E10block_q4_0Li2EXadL_ZL17vec_dot_q4_0_q8_1PKvPK10block_q8_1RKiEEEvS4_S4_PT_iii,comdat
	.globl	_ZL13mul_mat_vec_qIN3c108BFloat16ELi32ELi4E10block_q4_0Li2EXadL_ZL17vec_dot_q4_0_q8_1PKvPK10block_q8_1RKiEEEvS4_S4_PT_iii ; -- Begin function _ZL13mul_mat_vec_qIN3c108BFloat16ELi32ELi4E10block_q4_0Li2EXadL_ZL17vec_dot_q4_0_q8_1PKvPK10block_q8_1RKiEEEvS4_S4_PT_iii
	.p2align	8
	.type	_ZL13mul_mat_vec_qIN3c108BFloat16ELi32ELi4E10block_q4_0Li2EXadL_ZL17vec_dot_q4_0_q8_1PKvPK10block_q8_1RKiEEEvS4_S4_PT_iii,@function
_ZL13mul_mat_vec_qIN3c108BFloat16ELi32ELi4E10block_q4_0Li2EXadL_ZL17vec_dot_q4_0_q8_1PKvPK10block_q8_1RKiEEEvS4_S4_PT_iii: ; @_ZL13mul_mat_vec_qIN3c108BFloat16ELi32ELi4E10block_q4_0Li2EXadL_ZL17vec_dot_q4_0_q8_1PKvPK10block_q8_1RKiEEEvS4_S4_PT_iii
; %bb.0:
	s_load_dword s8, s[4:5], 0x34
	s_load_dwordx4 s[0:3], s[4:5], 0x18
	s_waitcnt lgkmcnt(0)
	s_lshr_b32 s3, s8, 16
	s_mul_i32 s6, s6, s3
	v_add_u32_e32 v1, s6, v1
	s_cmp_lt_u32 s7, s2
	v_cmp_gt_u32_e32 vcc, s1, v1
	s_cselect_b64 s[2:3], -1, 0
	s_and_b64 s[2:3], s[2:3], vcc
	s_and_saveexec_b64 s[8:9], s[2:3]
	s_cbranch_execz .LBB98_7
; %bb.1:
	s_load_dwordx2 s[2:3], s[4:5], 0x10
	s_ashr_i32 s6, s0, 31
	s_lshr_b32 s6, s6, 27
	s_add_i32 s6, s0, s6
	s_ashr_i32 s6, s6, 5
	v_lshrrev_b32_e32 v3, 1, v0
	v_cmp_gt_u32_e32 vcc, s6, v3
	v_mov_b32_e32 v2, 0
	s_and_saveexec_b64 s[12:13], vcc
	s_cbranch_execz .LBB98_5
; %bb.2:
	s_addk_i32 s0, 0x1ff
	s_load_dwordx4 s[8:11], s[4:5], 0x0
	s_ashr_i32 s4, s0, 31
	s_lshr_b32 s4, s4, 23
	s_add_i32 s0, s0, s4
	v_mul_lo_u32 v4, v1, s6
	s_ashr_i32 s0, s0, 9
	s_mul_i32 s0, s7, s0
	v_lshlrev_b32_e32 v2, 3, v0
	s_lshl_b32 s0, s0, 4
	v_and_b32_e32 v5, 8, v2
	v_mov_b32_e32 v2, 0
	s_mov_b64 s[4:5], 0
.LBB98_3:                               ; =>This Inner Loop Header: Depth=1
	v_add_u32_e32 v6, v4, v3
	s_waitcnt lgkmcnt(0)
	v_mad_i64_i32 v[6:7], s[14:15], v6, 18, s[8:9]
	v_add_u32_e32 v8, s0, v3
	v_mad_i64_i32 v[8:9], s[14:15], v8, 36, s[10:11]
	v_add_co_u32_e32 v10, vcc, v6, v5
	v_addc_co_u32_e32 v11, vcc, 0, v7, vcc
	v_add_co_u32_e32 v12, vcc, v8, v5
	v_addc_co_u32_e32 v13, vcc, 0, v9, vcc
	global_load_dwordx2 v[14:15], v[10:11], off offset:2
	global_load_dwordx2 v[16:17], v[12:13], off offset:4
	;; [unrolled: 1-line block ×3, first 2 shown]
	global_load_dword v20, v[8:9], off
	global_load_ushort v21, v[6:7], off
	v_add_u32_e32 v3, 32, v3
	v_cmp_le_u32_e32 vcc, s6, v3
	s_or_b64 s[4:5], vcc, s[4:5]
	s_waitcnt vmcnt(4)
	v_and_b32_e32 v7, 0xf0f0f0f, v14
	v_lshrrev_b32_e32 v8, 4, v14
	v_and_b32_e32 v8, 0xf0f0f0f, v8
	s_waitcnt vmcnt(3)
	v_dot4_i32_i8 v7, v7, v16, 0
	v_and_b32_e32 v9, 0xf0f0f0f, v15
	v_lshrrev_b32_e32 v10, 4, v15
	s_waitcnt vmcnt(2)
	v_dot4_i32_i8 v7, v8, v18, v7
	v_and_b32_e32 v10, 0xf0f0f0f, v10
	v_dot4_i32_i8 v7, v9, v17, v7
	s_waitcnt vmcnt(1)
	v_cvt_f32_f16_sdwa v6, v20 dst_sel:DWORD dst_unused:UNUSED_PAD src0_sel:WORD_1
	v_dot4_i32_i8 v7, v10, v19, v7
	v_cvt_f32_i32_e32 v7, v7
	v_mul_f32_e32 v6, -4.0, v6
	v_fma_mix_f32 v6, v7, v20, v6 op_sel_hi:[0,1,0]
	s_waitcnt vmcnt(0)
	v_fma_mix_f32 v2, v6, v21, v2 op_sel_hi:[0,1,0]
	s_andn2_b64 exec, exec, s[4:5]
	s_cbranch_execnz .LBB98_3
; %bb.4:
	s_or_b64 exec, exec, s[4:5]
.LBB98_5:
	s_or_b64 exec, exec, s[12:13]
	v_mbcnt_lo_u32_b32 v3, -1, 0
	v_mbcnt_hi_u32_b32 v3, -1, v3
	v_and_b32_e32 v4, 64, v3
	v_add_u32_e32 v4, 64, v4
	v_xor_b32_e32 v5, 32, v3
	v_cmp_lt_i32_e32 vcc, v5, v4
	v_cndmask_b32_e32 v5, v3, v5, vcc
	v_lshlrev_b32_e32 v5, 2, v5
	ds_bpermute_b32 v5, v5, v2
	v_xor_b32_e32 v6, 16, v3
	v_cmp_lt_i32_e32 vcc, v6, v4
	s_waitcnt lgkmcnt(0)
	v_add_f32_e32 v2, v2, v5
	v_cndmask_b32_e32 v5, v3, v6, vcc
	v_lshlrev_b32_e32 v5, 2, v5
	ds_bpermute_b32 v5, v5, v2
	v_xor_b32_e32 v6, 8, v3
	v_cmp_lt_i32_e32 vcc, v6, v4
	s_waitcnt lgkmcnt(0)
	v_add_f32_e32 v2, v2, v5
	;; [unrolled: 7-line block ×4, first 2 shown]
	v_cndmask_b32_e32 v5, v3, v6, vcc
	v_lshlrev_b32_e32 v5, 2, v5
	ds_bpermute_b32 v5, v5, v2
	v_xor_b32_e32 v6, 1, v3
	v_cmp_lt_i32_e32 vcc, v6, v4
	v_cndmask_b32_e32 v3, v3, v6, vcc
	v_lshlrev_b32_e32 v3, 2, v3
	s_waitcnt lgkmcnt(0)
	v_add_f32_e32 v2, v2, v5
	ds_bpermute_b32 v3, v3, v2
	v_cmp_eq_u32_e32 vcc, 0, v0
	s_and_b64 exec, exec, vcc
	s_cbranch_execz .LBB98_7
; %bb.6:
	s_waitcnt lgkmcnt(0)
	v_add_f32_e32 v0, v2, v3
	v_bfe_u32 v2, v0, 16, 1
	s_movk_i32 s0, 0x7fff
	v_add3_u32 v2, v0, v2, s0
	v_cmp_o_f32_e32 vcc, v0, v0
	v_mov_b32_e32 v0, 0x7fc0
	s_mul_i32 s0, s1, s7
	v_cndmask_b32_sdwa v2, v0, v2, vcc dst_sel:DWORD dst_unused:UNUSED_PAD src0_sel:DWORD src1_sel:WORD_1
	v_add_u32_e32 v0, s0, v1
	v_mov_b32_e32 v1, 0
	v_lshlrev_b64 v[0:1], 1, v[0:1]
	v_mov_b32_e32 v3, s3
	v_add_co_u32_e32 v0, vcc, s2, v0
	v_addc_co_u32_e32 v1, vcc, v3, v1, vcc
	global_store_short v[0:1], v2, off
.LBB98_7:
	s_endpgm
	.section	.rodata,"a",@progbits
	.p2align	6, 0x0
	.amdhsa_kernel _ZL13mul_mat_vec_qIN3c108BFloat16ELi32ELi4E10block_q4_0Li2EXadL_ZL17vec_dot_q4_0_q8_1PKvPK10block_q8_1RKiEEEvS4_S4_PT_iii
		.amdhsa_group_segment_fixed_size 0
		.amdhsa_private_segment_fixed_size 0
		.amdhsa_kernarg_size 296
		.amdhsa_user_sgpr_count 6
		.amdhsa_user_sgpr_private_segment_buffer 1
		.amdhsa_user_sgpr_dispatch_ptr 0
		.amdhsa_user_sgpr_queue_ptr 0
		.amdhsa_user_sgpr_kernarg_segment_ptr 1
		.amdhsa_user_sgpr_dispatch_id 0
		.amdhsa_user_sgpr_flat_scratch_init 0
		.amdhsa_user_sgpr_private_segment_size 0
		.amdhsa_uses_dynamic_stack 0
		.amdhsa_system_sgpr_private_segment_wavefront_offset 0
		.amdhsa_system_sgpr_workgroup_id_x 1
		.amdhsa_system_sgpr_workgroup_id_y 1
		.amdhsa_system_sgpr_workgroup_id_z 0
		.amdhsa_system_sgpr_workgroup_info 0
		.amdhsa_system_vgpr_workitem_id 1
		.amdhsa_next_free_vgpr 22
		.amdhsa_next_free_sgpr 16
		.amdhsa_reserve_vcc 1
		.amdhsa_reserve_flat_scratch 0
		.amdhsa_float_round_mode_32 0
		.amdhsa_float_round_mode_16_64 0
		.amdhsa_float_denorm_mode_32 3
		.amdhsa_float_denorm_mode_16_64 3
		.amdhsa_dx10_clamp 1
		.amdhsa_ieee_mode 1
		.amdhsa_fp16_overflow 0
		.amdhsa_exception_fp_ieee_invalid_op 0
		.amdhsa_exception_fp_denorm_src 0
		.amdhsa_exception_fp_ieee_div_zero 0
		.amdhsa_exception_fp_ieee_overflow 0
		.amdhsa_exception_fp_ieee_underflow 0
		.amdhsa_exception_fp_ieee_inexact 0
		.amdhsa_exception_int_div_zero 0
	.end_amdhsa_kernel
	.section	.text._ZL13mul_mat_vec_qIN3c108BFloat16ELi32ELi4E10block_q4_0Li2EXadL_ZL17vec_dot_q4_0_q8_1PKvPK10block_q8_1RKiEEEvS4_S4_PT_iii,"axG",@progbits,_ZL13mul_mat_vec_qIN3c108BFloat16ELi32ELi4E10block_q4_0Li2EXadL_ZL17vec_dot_q4_0_q8_1PKvPK10block_q8_1RKiEEEvS4_S4_PT_iii,comdat
.Lfunc_end98:
	.size	_ZL13mul_mat_vec_qIN3c108BFloat16ELi32ELi4E10block_q4_0Li2EXadL_ZL17vec_dot_q4_0_q8_1PKvPK10block_q8_1RKiEEEvS4_S4_PT_iii, .Lfunc_end98-_ZL13mul_mat_vec_qIN3c108BFloat16ELi32ELi4E10block_q4_0Li2EXadL_ZL17vec_dot_q4_0_q8_1PKvPK10block_q8_1RKiEEEvS4_S4_PT_iii
                                        ; -- End function
	.set _ZL13mul_mat_vec_qIN3c108BFloat16ELi32ELi4E10block_q4_0Li2EXadL_ZL17vec_dot_q4_0_q8_1PKvPK10block_q8_1RKiEEEvS4_S4_PT_iii.num_vgpr, 22
	.set _ZL13mul_mat_vec_qIN3c108BFloat16ELi32ELi4E10block_q4_0Li2EXadL_ZL17vec_dot_q4_0_q8_1PKvPK10block_q8_1RKiEEEvS4_S4_PT_iii.num_agpr, 0
	.set _ZL13mul_mat_vec_qIN3c108BFloat16ELi32ELi4E10block_q4_0Li2EXadL_ZL17vec_dot_q4_0_q8_1PKvPK10block_q8_1RKiEEEvS4_S4_PT_iii.numbered_sgpr, 16
	.set _ZL13mul_mat_vec_qIN3c108BFloat16ELi32ELi4E10block_q4_0Li2EXadL_ZL17vec_dot_q4_0_q8_1PKvPK10block_q8_1RKiEEEvS4_S4_PT_iii.num_named_barrier, 0
	.set _ZL13mul_mat_vec_qIN3c108BFloat16ELi32ELi4E10block_q4_0Li2EXadL_ZL17vec_dot_q4_0_q8_1PKvPK10block_q8_1RKiEEEvS4_S4_PT_iii.private_seg_size, 0
	.set _ZL13mul_mat_vec_qIN3c108BFloat16ELi32ELi4E10block_q4_0Li2EXadL_ZL17vec_dot_q4_0_q8_1PKvPK10block_q8_1RKiEEEvS4_S4_PT_iii.uses_vcc, 1
	.set _ZL13mul_mat_vec_qIN3c108BFloat16ELi32ELi4E10block_q4_0Li2EXadL_ZL17vec_dot_q4_0_q8_1PKvPK10block_q8_1RKiEEEvS4_S4_PT_iii.uses_flat_scratch, 0
	.set _ZL13mul_mat_vec_qIN3c108BFloat16ELi32ELi4E10block_q4_0Li2EXadL_ZL17vec_dot_q4_0_q8_1PKvPK10block_q8_1RKiEEEvS4_S4_PT_iii.has_dyn_sized_stack, 0
	.set _ZL13mul_mat_vec_qIN3c108BFloat16ELi32ELi4E10block_q4_0Li2EXadL_ZL17vec_dot_q4_0_q8_1PKvPK10block_q8_1RKiEEEvS4_S4_PT_iii.has_recursion, 0
	.set _ZL13mul_mat_vec_qIN3c108BFloat16ELi32ELi4E10block_q4_0Li2EXadL_ZL17vec_dot_q4_0_q8_1PKvPK10block_q8_1RKiEEEvS4_S4_PT_iii.has_indirect_call, 0
	.section	.AMDGPU.csdata,"",@progbits
; Kernel info:
; codeLenInByte = 708
; TotalNumSgprs: 20
; NumVgprs: 22
; ScratchSize: 0
; MemoryBound: 0
; FloatMode: 240
; IeeeMode: 1
; LDSByteSize: 0 bytes/workgroup (compile time only)
; SGPRBlocks: 2
; VGPRBlocks: 5
; NumSGPRsForWavesPerEU: 20
; NumVGPRsForWavesPerEU: 22
; Occupancy: 10
; WaveLimiterHint : 0
; COMPUTE_PGM_RSRC2:SCRATCH_EN: 0
; COMPUTE_PGM_RSRC2:USER_SGPR: 6
; COMPUTE_PGM_RSRC2:TRAP_HANDLER: 0
; COMPUTE_PGM_RSRC2:TGID_X_EN: 1
; COMPUTE_PGM_RSRC2:TGID_Y_EN: 1
; COMPUTE_PGM_RSRC2:TGID_Z_EN: 0
; COMPUTE_PGM_RSRC2:TIDIG_COMP_CNT: 1
	.section	.text._ZL13mul_mat_vec_qIN3c108BFloat16ELi32ELi4E10block_q4_1Li2EXadL_ZL17vec_dot_q4_1_q8_1PKvPK10block_q8_1RKiEEEvS4_S4_PT_iii,"axG",@progbits,_ZL13mul_mat_vec_qIN3c108BFloat16ELi32ELi4E10block_q4_1Li2EXadL_ZL17vec_dot_q4_1_q8_1PKvPK10block_q8_1RKiEEEvS4_S4_PT_iii,comdat
	.globl	_ZL13mul_mat_vec_qIN3c108BFloat16ELi32ELi4E10block_q4_1Li2EXadL_ZL17vec_dot_q4_1_q8_1PKvPK10block_q8_1RKiEEEvS4_S4_PT_iii ; -- Begin function _ZL13mul_mat_vec_qIN3c108BFloat16ELi32ELi4E10block_q4_1Li2EXadL_ZL17vec_dot_q4_1_q8_1PKvPK10block_q8_1RKiEEEvS4_S4_PT_iii
	.p2align	8
	.type	_ZL13mul_mat_vec_qIN3c108BFloat16ELi32ELi4E10block_q4_1Li2EXadL_ZL17vec_dot_q4_1_q8_1PKvPK10block_q8_1RKiEEEvS4_S4_PT_iii,@function
_ZL13mul_mat_vec_qIN3c108BFloat16ELi32ELi4E10block_q4_1Li2EXadL_ZL17vec_dot_q4_1_q8_1PKvPK10block_q8_1RKiEEEvS4_S4_PT_iii: ; @_ZL13mul_mat_vec_qIN3c108BFloat16ELi32ELi4E10block_q4_1Li2EXadL_ZL17vec_dot_q4_1_q8_1PKvPK10block_q8_1RKiEEEvS4_S4_PT_iii
; %bb.0:
	s_load_dword s8, s[4:5], 0x34
	s_load_dwordx4 s[0:3], s[4:5], 0x18
	s_waitcnt lgkmcnt(0)
	s_lshr_b32 s3, s8, 16
	s_mul_i32 s6, s6, s3
	v_add_u32_e32 v1, s6, v1
	s_cmp_lt_u32 s7, s2
	v_cmp_gt_u32_e32 vcc, s1, v1
	s_cselect_b64 s[2:3], -1, 0
	s_and_b64 s[2:3], s[2:3], vcc
	s_and_saveexec_b64 s[8:9], s[2:3]
	s_cbranch_execz .LBB99_7
; %bb.1:
	s_load_dwordx2 s[2:3], s[4:5], 0x10
	s_ashr_i32 s6, s0, 31
	s_lshr_b32 s6, s6, 27
	s_add_i32 s6, s0, s6
	s_ashr_i32 s6, s6, 5
	v_lshrrev_b32_e32 v3, 1, v0
	v_cmp_gt_u32_e32 vcc, s6, v3
	v_mov_b32_e32 v2, 0
	s_and_saveexec_b64 s[12:13], vcc
	s_cbranch_execz .LBB99_5
; %bb.2:
	s_addk_i32 s0, 0x1ff
	s_load_dwordx4 s[8:11], s[4:5], 0x0
	s_ashr_i32 s4, s0, 31
	s_lshr_b32 s4, s4, 23
	s_add_i32 s0, s0, s4
	v_mul_lo_u32 v4, v1, s6
	s_ashr_i32 s0, s0, 9
	s_mul_i32 s0, s7, s0
	v_lshlrev_b32_e32 v2, 3, v0
	s_lshl_b32 s0, s0, 4
	v_and_b32_e32 v5, 8, v2
	v_mov_b32_e32 v2, 0
	s_mov_b64 s[4:5], 0
.LBB99_3:                               ; =>This Inner Loop Header: Depth=1
	v_add_u32_e32 v6, v4, v3
	s_waitcnt lgkmcnt(0)
	v_mad_i64_i32 v[6:7], s[14:15], v6, 20, s[8:9]
	v_add_u32_e32 v8, s0, v3
	v_mad_i64_i32 v[8:9], s[14:15], v8, 36, s[10:11]
	v_add_co_u32_e32 v10, vcc, v6, v5
	v_addc_co_u32_e32 v11, vcc, 0, v7, vcc
	v_add_co_u32_e32 v12, vcc, v8, v5
	v_addc_co_u32_e32 v13, vcc, 0, v9, vcc
	global_load_dword v20, v[6:7], off
	global_load_dwordx2 v[14:15], v[10:11], off offset:4
	global_load_dwordx2 v[16:17], v[12:13], off offset:4
	;; [unrolled: 1-line block ×3, first 2 shown]
	global_load_dword v21, v[8:9], off
	v_add_u32_e32 v3, 32, v3
	v_cmp_le_u32_e32 vcc, s6, v3
	s_or_b64 s[4:5], vcc, s[4:5]
	s_waitcnt vmcnt(3)
	v_and_b32_e32 v7, 0xf0f0f0f, v14
	v_lshrrev_b32_e32 v8, 4, v14
	v_and_b32_e32 v8, 0xf0f0f0f, v8
	s_waitcnt vmcnt(2)
	v_dot4_i32_i8 v7, v7, v16, 0
	v_and_b32_e32 v9, 0xf0f0f0f, v15
	v_lshrrev_b32_e32 v10, 4, v15
	s_waitcnt vmcnt(1)
	v_dot4_i32_i8 v7, v8, v18, v7
	s_waitcnt vmcnt(0)
	v_pk_mul_f16 v6, v20, v21
	v_and_b32_e32 v10, 0xf0f0f0f, v10
	v_dot4_i32_i8 v7, v9, v17, v7
	v_cvt_f32_f16_sdwa v11, v6 dst_sel:DWORD dst_unused:UNUSED_PAD src0_sel:WORD_1
	v_dot4_i32_i8 v7, v10, v19, v7
	v_cvt_f32_i32_e32 v7, v7
	v_mul_f32_e32 v8, 0.5, v11
	v_fma_mix_f32 v6, v7, v6, v8 op_sel_hi:[0,1,0]
	v_add_f32_e32 v2, v2, v6
	s_andn2_b64 exec, exec, s[4:5]
	s_cbranch_execnz .LBB99_3
; %bb.4:
	s_or_b64 exec, exec, s[4:5]
.LBB99_5:
	s_or_b64 exec, exec, s[12:13]
	v_mbcnt_lo_u32_b32 v3, -1, 0
	v_mbcnt_hi_u32_b32 v3, -1, v3
	v_and_b32_e32 v4, 64, v3
	v_add_u32_e32 v4, 64, v4
	v_xor_b32_e32 v5, 32, v3
	v_cmp_lt_i32_e32 vcc, v5, v4
	v_cndmask_b32_e32 v5, v3, v5, vcc
	v_lshlrev_b32_e32 v5, 2, v5
	ds_bpermute_b32 v5, v5, v2
	v_xor_b32_e32 v6, 16, v3
	v_cmp_lt_i32_e32 vcc, v6, v4
	s_waitcnt lgkmcnt(0)
	v_add_f32_e32 v2, v2, v5
	v_cndmask_b32_e32 v5, v3, v6, vcc
	v_lshlrev_b32_e32 v5, 2, v5
	ds_bpermute_b32 v5, v5, v2
	v_xor_b32_e32 v6, 8, v3
	v_cmp_lt_i32_e32 vcc, v6, v4
	s_waitcnt lgkmcnt(0)
	v_add_f32_e32 v2, v2, v5
	;; [unrolled: 7-line block ×4, first 2 shown]
	v_cndmask_b32_e32 v5, v3, v6, vcc
	v_lshlrev_b32_e32 v5, 2, v5
	ds_bpermute_b32 v5, v5, v2
	v_xor_b32_e32 v6, 1, v3
	v_cmp_lt_i32_e32 vcc, v6, v4
	v_cndmask_b32_e32 v3, v3, v6, vcc
	v_lshlrev_b32_e32 v3, 2, v3
	s_waitcnt lgkmcnt(0)
	v_add_f32_e32 v2, v2, v5
	ds_bpermute_b32 v3, v3, v2
	v_cmp_eq_u32_e32 vcc, 0, v0
	s_and_b64 exec, exec, vcc
	s_cbranch_execz .LBB99_7
; %bb.6:
	s_waitcnt lgkmcnt(0)
	v_add_f32_e32 v0, v2, v3
	v_bfe_u32 v2, v0, 16, 1
	s_movk_i32 s0, 0x7fff
	v_add3_u32 v2, v0, v2, s0
	v_cmp_o_f32_e32 vcc, v0, v0
	v_mov_b32_e32 v0, 0x7fc0
	s_mul_i32 s0, s1, s7
	v_cndmask_b32_sdwa v2, v0, v2, vcc dst_sel:DWORD dst_unused:UNUSED_PAD src0_sel:DWORD src1_sel:WORD_1
	v_add_u32_e32 v0, s0, v1
	v_mov_b32_e32 v1, 0
	v_lshlrev_b64 v[0:1], 1, v[0:1]
	v_mov_b32_e32 v3, s3
	v_add_co_u32_e32 v0, vcc, s2, v0
	v_addc_co_u32_e32 v1, vcc, v3, v1, vcc
	global_store_short v[0:1], v2, off
.LBB99_7:
	s_endpgm
	.section	.rodata,"a",@progbits
	.p2align	6, 0x0
	.amdhsa_kernel _ZL13mul_mat_vec_qIN3c108BFloat16ELi32ELi4E10block_q4_1Li2EXadL_ZL17vec_dot_q4_1_q8_1PKvPK10block_q8_1RKiEEEvS4_S4_PT_iii
		.amdhsa_group_segment_fixed_size 0
		.amdhsa_private_segment_fixed_size 0
		.amdhsa_kernarg_size 296
		.amdhsa_user_sgpr_count 6
		.amdhsa_user_sgpr_private_segment_buffer 1
		.amdhsa_user_sgpr_dispatch_ptr 0
		.amdhsa_user_sgpr_queue_ptr 0
		.amdhsa_user_sgpr_kernarg_segment_ptr 1
		.amdhsa_user_sgpr_dispatch_id 0
		.amdhsa_user_sgpr_flat_scratch_init 0
		.amdhsa_user_sgpr_private_segment_size 0
		.amdhsa_uses_dynamic_stack 0
		.amdhsa_system_sgpr_private_segment_wavefront_offset 0
		.amdhsa_system_sgpr_workgroup_id_x 1
		.amdhsa_system_sgpr_workgroup_id_y 1
		.amdhsa_system_sgpr_workgroup_id_z 0
		.amdhsa_system_sgpr_workgroup_info 0
		.amdhsa_system_vgpr_workitem_id 1
		.amdhsa_next_free_vgpr 22
		.amdhsa_next_free_sgpr 16
		.amdhsa_reserve_vcc 1
		.amdhsa_reserve_flat_scratch 0
		.amdhsa_float_round_mode_32 0
		.amdhsa_float_round_mode_16_64 0
		.amdhsa_float_denorm_mode_32 3
		.amdhsa_float_denorm_mode_16_64 3
		.amdhsa_dx10_clamp 1
		.amdhsa_ieee_mode 1
		.amdhsa_fp16_overflow 0
		.amdhsa_exception_fp_ieee_invalid_op 0
		.amdhsa_exception_fp_denorm_src 0
		.amdhsa_exception_fp_ieee_div_zero 0
		.amdhsa_exception_fp_ieee_overflow 0
		.amdhsa_exception_fp_ieee_underflow 0
		.amdhsa_exception_fp_ieee_inexact 0
		.amdhsa_exception_int_div_zero 0
	.end_amdhsa_kernel
	.section	.text._ZL13mul_mat_vec_qIN3c108BFloat16ELi32ELi4E10block_q4_1Li2EXadL_ZL17vec_dot_q4_1_q8_1PKvPK10block_q8_1RKiEEEvS4_S4_PT_iii,"axG",@progbits,_ZL13mul_mat_vec_qIN3c108BFloat16ELi32ELi4E10block_q4_1Li2EXadL_ZL17vec_dot_q4_1_q8_1PKvPK10block_q8_1RKiEEEvS4_S4_PT_iii,comdat
.Lfunc_end99:
	.size	_ZL13mul_mat_vec_qIN3c108BFloat16ELi32ELi4E10block_q4_1Li2EXadL_ZL17vec_dot_q4_1_q8_1PKvPK10block_q8_1RKiEEEvS4_S4_PT_iii, .Lfunc_end99-_ZL13mul_mat_vec_qIN3c108BFloat16ELi32ELi4E10block_q4_1Li2EXadL_ZL17vec_dot_q4_1_q8_1PKvPK10block_q8_1RKiEEEvS4_S4_PT_iii
                                        ; -- End function
	.set _ZL13mul_mat_vec_qIN3c108BFloat16ELi32ELi4E10block_q4_1Li2EXadL_ZL17vec_dot_q4_1_q8_1PKvPK10block_q8_1RKiEEEvS4_S4_PT_iii.num_vgpr, 22
	.set _ZL13mul_mat_vec_qIN3c108BFloat16ELi32ELi4E10block_q4_1Li2EXadL_ZL17vec_dot_q4_1_q8_1PKvPK10block_q8_1RKiEEEvS4_S4_PT_iii.num_agpr, 0
	.set _ZL13mul_mat_vec_qIN3c108BFloat16ELi32ELi4E10block_q4_1Li2EXadL_ZL17vec_dot_q4_1_q8_1PKvPK10block_q8_1RKiEEEvS4_S4_PT_iii.numbered_sgpr, 16
	.set _ZL13mul_mat_vec_qIN3c108BFloat16ELi32ELi4E10block_q4_1Li2EXadL_ZL17vec_dot_q4_1_q8_1PKvPK10block_q8_1RKiEEEvS4_S4_PT_iii.num_named_barrier, 0
	.set _ZL13mul_mat_vec_qIN3c108BFloat16ELi32ELi4E10block_q4_1Li2EXadL_ZL17vec_dot_q4_1_q8_1PKvPK10block_q8_1RKiEEEvS4_S4_PT_iii.private_seg_size, 0
	.set _ZL13mul_mat_vec_qIN3c108BFloat16ELi32ELi4E10block_q4_1Li2EXadL_ZL17vec_dot_q4_1_q8_1PKvPK10block_q8_1RKiEEEvS4_S4_PT_iii.uses_vcc, 1
	.set _ZL13mul_mat_vec_qIN3c108BFloat16ELi32ELi4E10block_q4_1Li2EXadL_ZL17vec_dot_q4_1_q8_1PKvPK10block_q8_1RKiEEEvS4_S4_PT_iii.uses_flat_scratch, 0
	.set _ZL13mul_mat_vec_qIN3c108BFloat16ELi32ELi4E10block_q4_1Li2EXadL_ZL17vec_dot_q4_1_q8_1PKvPK10block_q8_1RKiEEEvS4_S4_PT_iii.has_dyn_sized_stack, 0
	.set _ZL13mul_mat_vec_qIN3c108BFloat16ELi32ELi4E10block_q4_1Li2EXadL_ZL17vec_dot_q4_1_q8_1PKvPK10block_q8_1RKiEEEvS4_S4_PT_iii.has_recursion, 0
	.set _ZL13mul_mat_vec_qIN3c108BFloat16ELi32ELi4E10block_q4_1Li2EXadL_ZL17vec_dot_q4_1_q8_1PKvPK10block_q8_1RKiEEEvS4_S4_PT_iii.has_indirect_call, 0
	.section	.AMDGPU.csdata,"",@progbits
; Kernel info:
; codeLenInByte = 708
; TotalNumSgprs: 20
; NumVgprs: 22
; ScratchSize: 0
; MemoryBound: 0
; FloatMode: 240
; IeeeMode: 1
; LDSByteSize: 0 bytes/workgroup (compile time only)
; SGPRBlocks: 2
; VGPRBlocks: 5
; NumSGPRsForWavesPerEU: 20
; NumVGPRsForWavesPerEU: 22
; Occupancy: 10
; WaveLimiterHint : 0
; COMPUTE_PGM_RSRC2:SCRATCH_EN: 0
; COMPUTE_PGM_RSRC2:USER_SGPR: 6
; COMPUTE_PGM_RSRC2:TRAP_HANDLER: 0
; COMPUTE_PGM_RSRC2:TGID_X_EN: 1
; COMPUTE_PGM_RSRC2:TGID_Y_EN: 1
; COMPUTE_PGM_RSRC2:TGID_Z_EN: 0
; COMPUTE_PGM_RSRC2:TIDIG_COMP_CNT: 1
	.section	.text._ZL13mul_mat_vec_qIN3c108BFloat16ELi32ELi4E10block_q5_0Li2EXadL_ZL17vec_dot_q5_0_q8_1PKvPK10block_q8_1RKiEEEvS4_S4_PT_iii,"axG",@progbits,_ZL13mul_mat_vec_qIN3c108BFloat16ELi32ELi4E10block_q5_0Li2EXadL_ZL17vec_dot_q5_0_q8_1PKvPK10block_q8_1RKiEEEvS4_S4_PT_iii,comdat
	.globl	_ZL13mul_mat_vec_qIN3c108BFloat16ELi32ELi4E10block_q5_0Li2EXadL_ZL17vec_dot_q5_0_q8_1PKvPK10block_q8_1RKiEEEvS4_S4_PT_iii ; -- Begin function _ZL13mul_mat_vec_qIN3c108BFloat16ELi32ELi4E10block_q5_0Li2EXadL_ZL17vec_dot_q5_0_q8_1PKvPK10block_q8_1RKiEEEvS4_S4_PT_iii
	.p2align	8
	.type	_ZL13mul_mat_vec_qIN3c108BFloat16ELi32ELi4E10block_q5_0Li2EXadL_ZL17vec_dot_q5_0_q8_1PKvPK10block_q8_1RKiEEEvS4_S4_PT_iii,@function
_ZL13mul_mat_vec_qIN3c108BFloat16ELi32ELi4E10block_q5_0Li2EXadL_ZL17vec_dot_q5_0_q8_1PKvPK10block_q8_1RKiEEEvS4_S4_PT_iii: ; @_ZL13mul_mat_vec_qIN3c108BFloat16ELi32ELi4E10block_q5_0Li2EXadL_ZL17vec_dot_q5_0_q8_1PKvPK10block_q8_1RKiEEEvS4_S4_PT_iii
; %bb.0:
	s_load_dword s8, s[4:5], 0x34
	s_load_dwordx4 s[0:3], s[4:5], 0x18
	s_waitcnt lgkmcnt(0)
	s_lshr_b32 s3, s8, 16
	s_mul_i32 s6, s6, s3
	v_add_u32_e32 v1, s6, v1
	s_cmp_lt_u32 s7, s2
	v_cmp_gt_u32_e32 vcc, s1, v1
	s_cselect_b64 s[2:3], -1, 0
	s_and_b64 s[2:3], s[2:3], vcc
	s_and_saveexec_b64 s[8:9], s[2:3]
	s_cbranch_execz .LBB100_7
; %bb.1:
	s_load_dwordx2 s[2:3], s[4:5], 0x10
	s_ashr_i32 s6, s0, 31
	s_lshr_b32 s6, s6, 27
	s_add_i32 s6, s0, s6
	s_ashr_i32 s6, s6, 5
	v_lshrrev_b32_e32 v3, 1, v0
	v_cmp_gt_u32_e32 vcc, s6, v3
	v_mov_b32_e32 v2, 0
	s_and_saveexec_b64 s[12:13], vcc
	s_cbranch_execz .LBB100_5
; %bb.2:
	s_addk_i32 s0, 0x1ff
	s_load_dwordx4 s[8:11], s[4:5], 0x0
	s_ashr_i32 s4, s0, 31
	s_lshr_b32 s4, s4, 23
	s_add_i32 s0, s0, s4
	v_mul_lo_u32 v4, v1, s6
	s_ashr_i32 s0, s0, 9
	v_lshlrev_b32_e32 v2, 3, v0
	s_mul_i32 s0, s7, s0
	v_and_b32_e32 v5, 8, v2
	s_lshl_b32 s0, s0, 4
	v_mov_b32_e32 v2, 0
	v_or_b32_e32 v6, 4, v5
	s_mov_b64 s[4:5], 0
.LBB100_3:                              ; =>This Inner Loop Header: Depth=1
	v_add_u32_e32 v7, v4, v3
	s_waitcnt lgkmcnt(0)
	v_mad_i64_i32 v[7:8], s[14:15], v7, 22, s[8:9]
	v_add_u32_e32 v9, s0, v3
	v_mad_i64_i32 v[9:10], s[14:15], v9, 36, s[10:11]
	v_add_co_u32_e32 v11, vcc, v7, v5
	v_addc_co_u32_e32 v12, vcc, 0, v8, vcc
	global_load_dword v17, v[7:8], off offset:2
	global_load_ushort v18, v[7:8], off
	global_load_dwordx2 v[15:16], v[11:12], off offset:6
	v_add_co_u32_e32 v13, vcc, v9, v5
	v_addc_co_u32_e32 v14, vcc, 0, v10, vcc
	v_add_u32_e32 v3, 32, v3
	v_cmp_le_u32_e32 vcc, s6, v3
	s_or_b64 s[4:5], vcc, s[4:5]
	s_waitcnt vmcnt(2)
	v_ashrrev_i32_e32 v19, v5, v17
	v_lshlrev_b32_e32 v8, 4, v19
	v_lshlrev_b32_e32 v11, 11, v19
	v_lshrrev_b32_e32 v12, 12, v19
	v_lshrrev_b32_e32 v20, 5, v19
	v_lshlrev_b32_e32 v21, 2, v19
	v_ashrrev_i32_e32 v17, v6, v17
	s_waitcnt vmcnt(0)
	v_and_b32_e32 v7, 0xf0f0f0f, v15
	v_and_b32_e32 v8, 16, v8
	;; [unrolled: 1-line block ×6, first 2 shown]
	v_or3_b32 v7, v8, v7, v11
	v_lshlrev_b32_e32 v8, 4, v17
	v_lshlrev_b32_e32 v11, 11, v17
	v_or3_b32 v20, v20, v12, v21
	v_lshlrev_b32_e32 v12, 18, v17
	v_and_b32_e32 v8, 16, v8
	v_and_b32_e32 v11, 0x1000, v11
	;; [unrolled: 1-line block ×3, first 2 shown]
	v_lshrrev_b32_e32 v21, 12, v17
	v_or3_b32 v22, v11, v8, v12
	v_lshrrev_b32_e32 v8, 5, v17
	v_lshlrev_b32_e32 v11, 2, v17
	v_and_b32_e32 v12, 16, v21
	v_and_b32_e32 v8, 0x1000, v8
	;; [unrolled: 1-line block ×3, first 2 shown]
	v_or3_b32 v21, v8, v12, v11
	v_lshlrev_b32_e32 v8, 18, v19
	v_lshlrev_b32_e32 v11, 25, v19
	v_and_b32_e32 v8, 0x100000, v8
	v_and_b32_e32 v11, 0x10000000, v11
	v_or3_b32 v23, v7, v8, v11
	global_load_dwordx2 v[7:8], v[13:14], off offset:4
	global_load_dwordx2 v[11:12], v[13:14], off offset:20
                                        ; kill: killed $vgpr13 killed $vgpr14
	s_nop 0
	global_load_dword v9, v[9:10], off
	v_lshrrev_b32_e32 v10, 4, v15
	v_lshlrev_b32_e32 v13, 9, v19
	v_and_b32_e32 v10, 0xf0f0f0f, v10
	v_and_b32_e32 v13, 0x10000000, v13
	v_and_b32_e32 v14, 0xf0f0f0f, v16
	v_lshrrev_b32_e32 v15, 4, v16
	v_lshlrev_b32_e32 v16, 25, v17
	v_or3_b32 v10, v20, v13, v10
	v_lshlrev_b32_e32 v17, 9, v17
	v_and_b32_e32 v16, 0x10000000, v16
	v_and_b32_e32 v15, 0xf0f0f0f, v15
	;; [unrolled: 1-line block ×3, first 2 shown]
	v_or3_b32 v14, v22, v16, v14
	v_or3_b32 v15, v21, v17, v15
	s_waitcnt vmcnt(2)
	v_dot4_i32_i8 v7, v23, v7, 0
	s_waitcnt vmcnt(1)
	v_dot4_i32_i8 v7, v10, v11, v7
	v_dot4_i32_i8 v7, v14, v8, v7
	s_waitcnt vmcnt(0)
	v_cvt_f32_f16_sdwa v13, v9 dst_sel:DWORD dst_unused:UNUSED_PAD src0_sel:WORD_1
	v_dot4_i32_i8 v7, v15, v12, v7
	v_cvt_f32_i32_e32 v7, v7
	v_mul_f32_e32 v8, 0xc1000000, v13
	v_fma_mix_f32 v7, v9, v7, v8 op_sel_hi:[1,0,0]
	v_fma_mix_f32 v2, v7, v18, v2 op_sel_hi:[0,1,0]
	s_andn2_b64 exec, exec, s[4:5]
	s_cbranch_execnz .LBB100_3
; %bb.4:
	s_or_b64 exec, exec, s[4:5]
.LBB100_5:
	s_or_b64 exec, exec, s[12:13]
	v_mbcnt_lo_u32_b32 v3, -1, 0
	v_mbcnt_hi_u32_b32 v3, -1, v3
	v_and_b32_e32 v4, 64, v3
	v_add_u32_e32 v4, 64, v4
	v_xor_b32_e32 v5, 32, v3
	v_cmp_lt_i32_e32 vcc, v5, v4
	v_cndmask_b32_e32 v5, v3, v5, vcc
	v_lshlrev_b32_e32 v5, 2, v5
	ds_bpermute_b32 v5, v5, v2
	v_xor_b32_e32 v6, 16, v3
	v_cmp_lt_i32_e32 vcc, v6, v4
	s_waitcnt lgkmcnt(0)
	v_add_f32_e32 v2, v2, v5
	v_cndmask_b32_e32 v5, v3, v6, vcc
	v_lshlrev_b32_e32 v5, 2, v5
	ds_bpermute_b32 v5, v5, v2
	v_xor_b32_e32 v6, 8, v3
	v_cmp_lt_i32_e32 vcc, v6, v4
	s_waitcnt lgkmcnt(0)
	v_add_f32_e32 v2, v2, v5
	;; [unrolled: 7-line block ×4, first 2 shown]
	v_cndmask_b32_e32 v5, v3, v6, vcc
	v_lshlrev_b32_e32 v5, 2, v5
	ds_bpermute_b32 v5, v5, v2
	v_xor_b32_e32 v6, 1, v3
	v_cmp_lt_i32_e32 vcc, v6, v4
	v_cndmask_b32_e32 v3, v3, v6, vcc
	v_lshlrev_b32_e32 v3, 2, v3
	s_waitcnt lgkmcnt(0)
	v_add_f32_e32 v2, v2, v5
	ds_bpermute_b32 v3, v3, v2
	v_cmp_eq_u32_e32 vcc, 0, v0
	s_and_b64 exec, exec, vcc
	s_cbranch_execz .LBB100_7
; %bb.6:
	s_waitcnt lgkmcnt(0)
	v_add_f32_e32 v0, v2, v3
	v_bfe_u32 v2, v0, 16, 1
	s_movk_i32 s0, 0x7fff
	v_add3_u32 v2, v0, v2, s0
	v_cmp_o_f32_e32 vcc, v0, v0
	v_mov_b32_e32 v0, 0x7fc0
	s_mul_i32 s0, s1, s7
	v_cndmask_b32_sdwa v2, v0, v2, vcc dst_sel:DWORD dst_unused:UNUSED_PAD src0_sel:DWORD src1_sel:WORD_1
	v_add_u32_e32 v0, s0, v1
	v_mov_b32_e32 v1, 0
	v_lshlrev_b64 v[0:1], 1, v[0:1]
	v_mov_b32_e32 v3, s3
	v_add_co_u32_e32 v0, vcc, s2, v0
	v_addc_co_u32_e32 v1, vcc, v3, v1, vcc
	global_store_short v[0:1], v2, off
.LBB100_7:
	s_endpgm
	.section	.rodata,"a",@progbits
	.p2align	6, 0x0
	.amdhsa_kernel _ZL13mul_mat_vec_qIN3c108BFloat16ELi32ELi4E10block_q5_0Li2EXadL_ZL17vec_dot_q5_0_q8_1PKvPK10block_q8_1RKiEEEvS4_S4_PT_iii
		.amdhsa_group_segment_fixed_size 0
		.amdhsa_private_segment_fixed_size 0
		.amdhsa_kernarg_size 296
		.amdhsa_user_sgpr_count 6
		.amdhsa_user_sgpr_private_segment_buffer 1
		.amdhsa_user_sgpr_dispatch_ptr 0
		.amdhsa_user_sgpr_queue_ptr 0
		.amdhsa_user_sgpr_kernarg_segment_ptr 1
		.amdhsa_user_sgpr_dispatch_id 0
		.amdhsa_user_sgpr_flat_scratch_init 0
		.amdhsa_user_sgpr_private_segment_size 0
		.amdhsa_uses_dynamic_stack 0
		.amdhsa_system_sgpr_private_segment_wavefront_offset 0
		.amdhsa_system_sgpr_workgroup_id_x 1
		.amdhsa_system_sgpr_workgroup_id_y 1
		.amdhsa_system_sgpr_workgroup_id_z 0
		.amdhsa_system_sgpr_workgroup_info 0
		.amdhsa_system_vgpr_workitem_id 1
		.amdhsa_next_free_vgpr 24
		.amdhsa_next_free_sgpr 16
		.amdhsa_reserve_vcc 1
		.amdhsa_reserve_flat_scratch 0
		.amdhsa_float_round_mode_32 0
		.amdhsa_float_round_mode_16_64 0
		.amdhsa_float_denorm_mode_32 3
		.amdhsa_float_denorm_mode_16_64 3
		.amdhsa_dx10_clamp 1
		.amdhsa_ieee_mode 1
		.amdhsa_fp16_overflow 0
		.amdhsa_exception_fp_ieee_invalid_op 0
		.amdhsa_exception_fp_denorm_src 0
		.amdhsa_exception_fp_ieee_div_zero 0
		.amdhsa_exception_fp_ieee_overflow 0
		.amdhsa_exception_fp_ieee_underflow 0
		.amdhsa_exception_fp_ieee_inexact 0
		.amdhsa_exception_int_div_zero 0
	.end_amdhsa_kernel
	.section	.text._ZL13mul_mat_vec_qIN3c108BFloat16ELi32ELi4E10block_q5_0Li2EXadL_ZL17vec_dot_q5_0_q8_1PKvPK10block_q8_1RKiEEEvS4_S4_PT_iii,"axG",@progbits,_ZL13mul_mat_vec_qIN3c108BFloat16ELi32ELi4E10block_q5_0Li2EXadL_ZL17vec_dot_q5_0_q8_1PKvPK10block_q8_1RKiEEEvS4_S4_PT_iii,comdat
.Lfunc_end100:
	.size	_ZL13mul_mat_vec_qIN3c108BFloat16ELi32ELi4E10block_q5_0Li2EXadL_ZL17vec_dot_q5_0_q8_1PKvPK10block_q8_1RKiEEEvS4_S4_PT_iii, .Lfunc_end100-_ZL13mul_mat_vec_qIN3c108BFloat16ELi32ELi4E10block_q5_0Li2EXadL_ZL17vec_dot_q5_0_q8_1PKvPK10block_q8_1RKiEEEvS4_S4_PT_iii
                                        ; -- End function
	.set _ZL13mul_mat_vec_qIN3c108BFloat16ELi32ELi4E10block_q5_0Li2EXadL_ZL17vec_dot_q5_0_q8_1PKvPK10block_q8_1RKiEEEvS4_S4_PT_iii.num_vgpr, 24
	.set _ZL13mul_mat_vec_qIN3c108BFloat16ELi32ELi4E10block_q5_0Li2EXadL_ZL17vec_dot_q5_0_q8_1PKvPK10block_q8_1RKiEEEvS4_S4_PT_iii.num_agpr, 0
	.set _ZL13mul_mat_vec_qIN3c108BFloat16ELi32ELi4E10block_q5_0Li2EXadL_ZL17vec_dot_q5_0_q8_1PKvPK10block_q8_1RKiEEEvS4_S4_PT_iii.numbered_sgpr, 16
	.set _ZL13mul_mat_vec_qIN3c108BFloat16ELi32ELi4E10block_q5_0Li2EXadL_ZL17vec_dot_q5_0_q8_1PKvPK10block_q8_1RKiEEEvS4_S4_PT_iii.num_named_barrier, 0
	.set _ZL13mul_mat_vec_qIN3c108BFloat16ELi32ELi4E10block_q5_0Li2EXadL_ZL17vec_dot_q5_0_q8_1PKvPK10block_q8_1RKiEEEvS4_S4_PT_iii.private_seg_size, 0
	.set _ZL13mul_mat_vec_qIN3c108BFloat16ELi32ELi4E10block_q5_0Li2EXadL_ZL17vec_dot_q5_0_q8_1PKvPK10block_q8_1RKiEEEvS4_S4_PT_iii.uses_vcc, 1
	.set _ZL13mul_mat_vec_qIN3c108BFloat16ELi32ELi4E10block_q5_0Li2EXadL_ZL17vec_dot_q5_0_q8_1PKvPK10block_q8_1RKiEEEvS4_S4_PT_iii.uses_flat_scratch, 0
	.set _ZL13mul_mat_vec_qIN3c108BFloat16ELi32ELi4E10block_q5_0Li2EXadL_ZL17vec_dot_q5_0_q8_1PKvPK10block_q8_1RKiEEEvS4_S4_PT_iii.has_dyn_sized_stack, 0
	.set _ZL13mul_mat_vec_qIN3c108BFloat16ELi32ELi4E10block_q5_0Li2EXadL_ZL17vec_dot_q5_0_q8_1PKvPK10block_q8_1RKiEEEvS4_S4_PT_iii.has_recursion, 0
	.set _ZL13mul_mat_vec_qIN3c108BFloat16ELi32ELi4E10block_q5_0Li2EXadL_ZL17vec_dot_q5_0_q8_1PKvPK10block_q8_1RKiEEEvS4_S4_PT_iii.has_indirect_call, 0
	.section	.AMDGPU.csdata,"",@progbits
; Kernel info:
; codeLenInByte = 976
; TotalNumSgprs: 20
; NumVgprs: 24
; ScratchSize: 0
; MemoryBound: 0
; FloatMode: 240
; IeeeMode: 1
; LDSByteSize: 0 bytes/workgroup (compile time only)
; SGPRBlocks: 2
; VGPRBlocks: 5
; NumSGPRsForWavesPerEU: 20
; NumVGPRsForWavesPerEU: 24
; Occupancy: 10
; WaveLimiterHint : 0
; COMPUTE_PGM_RSRC2:SCRATCH_EN: 0
; COMPUTE_PGM_RSRC2:USER_SGPR: 6
; COMPUTE_PGM_RSRC2:TRAP_HANDLER: 0
; COMPUTE_PGM_RSRC2:TGID_X_EN: 1
; COMPUTE_PGM_RSRC2:TGID_Y_EN: 1
; COMPUTE_PGM_RSRC2:TGID_Z_EN: 0
; COMPUTE_PGM_RSRC2:TIDIG_COMP_CNT: 1
	.section	.text._ZL13mul_mat_vec_qIN3c108BFloat16ELi32ELi4E10block_q5_1Li2EXadL_ZL17vec_dot_q5_1_q8_1PKvPK10block_q8_1RKiEEEvS4_S4_PT_iii,"axG",@progbits,_ZL13mul_mat_vec_qIN3c108BFloat16ELi32ELi4E10block_q5_1Li2EXadL_ZL17vec_dot_q5_1_q8_1PKvPK10block_q8_1RKiEEEvS4_S4_PT_iii,comdat
	.globl	_ZL13mul_mat_vec_qIN3c108BFloat16ELi32ELi4E10block_q5_1Li2EXadL_ZL17vec_dot_q5_1_q8_1PKvPK10block_q8_1RKiEEEvS4_S4_PT_iii ; -- Begin function _ZL13mul_mat_vec_qIN3c108BFloat16ELi32ELi4E10block_q5_1Li2EXadL_ZL17vec_dot_q5_1_q8_1PKvPK10block_q8_1RKiEEEvS4_S4_PT_iii
	.p2align	8
	.type	_ZL13mul_mat_vec_qIN3c108BFloat16ELi32ELi4E10block_q5_1Li2EXadL_ZL17vec_dot_q5_1_q8_1PKvPK10block_q8_1RKiEEEvS4_S4_PT_iii,@function
_ZL13mul_mat_vec_qIN3c108BFloat16ELi32ELi4E10block_q5_1Li2EXadL_ZL17vec_dot_q5_1_q8_1PKvPK10block_q8_1RKiEEEvS4_S4_PT_iii: ; @_ZL13mul_mat_vec_qIN3c108BFloat16ELi32ELi4E10block_q5_1Li2EXadL_ZL17vec_dot_q5_1_q8_1PKvPK10block_q8_1RKiEEEvS4_S4_PT_iii
; %bb.0:
	s_load_dword s8, s[4:5], 0x34
	s_load_dwordx4 s[0:3], s[4:5], 0x18
	s_waitcnt lgkmcnt(0)
	s_lshr_b32 s3, s8, 16
	s_mul_i32 s6, s6, s3
	v_add_u32_e32 v1, s6, v1
	s_cmp_lt_u32 s7, s2
	v_cmp_gt_u32_e32 vcc, s1, v1
	s_cselect_b64 s[2:3], -1, 0
	s_and_b64 s[2:3], s[2:3], vcc
	s_and_saveexec_b64 s[8:9], s[2:3]
	s_cbranch_execz .LBB101_7
; %bb.1:
	s_load_dwordx2 s[2:3], s[4:5], 0x10
	s_ashr_i32 s6, s0, 31
	s_lshr_b32 s6, s6, 27
	s_add_i32 s6, s0, s6
	s_ashr_i32 s6, s6, 5
	v_lshrrev_b32_e32 v3, 1, v0
	v_cmp_gt_u32_e32 vcc, s6, v3
	v_mov_b32_e32 v2, 0
	s_and_saveexec_b64 s[12:13], vcc
	s_cbranch_execz .LBB101_5
; %bb.2:
	s_addk_i32 s0, 0x1ff
	s_load_dwordx4 s[8:11], s[4:5], 0x0
	s_ashr_i32 s4, s0, 31
	s_lshr_b32 s4, s4, 23
	s_add_i32 s0, s0, s4
	v_mul_lo_u32 v4, v1, s6
	s_ashr_i32 s0, s0, 9
	v_lshlrev_b32_e32 v2, 3, v0
	s_mul_i32 s0, s7, s0
	v_and_b32_e32 v5, 8, v2
	s_lshl_b32 s0, s0, 4
	v_mov_b32_e32 v2, 0
	v_or_b32_e32 v6, 4, v5
	s_mov_b64 s[4:5], 0
.LBB101_3:                              ; =>This Inner Loop Header: Depth=1
	v_add_u32_e32 v7, v4, v3
	s_waitcnt lgkmcnt(0)
	v_mad_i64_i32 v[7:8], s[14:15], v7, 24, s[8:9]
	v_add_u32_e32 v9, s0, v3
	v_mad_i64_i32 v[9:10], s[14:15], v9, 36, s[10:11]
	global_load_dwordx2 v[11:12], v[7:8], off
	v_add_co_u32_e32 v7, vcc, v7, v5
	v_addc_co_u32_e32 v8, vcc, 0, v8, vcc
	v_add_co_u32_e32 v13, vcc, v9, v5
	v_addc_co_u32_e32 v14, vcc, 0, v10, vcc
	global_load_dwordx2 v[15:16], v[7:8], off offset:8
	global_load_dwordx2 v[17:18], v[13:14], off offset:4
	;; [unrolled: 1-line block ×3, first 2 shown]
	global_load_dword v21, v[9:10], off
	v_add_u32_e32 v3, 32, v3
	v_cmp_le_u32_e32 vcc, s6, v3
	s_or_b64 s[4:5], vcc, s[4:5]
	s_waitcnt vmcnt(4)
	v_ashrrev_i32_e32 v7, v5, v12
	v_ashrrev_i32_e32 v8, v6, v12
	v_lshlrev_b32_e32 v12, 11, v7
	v_lshrrev_b32_e32 v13, 12, v7
	v_lshrrev_b32_e32 v14, 5, v7
	v_and_b32_e32 v12, 0x1000, v12
	s_waitcnt vmcnt(3)
	v_and_b32_e32 v10, 0xf0f0f0f, v15
	v_and_b32_e32 v13, 16, v13
	;; [unrolled: 1-line block ×3, first 2 shown]
	s_waitcnt vmcnt(0)
	v_pk_mul_f16 v9, v11, v21
	v_lshlrev_b32_e32 v11, 4, v7
	v_lshlrev_b32_e32 v21, 2, v7
	v_and_b32_e32 v11, 16, v11
	v_and_b32_e32 v21, 0x100000, v21
	v_or3_b32 v10, v11, v10, v12
	v_lshlrev_b32_e32 v11, 4, v8
	v_lshlrev_b32_e32 v12, 11, v8
	v_or3_b32 v13, v14, v13, v21
	v_lshlrev_b32_e32 v14, 18, v8
	v_and_b32_e32 v11, 16, v11
	v_and_b32_e32 v12, 0x1000, v12
	;; [unrolled: 1-line block ×3, first 2 shown]
	v_lshrrev_b32_e32 v21, 12, v8
	v_or3_b32 v11, v12, v11, v14
	v_lshrrev_b32_e32 v12, 5, v8
	v_lshlrev_b32_e32 v14, 2, v8
	v_and_b32_e32 v21, 16, v21
	v_and_b32_e32 v12, 0x1000, v12
	;; [unrolled: 1-line block ×3, first 2 shown]
	v_or3_b32 v12, v12, v21, v14
	v_lshlrev_b32_e32 v14, 18, v7
	v_lshlrev_b32_e32 v21, 25, v7
	v_and_b32_e32 v14, 0x100000, v14
	v_and_b32_e32 v21, 0x10000000, v21
	v_or3_b32 v10, v10, v14, v21
	v_lshrrev_b32_e32 v14, 4, v15
	v_lshlrev_b32_e32 v7, 9, v7
	v_lshlrev_b32_e32 v21, 25, v8
	v_and_b32_e32 v14, 0xf0f0f0f, v14
	v_and_b32_e32 v7, 0x10000000, v7
	;; [unrolled: 1-line block ×3, first 2 shown]
	v_lshrrev_b32_e32 v16, 4, v16
	v_lshlrev_b32_e32 v8, 9, v8
	v_or3_b32 v7, v13, v7, v14
	v_and_b32_e32 v14, 0x10000000, v21
	v_dot4_i32_i8 v10, v10, v17, 0
	v_and_b32_e32 v16, 0xf0f0f0f, v16
	v_and_b32_e32 v8, 0x10000000, v8
	v_or3_b32 v11, v11, v14, v15
	v_dot4_i32_i8 v7, v7, v19, v10
	v_or3_b32 v8, v12, v8, v16
	v_dot4_i32_i8 v7, v11, v18, v7
	v_cvt_f32_f16_sdwa v13, v9 dst_sel:DWORD dst_unused:UNUSED_PAD src0_sel:WORD_1
	v_dot4_i32_i8 v7, v8, v20, v7
	v_cvt_f32_i32_e32 v7, v7
	v_mul_f32_e32 v8, 0.5, v13
	v_fma_mix_f32 v7, v7, v9, v8 op_sel_hi:[0,1,0]
	v_add_f32_e32 v2, v2, v7
	s_andn2_b64 exec, exec, s[4:5]
	s_cbranch_execnz .LBB101_3
; %bb.4:
	s_or_b64 exec, exec, s[4:5]
.LBB101_5:
	s_or_b64 exec, exec, s[12:13]
	v_mbcnt_lo_u32_b32 v3, -1, 0
	v_mbcnt_hi_u32_b32 v3, -1, v3
	v_and_b32_e32 v4, 64, v3
	v_add_u32_e32 v4, 64, v4
	v_xor_b32_e32 v5, 32, v3
	v_cmp_lt_i32_e32 vcc, v5, v4
	v_cndmask_b32_e32 v5, v3, v5, vcc
	v_lshlrev_b32_e32 v5, 2, v5
	ds_bpermute_b32 v5, v5, v2
	v_xor_b32_e32 v6, 16, v3
	v_cmp_lt_i32_e32 vcc, v6, v4
	s_waitcnt lgkmcnt(0)
	v_add_f32_e32 v2, v2, v5
	v_cndmask_b32_e32 v5, v3, v6, vcc
	v_lshlrev_b32_e32 v5, 2, v5
	ds_bpermute_b32 v5, v5, v2
	v_xor_b32_e32 v6, 8, v3
	v_cmp_lt_i32_e32 vcc, v6, v4
	s_waitcnt lgkmcnt(0)
	v_add_f32_e32 v2, v2, v5
	;; [unrolled: 7-line block ×4, first 2 shown]
	v_cndmask_b32_e32 v5, v3, v6, vcc
	v_lshlrev_b32_e32 v5, 2, v5
	ds_bpermute_b32 v5, v5, v2
	v_xor_b32_e32 v6, 1, v3
	v_cmp_lt_i32_e32 vcc, v6, v4
	v_cndmask_b32_e32 v3, v3, v6, vcc
	v_lshlrev_b32_e32 v3, 2, v3
	s_waitcnt lgkmcnt(0)
	v_add_f32_e32 v2, v2, v5
	ds_bpermute_b32 v3, v3, v2
	v_cmp_eq_u32_e32 vcc, 0, v0
	s_and_b64 exec, exec, vcc
	s_cbranch_execz .LBB101_7
; %bb.6:
	s_waitcnt lgkmcnt(0)
	v_add_f32_e32 v0, v2, v3
	v_bfe_u32 v2, v0, 16, 1
	s_movk_i32 s0, 0x7fff
	v_add3_u32 v2, v0, v2, s0
	v_cmp_o_f32_e32 vcc, v0, v0
	v_mov_b32_e32 v0, 0x7fc0
	s_mul_i32 s0, s1, s7
	v_cndmask_b32_sdwa v2, v0, v2, vcc dst_sel:DWORD dst_unused:UNUSED_PAD src0_sel:DWORD src1_sel:WORD_1
	v_add_u32_e32 v0, s0, v1
	v_mov_b32_e32 v1, 0
	v_lshlrev_b64 v[0:1], 1, v[0:1]
	v_mov_b32_e32 v3, s3
	v_add_co_u32_e32 v0, vcc, s2, v0
	v_addc_co_u32_e32 v1, vcc, v3, v1, vcc
	global_store_short v[0:1], v2, off
.LBB101_7:
	s_endpgm
	.section	.rodata,"a",@progbits
	.p2align	6, 0x0
	.amdhsa_kernel _ZL13mul_mat_vec_qIN3c108BFloat16ELi32ELi4E10block_q5_1Li2EXadL_ZL17vec_dot_q5_1_q8_1PKvPK10block_q8_1RKiEEEvS4_S4_PT_iii
		.amdhsa_group_segment_fixed_size 0
		.amdhsa_private_segment_fixed_size 0
		.amdhsa_kernarg_size 296
		.amdhsa_user_sgpr_count 6
		.amdhsa_user_sgpr_private_segment_buffer 1
		.amdhsa_user_sgpr_dispatch_ptr 0
		.amdhsa_user_sgpr_queue_ptr 0
		.amdhsa_user_sgpr_kernarg_segment_ptr 1
		.amdhsa_user_sgpr_dispatch_id 0
		.amdhsa_user_sgpr_flat_scratch_init 0
		.amdhsa_user_sgpr_private_segment_size 0
		.amdhsa_uses_dynamic_stack 0
		.amdhsa_system_sgpr_private_segment_wavefront_offset 0
		.amdhsa_system_sgpr_workgroup_id_x 1
		.amdhsa_system_sgpr_workgroup_id_y 1
		.amdhsa_system_sgpr_workgroup_id_z 0
		.amdhsa_system_sgpr_workgroup_info 0
		.amdhsa_system_vgpr_workitem_id 1
		.amdhsa_next_free_vgpr 22
		.amdhsa_next_free_sgpr 16
		.amdhsa_reserve_vcc 1
		.amdhsa_reserve_flat_scratch 0
		.amdhsa_float_round_mode_32 0
		.amdhsa_float_round_mode_16_64 0
		.amdhsa_float_denorm_mode_32 3
		.amdhsa_float_denorm_mode_16_64 3
		.amdhsa_dx10_clamp 1
		.amdhsa_ieee_mode 1
		.amdhsa_fp16_overflow 0
		.amdhsa_exception_fp_ieee_invalid_op 0
		.amdhsa_exception_fp_denorm_src 0
		.amdhsa_exception_fp_ieee_div_zero 0
		.amdhsa_exception_fp_ieee_overflow 0
		.amdhsa_exception_fp_ieee_underflow 0
		.amdhsa_exception_fp_ieee_inexact 0
		.amdhsa_exception_int_div_zero 0
	.end_amdhsa_kernel
	.section	.text._ZL13mul_mat_vec_qIN3c108BFloat16ELi32ELi4E10block_q5_1Li2EXadL_ZL17vec_dot_q5_1_q8_1PKvPK10block_q8_1RKiEEEvS4_S4_PT_iii,"axG",@progbits,_ZL13mul_mat_vec_qIN3c108BFloat16ELi32ELi4E10block_q5_1Li2EXadL_ZL17vec_dot_q5_1_q8_1PKvPK10block_q8_1RKiEEEvS4_S4_PT_iii,comdat
.Lfunc_end101:
	.size	_ZL13mul_mat_vec_qIN3c108BFloat16ELi32ELi4E10block_q5_1Li2EXadL_ZL17vec_dot_q5_1_q8_1PKvPK10block_q8_1RKiEEEvS4_S4_PT_iii, .Lfunc_end101-_ZL13mul_mat_vec_qIN3c108BFloat16ELi32ELi4E10block_q5_1Li2EXadL_ZL17vec_dot_q5_1_q8_1PKvPK10block_q8_1RKiEEEvS4_S4_PT_iii
                                        ; -- End function
	.set _ZL13mul_mat_vec_qIN3c108BFloat16ELi32ELi4E10block_q5_1Li2EXadL_ZL17vec_dot_q5_1_q8_1PKvPK10block_q8_1RKiEEEvS4_S4_PT_iii.num_vgpr, 22
	.set _ZL13mul_mat_vec_qIN3c108BFloat16ELi32ELi4E10block_q5_1Li2EXadL_ZL17vec_dot_q5_1_q8_1PKvPK10block_q8_1RKiEEEvS4_S4_PT_iii.num_agpr, 0
	.set _ZL13mul_mat_vec_qIN3c108BFloat16ELi32ELi4E10block_q5_1Li2EXadL_ZL17vec_dot_q5_1_q8_1PKvPK10block_q8_1RKiEEEvS4_S4_PT_iii.numbered_sgpr, 16
	.set _ZL13mul_mat_vec_qIN3c108BFloat16ELi32ELi4E10block_q5_1Li2EXadL_ZL17vec_dot_q5_1_q8_1PKvPK10block_q8_1RKiEEEvS4_S4_PT_iii.num_named_barrier, 0
	.set _ZL13mul_mat_vec_qIN3c108BFloat16ELi32ELi4E10block_q5_1Li2EXadL_ZL17vec_dot_q5_1_q8_1PKvPK10block_q8_1RKiEEEvS4_S4_PT_iii.private_seg_size, 0
	.set _ZL13mul_mat_vec_qIN3c108BFloat16ELi32ELi4E10block_q5_1Li2EXadL_ZL17vec_dot_q5_1_q8_1PKvPK10block_q8_1RKiEEEvS4_S4_PT_iii.uses_vcc, 1
	.set _ZL13mul_mat_vec_qIN3c108BFloat16ELi32ELi4E10block_q5_1Li2EXadL_ZL17vec_dot_q5_1_q8_1PKvPK10block_q8_1RKiEEEvS4_S4_PT_iii.uses_flat_scratch, 0
	.set _ZL13mul_mat_vec_qIN3c108BFloat16ELi32ELi4E10block_q5_1Li2EXadL_ZL17vec_dot_q5_1_q8_1PKvPK10block_q8_1RKiEEEvS4_S4_PT_iii.has_dyn_sized_stack, 0
	.set _ZL13mul_mat_vec_qIN3c108BFloat16ELi32ELi4E10block_q5_1Li2EXadL_ZL17vec_dot_q5_1_q8_1PKvPK10block_q8_1RKiEEEvS4_S4_PT_iii.has_recursion, 0
	.set _ZL13mul_mat_vec_qIN3c108BFloat16ELi32ELi4E10block_q5_1Li2EXadL_ZL17vec_dot_q5_1_q8_1PKvPK10block_q8_1RKiEEEvS4_S4_PT_iii.has_indirect_call, 0
	.section	.AMDGPU.csdata,"",@progbits
; Kernel info:
; codeLenInByte = 956
; TotalNumSgprs: 20
; NumVgprs: 22
; ScratchSize: 0
; MemoryBound: 0
; FloatMode: 240
; IeeeMode: 1
; LDSByteSize: 0 bytes/workgroup (compile time only)
; SGPRBlocks: 2
; VGPRBlocks: 5
; NumSGPRsForWavesPerEU: 20
; NumVGPRsForWavesPerEU: 22
; Occupancy: 10
; WaveLimiterHint : 0
; COMPUTE_PGM_RSRC2:SCRATCH_EN: 0
; COMPUTE_PGM_RSRC2:USER_SGPR: 6
; COMPUTE_PGM_RSRC2:TRAP_HANDLER: 0
; COMPUTE_PGM_RSRC2:TGID_X_EN: 1
; COMPUTE_PGM_RSRC2:TGID_Y_EN: 1
; COMPUTE_PGM_RSRC2:TGID_Z_EN: 0
; COMPUTE_PGM_RSRC2:TIDIG_COMP_CNT: 1
	.section	.text._ZL13mul_mat_vec_qIN3c108BFloat16ELi32ELi8E10block_q8_0Li2EXadL_ZL17vec_dot_q8_0_q8_1PKvPK10block_q8_1RKiEEEvS4_S4_PT_iii,"axG",@progbits,_ZL13mul_mat_vec_qIN3c108BFloat16ELi32ELi8E10block_q8_0Li2EXadL_ZL17vec_dot_q8_0_q8_1PKvPK10block_q8_1RKiEEEvS4_S4_PT_iii,comdat
	.globl	_ZL13mul_mat_vec_qIN3c108BFloat16ELi32ELi8E10block_q8_0Li2EXadL_ZL17vec_dot_q8_0_q8_1PKvPK10block_q8_1RKiEEEvS4_S4_PT_iii ; -- Begin function _ZL13mul_mat_vec_qIN3c108BFloat16ELi32ELi8E10block_q8_0Li2EXadL_ZL17vec_dot_q8_0_q8_1PKvPK10block_q8_1RKiEEEvS4_S4_PT_iii
	.p2align	8
	.type	_ZL13mul_mat_vec_qIN3c108BFloat16ELi32ELi8E10block_q8_0Li2EXadL_ZL17vec_dot_q8_0_q8_1PKvPK10block_q8_1RKiEEEvS4_S4_PT_iii,@function
_ZL13mul_mat_vec_qIN3c108BFloat16ELi32ELi8E10block_q8_0Li2EXadL_ZL17vec_dot_q8_0_q8_1PKvPK10block_q8_1RKiEEEvS4_S4_PT_iii: ; @_ZL13mul_mat_vec_qIN3c108BFloat16ELi32ELi8E10block_q8_0Li2EXadL_ZL17vec_dot_q8_0_q8_1PKvPK10block_q8_1RKiEEEvS4_S4_PT_iii
; %bb.0:
	s_load_dword s8, s[4:5], 0x34
	s_load_dwordx4 s[0:3], s[4:5], 0x18
	s_waitcnt lgkmcnt(0)
	s_lshr_b32 s3, s8, 16
	s_mul_i32 s6, s6, s3
	v_add_u32_e32 v1, s6, v1
	s_cmp_lt_u32 s7, s2
	v_cmp_gt_u32_e32 vcc, s1, v1
	s_cselect_b64 s[2:3], -1, 0
	s_and_b64 s[2:3], s[2:3], vcc
	s_and_saveexec_b64 s[8:9], s[2:3]
	s_cbranch_execz .LBB102_7
; %bb.1:
	s_load_dwordx2 s[2:3], s[4:5], 0x10
	s_ashr_i32 s6, s0, 31
	s_lshr_b32 s6, s6, 27
	s_add_i32 s6, s0, s6
	s_ashr_i32 s6, s6, 5
	v_lshrrev_b32_e32 v3, 2, v0
	v_cmp_gt_u32_e32 vcc, s6, v3
	v_mov_b32_e32 v2, 0
	s_and_saveexec_b64 s[12:13], vcc
	s_cbranch_execz .LBB102_5
; %bb.2:
	s_addk_i32 s0, 0x1ff
	s_load_dwordx4 s[8:11], s[4:5], 0x0
	s_ashr_i32 s4, s0, 31
	s_lshr_b32 s4, s4, 23
	s_add_i32 s0, s0, s4
	v_mul_lo_u32 v4, v1, s6
	s_ashr_i32 s0, s0, 9
	s_mul_i32 s0, s7, s0
	v_lshlrev_b32_e32 v2, 3, v0
	s_lshl_b32 s0, s0, 4
	v_and_b32_e32 v5, 24, v2
	v_mov_b32_e32 v2, 0
	s_mov_b64 s[4:5], 0
.LBB102_3:                              ; =>This Inner Loop Header: Depth=1
	v_add_u32_e32 v6, v4, v3
	s_waitcnt lgkmcnt(0)
	v_mad_i64_i32 v[6:7], s[14:15], v6, 34, s[8:9]
	v_add_u32_e32 v8, s0, v3
	v_mad_i64_i32 v[8:9], s[14:15], v8, 36, s[10:11]
	v_add_co_u32_e32 v10, vcc, v6, v5
	v_addc_co_u32_e32 v11, vcc, 0, v7, vcc
	v_add_co_u32_e32 v12, vcc, v8, v5
	v_addc_co_u32_e32 v13, vcc, 0, v9, vcc
	global_load_ushort v18, v[6:7], off
	global_load_dwordx2 v[14:15], v[10:11], off offset:2
	global_load_dwordx2 v[16:17], v[12:13], off offset:4
	global_load_dword v19, v[8:9], off
	v_add_u32_e32 v3, 16, v3
	v_cmp_le_u32_e32 vcc, s6, v3
	s_or_b64 s[4:5], vcc, s[4:5]
	s_waitcnt vmcnt(3)
	v_cvt_f32_f16_e32 v6, v18
	s_waitcnt vmcnt(1)
	v_dot4_i32_i8 v8, v14, v16, 0
	s_waitcnt vmcnt(0)
	v_cvt_f32_f16_e32 v7, v19
	v_dot4_i32_i8 v8, v15, v17, v8
	v_cvt_f32_i32_e32 v8, v8
	v_mul_f32_e32 v6, v6, v7
	v_fmac_f32_e32 v2, v6, v8
	s_andn2_b64 exec, exec, s[4:5]
	s_cbranch_execnz .LBB102_3
; %bb.4:
	s_or_b64 exec, exec, s[4:5]
.LBB102_5:
	s_or_b64 exec, exec, s[12:13]
	v_mbcnt_lo_u32_b32 v3, -1, 0
	v_mbcnt_hi_u32_b32 v3, -1, v3
	v_and_b32_e32 v4, 64, v3
	v_add_u32_e32 v4, 64, v4
	v_xor_b32_e32 v5, 32, v3
	v_cmp_lt_i32_e32 vcc, v5, v4
	v_cndmask_b32_e32 v5, v3, v5, vcc
	v_lshlrev_b32_e32 v5, 2, v5
	ds_bpermute_b32 v5, v5, v2
	v_xor_b32_e32 v6, 16, v3
	v_cmp_lt_i32_e32 vcc, v6, v4
	s_waitcnt lgkmcnt(0)
	v_add_f32_e32 v2, v2, v5
	v_cndmask_b32_e32 v5, v3, v6, vcc
	v_lshlrev_b32_e32 v5, 2, v5
	ds_bpermute_b32 v5, v5, v2
	v_xor_b32_e32 v6, 8, v3
	v_cmp_lt_i32_e32 vcc, v6, v4
	s_waitcnt lgkmcnt(0)
	v_add_f32_e32 v2, v2, v5
	v_cndmask_b32_e32 v5, v3, v6, vcc
	v_lshlrev_b32_e32 v5, 2, v5
	ds_bpermute_b32 v5, v5, v2
	v_xor_b32_e32 v6, 4, v3
	v_cmp_lt_i32_e32 vcc, v6, v4
	s_waitcnt lgkmcnt(0)
	v_add_f32_e32 v2, v2, v5
	v_cndmask_b32_e32 v5, v3, v6, vcc
	v_lshlrev_b32_e32 v5, 2, v5
	ds_bpermute_b32 v5, v5, v2
	v_xor_b32_e32 v6, 2, v3
	v_cmp_lt_i32_e32 vcc, v6, v4
	s_waitcnt lgkmcnt(0)
	v_add_f32_e32 v2, v2, v5
	v_cndmask_b32_e32 v5, v3, v6, vcc
	v_lshlrev_b32_e32 v5, 2, v5
	ds_bpermute_b32 v5, v5, v2
	v_xor_b32_e32 v6, 1, v3
	v_cmp_lt_i32_e32 vcc, v6, v4
	v_cndmask_b32_e32 v3, v3, v6, vcc
	v_lshlrev_b32_e32 v3, 2, v3
	s_waitcnt lgkmcnt(0)
	v_add_f32_e32 v2, v2, v5
	ds_bpermute_b32 v3, v3, v2
	v_cmp_eq_u32_e32 vcc, 0, v0
	s_and_b64 exec, exec, vcc
	s_cbranch_execz .LBB102_7
; %bb.6:
	s_waitcnt lgkmcnt(0)
	v_add_f32_e32 v0, v2, v3
	v_bfe_u32 v2, v0, 16, 1
	s_movk_i32 s0, 0x7fff
	v_add3_u32 v2, v0, v2, s0
	v_cmp_o_f32_e32 vcc, v0, v0
	v_mov_b32_e32 v0, 0x7fc0
	s_mul_i32 s0, s1, s7
	v_cndmask_b32_sdwa v2, v0, v2, vcc dst_sel:DWORD dst_unused:UNUSED_PAD src0_sel:DWORD src1_sel:WORD_1
	v_add_u32_e32 v0, s0, v1
	v_mov_b32_e32 v1, 0
	v_lshlrev_b64 v[0:1], 1, v[0:1]
	v_mov_b32_e32 v3, s3
	v_add_co_u32_e32 v0, vcc, s2, v0
	v_addc_co_u32_e32 v1, vcc, v3, v1, vcc
	global_store_short v[0:1], v2, off
.LBB102_7:
	s_endpgm
	.section	.rodata,"a",@progbits
	.p2align	6, 0x0
	.amdhsa_kernel _ZL13mul_mat_vec_qIN3c108BFloat16ELi32ELi8E10block_q8_0Li2EXadL_ZL17vec_dot_q8_0_q8_1PKvPK10block_q8_1RKiEEEvS4_S4_PT_iii
		.amdhsa_group_segment_fixed_size 0
		.amdhsa_private_segment_fixed_size 0
		.amdhsa_kernarg_size 296
		.amdhsa_user_sgpr_count 6
		.amdhsa_user_sgpr_private_segment_buffer 1
		.amdhsa_user_sgpr_dispatch_ptr 0
		.amdhsa_user_sgpr_queue_ptr 0
		.amdhsa_user_sgpr_kernarg_segment_ptr 1
		.amdhsa_user_sgpr_dispatch_id 0
		.amdhsa_user_sgpr_flat_scratch_init 0
		.amdhsa_user_sgpr_private_segment_size 0
		.amdhsa_uses_dynamic_stack 0
		.amdhsa_system_sgpr_private_segment_wavefront_offset 0
		.amdhsa_system_sgpr_workgroup_id_x 1
		.amdhsa_system_sgpr_workgroup_id_y 1
		.amdhsa_system_sgpr_workgroup_id_z 0
		.amdhsa_system_sgpr_workgroup_info 0
		.amdhsa_system_vgpr_workitem_id 1
		.amdhsa_next_free_vgpr 20
		.amdhsa_next_free_sgpr 16
		.amdhsa_reserve_vcc 1
		.amdhsa_reserve_flat_scratch 0
		.amdhsa_float_round_mode_32 0
		.amdhsa_float_round_mode_16_64 0
		.amdhsa_float_denorm_mode_32 3
		.amdhsa_float_denorm_mode_16_64 3
		.amdhsa_dx10_clamp 1
		.amdhsa_ieee_mode 1
		.amdhsa_fp16_overflow 0
		.amdhsa_exception_fp_ieee_invalid_op 0
		.amdhsa_exception_fp_denorm_src 0
		.amdhsa_exception_fp_ieee_div_zero 0
		.amdhsa_exception_fp_ieee_overflow 0
		.amdhsa_exception_fp_ieee_underflow 0
		.amdhsa_exception_fp_ieee_inexact 0
		.amdhsa_exception_int_div_zero 0
	.end_amdhsa_kernel
	.section	.text._ZL13mul_mat_vec_qIN3c108BFloat16ELi32ELi8E10block_q8_0Li2EXadL_ZL17vec_dot_q8_0_q8_1PKvPK10block_q8_1RKiEEEvS4_S4_PT_iii,"axG",@progbits,_ZL13mul_mat_vec_qIN3c108BFloat16ELi32ELi8E10block_q8_0Li2EXadL_ZL17vec_dot_q8_0_q8_1PKvPK10block_q8_1RKiEEEvS4_S4_PT_iii,comdat
.Lfunc_end102:
	.size	_ZL13mul_mat_vec_qIN3c108BFloat16ELi32ELi8E10block_q8_0Li2EXadL_ZL17vec_dot_q8_0_q8_1PKvPK10block_q8_1RKiEEEvS4_S4_PT_iii, .Lfunc_end102-_ZL13mul_mat_vec_qIN3c108BFloat16ELi32ELi8E10block_q8_0Li2EXadL_ZL17vec_dot_q8_0_q8_1PKvPK10block_q8_1RKiEEEvS4_S4_PT_iii
                                        ; -- End function
	.set _ZL13mul_mat_vec_qIN3c108BFloat16ELi32ELi8E10block_q8_0Li2EXadL_ZL17vec_dot_q8_0_q8_1PKvPK10block_q8_1RKiEEEvS4_S4_PT_iii.num_vgpr, 20
	.set _ZL13mul_mat_vec_qIN3c108BFloat16ELi32ELi8E10block_q8_0Li2EXadL_ZL17vec_dot_q8_0_q8_1PKvPK10block_q8_1RKiEEEvS4_S4_PT_iii.num_agpr, 0
	.set _ZL13mul_mat_vec_qIN3c108BFloat16ELi32ELi8E10block_q8_0Li2EXadL_ZL17vec_dot_q8_0_q8_1PKvPK10block_q8_1RKiEEEvS4_S4_PT_iii.numbered_sgpr, 16
	.set _ZL13mul_mat_vec_qIN3c108BFloat16ELi32ELi8E10block_q8_0Li2EXadL_ZL17vec_dot_q8_0_q8_1PKvPK10block_q8_1RKiEEEvS4_S4_PT_iii.num_named_barrier, 0
	.set _ZL13mul_mat_vec_qIN3c108BFloat16ELi32ELi8E10block_q8_0Li2EXadL_ZL17vec_dot_q8_0_q8_1PKvPK10block_q8_1RKiEEEvS4_S4_PT_iii.private_seg_size, 0
	.set _ZL13mul_mat_vec_qIN3c108BFloat16ELi32ELi8E10block_q8_0Li2EXadL_ZL17vec_dot_q8_0_q8_1PKvPK10block_q8_1RKiEEEvS4_S4_PT_iii.uses_vcc, 1
	.set _ZL13mul_mat_vec_qIN3c108BFloat16ELi32ELi8E10block_q8_0Li2EXadL_ZL17vec_dot_q8_0_q8_1PKvPK10block_q8_1RKiEEEvS4_S4_PT_iii.uses_flat_scratch, 0
	.set _ZL13mul_mat_vec_qIN3c108BFloat16ELi32ELi8E10block_q8_0Li2EXadL_ZL17vec_dot_q8_0_q8_1PKvPK10block_q8_1RKiEEEvS4_S4_PT_iii.has_dyn_sized_stack, 0
	.set _ZL13mul_mat_vec_qIN3c108BFloat16ELi32ELi8E10block_q8_0Li2EXadL_ZL17vec_dot_q8_0_q8_1PKvPK10block_q8_1RKiEEEvS4_S4_PT_iii.has_recursion, 0
	.set _ZL13mul_mat_vec_qIN3c108BFloat16ELi32ELi8E10block_q8_0Li2EXadL_ZL17vec_dot_q8_0_q8_1PKvPK10block_q8_1RKiEEEvS4_S4_PT_iii.has_indirect_call, 0
	.section	.AMDGPU.csdata,"",@progbits
; Kernel info:
; codeLenInByte = 624
; TotalNumSgprs: 20
; NumVgprs: 20
; ScratchSize: 0
; MemoryBound: 0
; FloatMode: 240
; IeeeMode: 1
; LDSByteSize: 0 bytes/workgroup (compile time only)
; SGPRBlocks: 2
; VGPRBlocks: 4
; NumSGPRsForWavesPerEU: 20
; NumVGPRsForWavesPerEU: 20
; Occupancy: 10
; WaveLimiterHint : 0
; COMPUTE_PGM_RSRC2:SCRATCH_EN: 0
; COMPUTE_PGM_RSRC2:USER_SGPR: 6
; COMPUTE_PGM_RSRC2:TRAP_HANDLER: 0
; COMPUTE_PGM_RSRC2:TGID_X_EN: 1
; COMPUTE_PGM_RSRC2:TGID_Y_EN: 1
; COMPUTE_PGM_RSRC2:TGID_Z_EN: 0
; COMPUTE_PGM_RSRC2:TIDIG_COMP_CNT: 1
	.section	.text._ZL13mul_mat_vec_qIN3c108BFloat16ELi256ELi16E10block_q2_KLi1EXadL_ZL17vec_dot_q2_K_q8_1PKvPK10block_q8_1RKiEEEvS4_S4_PT_iii,"axG",@progbits,_ZL13mul_mat_vec_qIN3c108BFloat16ELi256ELi16E10block_q2_KLi1EXadL_ZL17vec_dot_q2_K_q8_1PKvPK10block_q8_1RKiEEEvS4_S4_PT_iii,comdat
	.globl	_ZL13mul_mat_vec_qIN3c108BFloat16ELi256ELi16E10block_q2_KLi1EXadL_ZL17vec_dot_q2_K_q8_1PKvPK10block_q8_1RKiEEEvS4_S4_PT_iii ; -- Begin function _ZL13mul_mat_vec_qIN3c108BFloat16ELi256ELi16E10block_q2_KLi1EXadL_ZL17vec_dot_q2_K_q8_1PKvPK10block_q8_1RKiEEEvS4_S4_PT_iii
	.p2align	8
	.type	_ZL13mul_mat_vec_qIN3c108BFloat16ELi256ELi16E10block_q2_KLi1EXadL_ZL17vec_dot_q2_K_q8_1PKvPK10block_q8_1RKiEEEvS4_S4_PT_iii,@function
_ZL13mul_mat_vec_qIN3c108BFloat16ELi256ELi16E10block_q2_KLi1EXadL_ZL17vec_dot_q2_K_q8_1PKvPK10block_q8_1RKiEEEvS4_S4_PT_iii: ; @_ZL13mul_mat_vec_qIN3c108BFloat16ELi256ELi16E10block_q2_KLi1EXadL_ZL17vec_dot_q2_K_q8_1PKvPK10block_q8_1RKiEEEvS4_S4_PT_iii
; %bb.0:
	s_load_dword s8, s[4:5], 0x34
	s_load_dwordx4 s[0:3], s[4:5], 0x18
	s_waitcnt lgkmcnt(0)
	s_lshr_b32 s3, s8, 16
	s_mul_i32 s6, s6, s3
	v_add_u32_e32 v17, s6, v1
	s_cmp_lt_u32 s7, s2
	v_cmp_gt_u32_e32 vcc, s1, v17
	s_cselect_b64 s[2:3], -1, 0
	s_and_b64 s[2:3], s[2:3], vcc
	s_and_saveexec_b64 s[8:9], s[2:3]
	s_cbranch_execz .LBB103_7
; %bb.1:
	s_load_dwordx2 s[2:3], s[4:5], 0x10
	s_ashr_i32 s6, s0, 31
	s_lshr_b32 s6, s6, 24
	s_add_i32 s6, s0, s6
	s_ashr_i32 s6, s6, 8
	v_lshrrev_b32_e32 v18, 4, v0
	v_cmp_gt_u32_e32 vcc, s6, v18
	v_mov_b32_e32 v2, 0
	s_and_saveexec_b64 s[8:9], vcc
	s_cbranch_execz .LBB103_5
; %bb.2:
	s_load_dwordx4 s[12:15], s[4:5], 0x0
	s_addk_i32 s0, 0x1ff
	s_ashr_i32 s4, s0, 31
	v_and_b32_e32 v7, 15, v0
	v_lshrrev_b32_e32 v1, 1, v0
	s_lshr_b32 s4, s4, 23
	v_and_b32_e32 v5, 4, v1
	v_subrev_co_u32_e32 v1, vcc, 8, v7
	s_add_i32 s0, s0, s4
	v_cndmask_b32_e32 v1, v1, v7, vcc
	s_ashr_i32 s0, s0, 9
	v_mul_lo_u32 v19, v17, s6
	v_lshlrev_b32_e32 v20, 2, v7
	v_mov_b32_e32 v2, 0
	s_waitcnt lgkmcnt(0)
	v_mad_u64_u32 v[5:6], s[4:5], v5, 36, s[14:15]
	v_sub_u32_e32 v7, v7, v1
	v_cmp_lt_u32_e32 vcc, 3, v1
	s_mul_i32 s0, s7, s0
	v_lshlrev_b64 v[3:4], 2, v[1:2]
	v_addc_co_u32_e32 v1, vcc, 0, v7, vcc
	v_lshlrev_b32_e32 v7, 3, v18
	v_lshl_add_u32 v22, s0, 4, v7
	v_mov_b32_e32 v7, s12
	v_ashrrev_i32_e32 v21, 31, v1
	s_mov_b64 s[4:5], 0
	s_movk_i32 s0, 0x54
	v_mov_b32_e32 v8, s13
	s_mov_b32 s10, 0x1010101
.LBB103_3:                              ; =>This Inner Loop Header: Depth=1
	v_add_u32_e32 v9, v19, v18
	v_mad_i64_i32 v[9:10], s[12:13], v9, s0, v[7:8]
	v_add_u32_e32 v18, 4, v18
	v_add_co_u32_e32 v11, vcc, v9, v20
	v_addc_co_u32_e32 v12, vcc, 0, v10, vcc
	global_load_dword v23, v[11:12], off offset:16
	v_mad_i64_i32 v[11:12], s[12:13], v22, 36, v[5:6]
	v_add_u32_e32 v22, 32, v22
	v_add_co_u32_e32 v13, vcc, v11, v3
	v_addc_co_u32_e32 v14, vcc, v12, v4, vcc
	v_add_co_u32_e32 v15, vcc, v9, v1
	v_addc_co_u32_e32 v16, vcc, v10, v21, vcc
	global_load_ubyte v26, v[15:16], off
	global_load_ubyte v29, v[15:16], off offset:2
	global_load_dword v24, v[13:14], off offset:4
	global_load_dword v28, v[13:14], off offset:40
	v_cmp_le_u32_e32 vcc, s6, v18
	s_or_b64 s[4:5], vcc, s[4:5]
	s_waitcnt vmcnt(4)
	v_and_b32_e32 v25, 0x3030303, v23
	s_waitcnt vmcnt(3)
	v_and_b32_e32 v27, 15, v26
	v_lshrrev_b32_e32 v26, 4, v26
	v_mul_lo_u32 v26, v26, s10
	s_waitcnt vmcnt(1)
	v_dot4_i32_i8 v25, v25, v24, 0
	v_mul_lo_u32 v25, v27, v25
	v_lshrrev_b32_e32 v27, 2, v23
	v_dot4_i32_i8 v24, v26, v24, 0
	v_lshrrev_b32_e32 v26, 4, v29
	v_mul_lo_u32 v26, v26, s10
	v_and_b32_e32 v27, 0x3030303, v27
	s_waitcnt vmcnt(0)
	v_dot4_i32_i8 v27, v27, v28, 0
	v_cvt_f32_i32_e32 v25, v25
	v_dot4_i32_i8 v26, v26, v28, 0
	global_load_dword v28, v[11:12], off
	v_cvt_f32_i32_e32 v24, v24
	v_and_b32_e32 v30, 15, v29
	v_mul_lo_u32 v27, v30, v27
	v_cvt_f32_i32_e32 v26, v26
	v_cvt_f32_i32_e32 v27, v27
	s_waitcnt vmcnt(0)
	v_fma_mix_f32 v25, v28, v25, 0 op_sel_hi:[1,0,0]
	v_fma_mix_f32 v24, v28, v24, 0 op_sel_hi:[1,0,0]
	global_load_dword v28, v[11:12], off offset:36
	s_waitcnt vmcnt(0)
	v_fma_mix_f32 v25, v28, v27, v25 op_sel_hi:[1,0,0]
	v_fma_mix_f32 v24, v28, v26, v24 op_sel_hi:[1,0,0]
	global_load_ubyte v28, v[15:16], off offset:4
	global_load_dword v27, v[13:14], off offset:76
	v_lshrrev_b32_e32 v26, 4, v23
	v_and_b32_e32 v26, 0x3030303, v26
	s_waitcnt vmcnt(1)
	v_and_b32_e32 v29, 15, v28
	v_lshrrev_b32_e32 v28, 4, v28
	v_mul_lo_u32 v28, v28, s10
	s_waitcnt vmcnt(0)
	v_dot4_i32_i8 v26, v26, v27, 0
	v_mul_lo_u32 v26, v29, v26
	v_dot4_i32_i8 v27, v28, v27, 0
	global_load_dword v28, v[11:12], off offset:72
	v_cvt_f32_i32_e32 v26, v26
	s_waitcnt vmcnt(0)
	v_fma_mix_f32 v25, v28, v26, v25 op_sel_hi:[1,0,0]
	v_cvt_f32_i32_e32 v26, v27
	v_fma_mix_f32 v24, v28, v26, v24 op_sel_hi:[1,0,0]
	global_load_dword v26, v[11:12], off offset:108
	global_load_dword v27, v[13:14], off offset:112
	global_load_ubyte v28, v[15:16], off offset:6
	v_lshrrev_b32_e32 v11, 6, v23
	global_load_dword v9, v[9:10], off offset:80
	v_and_b32_e32 v11, 0x3030303, v11
	s_waitcnt vmcnt(2)
	v_dot4_i32_i8 v11, v11, v27, 0
	s_waitcnt vmcnt(1)
	v_and_b32_e32 v12, 15, v28
	v_mul_lo_u32 v11, v12, v11
	v_lshrrev_b32_e32 v12, 4, v28
	v_mul_lo_u32 v12, v12, s10
	s_waitcnt vmcnt(0)
	v_cvt_f32_f16_sdwa v10, v9 dst_sel:DWORD dst_unused:UNUSED_PAD src0_sel:WORD_1
	v_cvt_f32_i32_e32 v11, v11
	v_dot4_i32_i8 v12, v12, v27, 0
	v_cvt_f32_i32_e32 v12, v12
	v_fma_mix_f32 v11, v26, v11, v25 op_sel_hi:[1,0,0]
	v_fma_mix_f32 v12, v26, v12, v24 op_sel_hi:[1,0,0]
	v_mul_f32_e32 v10, v12, v10
	v_fma_mix_f32 v9, v11, v9, -v10 op_sel_hi:[0,1,0]
	v_add_f32_e32 v2, v2, v9
	s_andn2_b64 exec, exec, s[4:5]
	s_cbranch_execnz .LBB103_3
; %bb.4:
	s_or_b64 exec, exec, s[4:5]
.LBB103_5:
	s_or_b64 exec, exec, s[8:9]
	v_mbcnt_lo_u32_b32 v1, -1, 0
	v_mbcnt_hi_u32_b32 v3, -1, v1
	v_and_b32_e32 v1, 64, v3
	v_add_u32_e32 v4, 64, v1
	v_xor_b32_e32 v1, 32, v3
	v_cmp_lt_i32_e32 vcc, v1, v4
	v_cndmask_b32_e32 v1, v3, v1, vcc
	v_lshlrev_b32_e32 v1, 2, v1
	ds_bpermute_b32 v1, v1, v2
	v_xor_b32_e32 v5, 16, v3
	v_cmp_lt_i32_e32 vcc, v5, v4
	s_waitcnt lgkmcnt(0)
	v_add_f32_e32 v1, v2, v1
	v_cndmask_b32_e32 v2, v3, v5, vcc
	v_lshlrev_b32_e32 v2, 2, v2
	ds_bpermute_b32 v2, v2, v1
	v_xor_b32_e32 v5, 8, v3
	v_cmp_lt_i32_e32 vcc, v5, v4
	s_waitcnt lgkmcnt(0)
	v_add_f32_e32 v1, v1, v2
	;; [unrolled: 7-line block ×5, first 2 shown]
	v_cndmask_b32_e32 v2, v3, v5, vcc
	v_lshlrev_b32_e32 v2, 2, v2
	ds_bpermute_b32 v2, v2, v1
	v_cmp_eq_u32_e32 vcc, 0, v0
	s_and_b64 exec, exec, vcc
	s_cbranch_execz .LBB103_7
; %bb.6:
	s_waitcnt lgkmcnt(0)
	v_add_f32_e32 v0, v1, v2
	v_bfe_u32 v1, v0, 16, 1
	s_movk_i32 s0, 0x7fff
	v_add3_u32 v1, v0, v1, s0
	v_cmp_o_f32_e32 vcc, v0, v0
	v_mov_b32_e32 v0, 0x7fc0
	s_mul_i32 s0, s1, s7
	v_cndmask_b32_sdwa v2, v0, v1, vcc dst_sel:DWORD dst_unused:UNUSED_PAD src0_sel:DWORD src1_sel:WORD_1
	v_add_u32_e32 v0, s0, v17
	v_mov_b32_e32 v1, 0
	v_lshlrev_b64 v[0:1], 1, v[0:1]
	v_mov_b32_e32 v3, s3
	v_add_co_u32_e32 v0, vcc, s2, v0
	v_addc_co_u32_e32 v1, vcc, v3, v1, vcc
	global_store_short v[0:1], v2, off
.LBB103_7:
	s_endpgm
	.section	.rodata,"a",@progbits
	.p2align	6, 0x0
	.amdhsa_kernel _ZL13mul_mat_vec_qIN3c108BFloat16ELi256ELi16E10block_q2_KLi1EXadL_ZL17vec_dot_q2_K_q8_1PKvPK10block_q8_1RKiEEEvS4_S4_PT_iii
		.amdhsa_group_segment_fixed_size 0
		.amdhsa_private_segment_fixed_size 0
		.amdhsa_kernarg_size 296
		.amdhsa_user_sgpr_count 6
		.amdhsa_user_sgpr_private_segment_buffer 1
		.amdhsa_user_sgpr_dispatch_ptr 0
		.amdhsa_user_sgpr_queue_ptr 0
		.amdhsa_user_sgpr_kernarg_segment_ptr 1
		.amdhsa_user_sgpr_dispatch_id 0
		.amdhsa_user_sgpr_flat_scratch_init 0
		.amdhsa_user_sgpr_private_segment_size 0
		.amdhsa_uses_dynamic_stack 0
		.amdhsa_system_sgpr_private_segment_wavefront_offset 0
		.amdhsa_system_sgpr_workgroup_id_x 1
		.amdhsa_system_sgpr_workgroup_id_y 1
		.amdhsa_system_sgpr_workgroup_id_z 0
		.amdhsa_system_sgpr_workgroup_info 0
		.amdhsa_system_vgpr_workitem_id 1
		.amdhsa_next_free_vgpr 31
		.amdhsa_next_free_sgpr 16
		.amdhsa_reserve_vcc 1
		.amdhsa_reserve_flat_scratch 0
		.amdhsa_float_round_mode_32 0
		.amdhsa_float_round_mode_16_64 0
		.amdhsa_float_denorm_mode_32 3
		.amdhsa_float_denorm_mode_16_64 3
		.amdhsa_dx10_clamp 1
		.amdhsa_ieee_mode 1
		.amdhsa_fp16_overflow 0
		.amdhsa_exception_fp_ieee_invalid_op 0
		.amdhsa_exception_fp_denorm_src 0
		.amdhsa_exception_fp_ieee_div_zero 0
		.amdhsa_exception_fp_ieee_overflow 0
		.amdhsa_exception_fp_ieee_underflow 0
		.amdhsa_exception_fp_ieee_inexact 0
		.amdhsa_exception_int_div_zero 0
	.end_amdhsa_kernel
	.section	.text._ZL13mul_mat_vec_qIN3c108BFloat16ELi256ELi16E10block_q2_KLi1EXadL_ZL17vec_dot_q2_K_q8_1PKvPK10block_q8_1RKiEEEvS4_S4_PT_iii,"axG",@progbits,_ZL13mul_mat_vec_qIN3c108BFloat16ELi256ELi16E10block_q2_KLi1EXadL_ZL17vec_dot_q2_K_q8_1PKvPK10block_q8_1RKiEEEvS4_S4_PT_iii,comdat
.Lfunc_end103:
	.size	_ZL13mul_mat_vec_qIN3c108BFloat16ELi256ELi16E10block_q2_KLi1EXadL_ZL17vec_dot_q2_K_q8_1PKvPK10block_q8_1RKiEEEvS4_S4_PT_iii, .Lfunc_end103-_ZL13mul_mat_vec_qIN3c108BFloat16ELi256ELi16E10block_q2_KLi1EXadL_ZL17vec_dot_q2_K_q8_1PKvPK10block_q8_1RKiEEEvS4_S4_PT_iii
                                        ; -- End function
	.set _ZL13mul_mat_vec_qIN3c108BFloat16ELi256ELi16E10block_q2_KLi1EXadL_ZL17vec_dot_q2_K_q8_1PKvPK10block_q8_1RKiEEEvS4_S4_PT_iii.num_vgpr, 31
	.set _ZL13mul_mat_vec_qIN3c108BFloat16ELi256ELi16E10block_q2_KLi1EXadL_ZL17vec_dot_q2_K_q8_1PKvPK10block_q8_1RKiEEEvS4_S4_PT_iii.num_agpr, 0
	.set _ZL13mul_mat_vec_qIN3c108BFloat16ELi256ELi16E10block_q2_KLi1EXadL_ZL17vec_dot_q2_K_q8_1PKvPK10block_q8_1RKiEEEvS4_S4_PT_iii.numbered_sgpr, 16
	.set _ZL13mul_mat_vec_qIN3c108BFloat16ELi256ELi16E10block_q2_KLi1EXadL_ZL17vec_dot_q2_K_q8_1PKvPK10block_q8_1RKiEEEvS4_S4_PT_iii.num_named_barrier, 0
	.set _ZL13mul_mat_vec_qIN3c108BFloat16ELi256ELi16E10block_q2_KLi1EXadL_ZL17vec_dot_q2_K_q8_1PKvPK10block_q8_1RKiEEEvS4_S4_PT_iii.private_seg_size, 0
	.set _ZL13mul_mat_vec_qIN3c108BFloat16ELi256ELi16E10block_q2_KLi1EXadL_ZL17vec_dot_q2_K_q8_1PKvPK10block_q8_1RKiEEEvS4_S4_PT_iii.uses_vcc, 1
	.set _ZL13mul_mat_vec_qIN3c108BFloat16ELi256ELi16E10block_q2_KLi1EXadL_ZL17vec_dot_q2_K_q8_1PKvPK10block_q8_1RKiEEEvS4_S4_PT_iii.uses_flat_scratch, 0
	.set _ZL13mul_mat_vec_qIN3c108BFloat16ELi256ELi16E10block_q2_KLi1EXadL_ZL17vec_dot_q2_K_q8_1PKvPK10block_q8_1RKiEEEvS4_S4_PT_iii.has_dyn_sized_stack, 0
	.set _ZL13mul_mat_vec_qIN3c108BFloat16ELi256ELi16E10block_q2_KLi1EXadL_ZL17vec_dot_q2_K_q8_1PKvPK10block_q8_1RKiEEEvS4_S4_PT_iii.has_recursion, 0
	.set _ZL13mul_mat_vec_qIN3c108BFloat16ELi256ELi16E10block_q2_KLi1EXadL_ZL17vec_dot_q2_K_q8_1PKvPK10block_q8_1RKiEEEvS4_S4_PT_iii.has_indirect_call, 0
	.section	.AMDGPU.csdata,"",@progbits
; Kernel info:
; codeLenInByte = 1112
; TotalNumSgprs: 20
; NumVgprs: 31
; ScratchSize: 0
; MemoryBound: 0
; FloatMode: 240
; IeeeMode: 1
; LDSByteSize: 0 bytes/workgroup (compile time only)
; SGPRBlocks: 2
; VGPRBlocks: 7
; NumSGPRsForWavesPerEU: 20
; NumVGPRsForWavesPerEU: 31
; Occupancy: 8
; WaveLimiterHint : 0
; COMPUTE_PGM_RSRC2:SCRATCH_EN: 0
; COMPUTE_PGM_RSRC2:USER_SGPR: 6
; COMPUTE_PGM_RSRC2:TRAP_HANDLER: 0
; COMPUTE_PGM_RSRC2:TGID_X_EN: 1
; COMPUTE_PGM_RSRC2:TGID_Y_EN: 1
; COMPUTE_PGM_RSRC2:TGID_Z_EN: 0
; COMPUTE_PGM_RSRC2:TIDIG_COMP_CNT: 1
	.section	.text._ZL13mul_mat_vec_qIN3c108BFloat16ELi256ELi16E10block_q3_KLi1EXadL_ZL17vec_dot_q3_K_q8_1PKvPK10block_q8_1RKiEEEvS4_S4_PT_iii,"axG",@progbits,_ZL13mul_mat_vec_qIN3c108BFloat16ELi256ELi16E10block_q3_KLi1EXadL_ZL17vec_dot_q3_K_q8_1PKvPK10block_q8_1RKiEEEvS4_S4_PT_iii,comdat
	.globl	_ZL13mul_mat_vec_qIN3c108BFloat16ELi256ELi16E10block_q3_KLi1EXadL_ZL17vec_dot_q3_K_q8_1PKvPK10block_q8_1RKiEEEvS4_S4_PT_iii ; -- Begin function _ZL13mul_mat_vec_qIN3c108BFloat16ELi256ELi16E10block_q3_KLi1EXadL_ZL17vec_dot_q3_K_q8_1PKvPK10block_q8_1RKiEEEvS4_S4_PT_iii
	.p2align	8
	.type	_ZL13mul_mat_vec_qIN3c108BFloat16ELi256ELi16E10block_q3_KLi1EXadL_ZL17vec_dot_q3_K_q8_1PKvPK10block_q8_1RKiEEEvS4_S4_PT_iii,@function
_ZL13mul_mat_vec_qIN3c108BFloat16ELi256ELi16E10block_q3_KLi1EXadL_ZL17vec_dot_q3_K_q8_1PKvPK10block_q8_1RKiEEEvS4_S4_PT_iii: ; @_ZL13mul_mat_vec_qIN3c108BFloat16ELi256ELi16E10block_q3_KLi1EXadL_ZL17vec_dot_q3_K_q8_1PKvPK10block_q8_1RKiEEEvS4_S4_PT_iii
; %bb.0:
	s_load_dword s8, s[4:5], 0x34
	s_load_dwordx4 s[0:3], s[4:5], 0x18
	s_waitcnt lgkmcnt(0)
	s_lshr_b32 s3, s8, 16
	s_mul_i32 s6, s6, s3
	v_add_u32_e32 v9, s6, v1
	s_cmp_lt_u32 s7, s2
	v_cmp_gt_u32_e32 vcc, s1, v9
	s_cselect_b64 s[2:3], -1, 0
	s_and_b64 s[2:3], s[2:3], vcc
	s_and_saveexec_b64 s[8:9], s[2:3]
	s_cbranch_execz .LBB104_7
; %bb.1:
	s_load_dwordx2 s[2:3], s[4:5], 0x10
	s_ashr_i32 s6, s0, 31
	s_lshr_b32 s6, s6, 24
	s_add_i32 s6, s0, s6
	s_ashr_i32 s6, s6, 8
	v_lshrrev_b32_e32 v10, 4, v0
	v_cmp_gt_u32_e32 vcc, s6, v10
	v_mov_b32_e32 v2, 0
	s_and_saveexec_b64 s[12:13], vcc
	s_cbranch_execz .LBB104_5
; %bb.2:
	v_and_b32_e32 v2, 15, v0
	v_subrev_co_u32_e32 v1, vcc, 8, v2
	v_cndmask_b32_e32 v1, v1, v2, vcc
	v_sub_u32_e32 v3, v2, v1
	v_cmp_lt_u32_e32 vcc, 3, v1
	v_addc_co_u32_e32 v3, vcc, 0, v3, vcc
	v_mov_b32_e32 v4, 7
	v_add_u16_e32 v8, 2, v3
	v_mov_b32_e32 v6, 5
	v_lshrrev_b16_sdwa v11, v4, sext(v8) dst_sel:DWORD dst_unused:UNUSED_PAD src0_sel:DWORD src1_sel:BYTE_0
	v_lshrrev_b16_sdwa v12, v6, v11 dst_sel:DWORD dst_unused:UNUSED_PAD src0_sel:DWORD src1_sel:BYTE_0
	v_mov_b32_e32 v7, 6
	v_add_u16_e32 v12, v8, v12
	v_and_b32_e32 v13, 0xf8, v12
	v_lshrrev_b16_sdwa v11, v7, v11 dst_sel:DWORD dst_unused:UNUSED_PAD src0_sel:DWORD src1_sel:BYTE_0
	v_sub_u16_e32 v23, v8, v13
	v_add_u16_e32 v13, v8, v11
	v_and_b32_e32 v11, 0xfc, v13
	v_sub_u16_e32 v8, v8, v11
	v_add_u16_e32 v11, 4, v3
	v_lshrrev_b16_sdwa v14, v4, sext(v11) dst_sel:DWORD dst_unused:UNUSED_PAD src0_sel:DWORD src1_sel:BYTE_0
	v_lshrrev_b16_sdwa v15, v6, v14 dst_sel:DWORD dst_unused:UNUSED_PAD src0_sel:DWORD src1_sel:BYTE_0
	v_add_u16_e32 v15, v11, v15
	v_lshrrev_b16_sdwa v14, v7, v14 dst_sel:DWORD dst_unused:UNUSED_PAD src0_sel:DWORD src1_sel:BYTE_0
	v_and_b32_e32 v16, 0xf8, v15
	v_add_u16_e32 v14, v11, v14
	v_lshrrev_b16_sdwa v5, v4, sext(v3) dst_sel:DWORD dst_unused:UNUSED_PAD src0_sel:DWORD src1_sel:BYTE_0
	v_sub_u16_e32 v25, v11, v16
	v_and_b32_e32 v16, 0xfc, v14
	v_sub_u16_e32 v26, v11, v16
	v_lshrrev_b16_sdwa v11, v6, v5 dst_sel:DWORD dst_unused:UNUSED_PAD src0_sel:DWORD src1_sel:BYTE_0
	v_add_u16_e32 v11, v3, v11
	v_lshrrev_b16_sdwa v5, v7, v5 dst_sel:DWORD dst_unused:UNUSED_PAD src0_sel:DWORD src1_sel:BYTE_0
	v_and_b32_e32 v16, 0xf8, v11
	v_add_u16_e32 v5, v3, v5
	v_sub_u16_e32 v21, v3, v16
	v_and_b32_e32 v16, 0xfc, v5
	v_sub_u16_e32 v22, v3, v16
	v_add_u16_e32 v3, 6, v3
	v_lshrrev_b16_sdwa v4, v4, sext(v3) dst_sel:DWORD dst_unused:UNUSED_PAD src0_sel:DWORD src1_sel:BYTE_0
	v_lshrrev_b16_sdwa v6, v6, v4 dst_sel:DWORD dst_unused:UNUSED_PAD src0_sel:DWORD src1_sel:BYTE_0
	v_lshrrev_b16_sdwa v4, v7, v4 dst_sel:DWORD dst_unused:UNUSED_PAD src0_sel:DWORD src1_sel:BYTE_0
	v_mov_b32_e32 v7, 3
	v_mov_b32_e32 v16, 2
	v_add_u16_e32 v6, v3, v6
	s_addk_i32 s0, 0x1ff
	v_lshrrev_b16_sdwa v11, v7, sext(v11) dst_sel:DWORD dst_unused:UNUSED_PAD src0_sel:DWORD src1_sel:BYTE_0
	v_lshrrev_b16_sdwa v12, v7, sext(v12) dst_sel:DWORD dst_unused:UNUSED_PAD src0_sel:DWORD src1_sel:BYTE_0
	v_ashrrev_i16_sdwa v17, v16, sext(v13) dst_sel:DWORD dst_unused:UNUSED_PAD src0_sel:DWORD src1_sel:BYTE_0
	v_lshrrev_b16_sdwa v13, v7, sext(v15) dst_sel:DWORD dst_unused:UNUSED_PAD src0_sel:DWORD src1_sel:BYTE_0
	v_lshrrev_b16_sdwa v7, v7, sext(v6) dst_sel:DWORD dst_unused:UNUSED_PAD src0_sel:DWORD src1_sel:BYTE_0
	v_add_u16_e32 v4, v3, v4
	s_load_dwordx4 s[8:11], s[4:5], 0x0
	s_ashr_i32 s4, s0, 31
	v_lshrrev_b16_sdwa v18, v16, sext(v14) dst_sel:DWORD dst_unused:UNUSED_PAD src0_sel:DWORD src1_sel:BYTE_0
	v_and_b32_e32 v6, 0xf8, v6
	v_lshlrev_b32_sdwa v14, v16, v7 dst_sel:DWORD dst_unused:UNUSED_PAD src0_sel:DWORD src1_sel:BYTE_0
	v_lshrrev_b16_sdwa v7, v16, sext(v4) dst_sel:DWORD dst_unused:UNUSED_PAD src0_sel:DWORD src1_sel:BYTE_0
	v_and_b32_e32 v4, 0xfc, v4
	s_lshr_b32 s4, s4, 23
	v_ashrrev_i16_sdwa v5, v16, sext(v5) dst_sel:DWORD dst_unused:UNUSED_PAD src0_sel:DWORD src1_sel:BYTE_0
	v_sub_u16_e32 v6, v3, v6
	v_sub_u16_e32 v3, v3, v4
	v_mov_b32_e32 v4, 1
	s_add_i32 s0, s0, s4
	v_lshlrev_b32_sdwa v11, v16, v11 dst_sel:DWORD dst_unused:UNUSED_PAD src0_sel:DWORD src1_sel:BYTE_0
	v_lshlrev_b32_sdwa v12, v16, v12 dst_sel:DWORD dst_unused:UNUSED_PAD src0_sel:DWORD src1_sel:BYTE_0
	;; [unrolled: 1-line block ×3, first 2 shown]
	v_lshlrev_b32_sdwa v15, v4, sext(v5) dst_sel:DWORD dst_unused:UNUSED_PAD src0_sel:DWORD src1_sel:WORD_0
	v_lshlrev_b32_sdwa v16, v4, sext(v17) dst_sel:DWORD dst_unused:UNUSED_PAD src0_sel:DWORD src1_sel:WORD_0
	v_lshlrev_b32_sdwa v17, v4, v18 dst_sel:DWORD dst_unused:UNUSED_PAD src0_sel:DWORD src1_sel:BYTE_0
	v_lshlrev_b32_sdwa v18, v4, v7 dst_sel:DWORD dst_unused:UNUSED_PAD src0_sel:DWORD src1_sel:BYTE_0
	s_ashr_i32 s0, s0, 9
	v_lshrrev_b32_e32 v4, 1, v0
	s_mul_i32 s0, s7, s0
	v_and_b32_e32 v19, 4, v4
	v_bfe_i32 v28, v3, 0, 8
	v_lshlrev_b32_e32 v3, 3, v10
	v_lshl_add_u32 v29, s0, 4, v3
	v_mul_lo_u32 v30, v9, s6
	s_waitcnt lgkmcnt(0)
	v_mad_u64_u32 v[3:4], s[10:11], v19, 36, s[10:11]
	v_lshlrev_b32_e32 v20, 2, v2
	v_mov_b32_e32 v2, 0
	v_bfe_i32 v21, v21, 0, 8
	v_bfe_i32 v22, v22, 0, 8
	;; [unrolled: 1-line block ×7, first 2 shown]
	v_lshlrev_b64 v[5:6], 2, v[1:2]
	s_mov_b64 s[4:5], 0
	s_movk_i32 s0, 0x6e
	v_ashrrev_i32_e32 v31, 31, v21
	v_ashrrev_i32_e32 v32, 31, v22
	;; [unrolled: 1-line block ×8, first 2 shown]
.LBB104_3:                              ; =>This Inner Loop Header: Depth=1
	v_mov_b32_e32 v7, s8
	v_mad_i64_i32 v[46:47], s[10:11], v29, 36, v[3:4]
	v_add_u32_e32 v38, v30, v10
	v_mov_b32_e32 v8, s9
	v_mad_i64_i32 v[7:8], s[10:11], v38, s0, v[7:8]
	v_add_co_u32_e32 v38, vcc, v46, v5
	v_addc_co_u32_e32 v39, vcc, v47, v6, vcc
	global_load_dword v42, v[38:39], off offset:4
	global_load_dword v43, v[38:39], off offset:40
	;; [unrolled: 1-line block ×3, first 2 shown]
	s_nop 0
	global_load_dword v38, v[38:39], off offset:112
	s_nop 0
	global_load_dword v45, v[46:47], off
	global_load_dword v44, v[46:47], off offset:36
	global_load_dword v41, v[46:47], off offset:72
	;; [unrolled: 1-line block ×3, first 2 shown]
	v_add_co_u32_e32 v46, vcc, v7, v21
	v_addc_co_u32_e32 v47, vcc, v8, v31, vcc
	global_load_ubyte v48, v[46:47], off offset:96
	v_add_co_u32_e32 v46, vcc, v7, v22
	v_addc_co_u32_e32 v47, vcc, v8, v32, vcc
	global_load_ubyte v49, v[46:47], off offset:104
	;; [unrolled: 3-line block ×4, first 2 shown]
	v_add_co_u32_e32 v46, vcc, v7, v5
	v_addc_co_u32_e32 v47, vcc, v8, v6, vcc
	global_load_dword v52, v[46:47], off
	v_add_co_u32_e32 v46, vcc, v7, v20
	v_addc_co_u32_e32 v47, vcc, 0, v8, vcc
	global_load_dword v53, v[46:47], off offset:32
	v_add_co_u32_e32 v46, vcc, v7, v25
	v_addc_co_u32_e32 v47, vcc, v8, v35, vcc
	global_load_ubyte v54, v[46:47], off offset:96
	v_add_co_u32_e32 v46, vcc, v7, v26
	v_addc_co_u32_e32 v47, vcc, v8, v36, vcc
	global_load_ubyte v55, v[46:47], off offset:104
	;; [unrolled: 3-line block ×4, first 2 shown]
	v_add_u32_e32 v10, 4, v10
	global_load_ushort v7, v[7:8], off offset:108
	v_cmp_le_u32_e32 vcc, s6, v10
	s_or_b64 s[4:5], vcc, s[4:5]
	v_add_u32_e32 v29, 32, v29
	s_waitcnt vmcnt(10)
	v_bfe_u32 v47, v48, v11, 4
	s_waitcnt vmcnt(9)
	v_lshrrev_b32_e32 v48, v15, v49
	v_lshlrev_b32_e32 v48, 4, v48
	v_and_or_b32 v47, v48, 48, v47
	v_subrev_u32_e32 v47, 32, v47
	s_waitcnt vmcnt(8)
	v_bfe_u32 v48, v50, v12, 4
	s_waitcnt vmcnt(7)
	v_lshrrev_b32_e32 v49, v16, v51
	v_lshlrev_b32_e32 v49, 4, v49
	v_and_or_b32 v48, v49, 48, v48
	s_waitcnt vmcnt(6)
	v_ashrrev_i32_e32 v49, v19, v52
	v_not_b32_e32 v49, v49
	v_lshlrev_b32_e32 v50, 2, v49
	v_and_b32_e32 v50, 0x4040404, v50
	v_lshlrev_b32_e32 v60, 1, v49
	s_waitcnt vmcnt(5)
	v_bfe_u32 v51, v53, 24, 2
	v_and_b32_e32 v52, 0x3030303, v53
	v_sub_u16_sdwa v51, v51, v50 dst_sel:BYTE_1 dst_unused:UNUSED_PAD src0_sel:DWORD src1_sel:BYTE_3
	v_sub_u16_e32 v57, v52, v50
	v_sub_u16_sdwa v58, v52, v50 dst_sel:BYTE_1 dst_unused:UNUSED_PAD src0_sel:BYTE_1 src1_sel:BYTE_1
	v_sub_u16_sdwa v50, v52, v50 dst_sel:DWORD dst_unused:UNUSED_PAD src0_sel:WORD_1 src1_sel:WORD_1
	v_lshrrev_b32_e32 v52, 2, v53
	v_and_b32_e32 v59, 0x3030303, v52
	v_bfe_u32 v52, v52, 24, 2
	v_and_b32_e32 v60, 0x4040404, v60
	v_sub_u16_sdwa v52, v52, v60 dst_sel:BYTE_1 dst_unused:UNUSED_PAD src0_sel:DWORD src1_sel:BYTE_3
	v_sub_u16_e32 v61, v59, v60
	v_sub_u16_sdwa v62, v59, v60 dst_sel:BYTE_1 dst_unused:UNUSED_PAD src0_sel:BYTE_1 src1_sel:BYTE_1
	v_sub_u16_sdwa v59, v59, v60 dst_sel:DWORD dst_unused:UNUSED_PAD src0_sel:WORD_1 src1_sel:WORD_1
	v_or_b32_sdwa v57, v57, v58 dst_sel:DWORD dst_unused:UNUSED_PAD src0_sel:BYTE_0 src1_sel:DWORD
	v_or_b32_sdwa v50, v50, v51 dst_sel:WORD_1 dst_unused:UNUSED_PAD src0_sel:BYTE_0 src1_sel:DWORD
	v_or_b32_sdwa v51, v61, v62 dst_sel:DWORD dst_unused:UNUSED_PAD src0_sel:BYTE_0 src1_sel:DWORD
	v_or_b32_sdwa v52, v59, v52 dst_sel:WORD_1 dst_unused:UNUSED_PAD src0_sel:BYTE_0 src1_sel:DWORD
	v_or_b32_sdwa v50, v57, v50 dst_sel:DWORD dst_unused:UNUSED_PAD src0_sel:WORD_0 src1_sel:DWORD
	v_or_b32_sdwa v51, v51, v52 dst_sel:DWORD dst_unused:UNUSED_PAD src0_sel:WORD_0 src1_sel:DWORD
	v_dot4_i32_i8 v42, v50, v42, 0
	v_dot4_i32_i8 v43, v51, v43, 0
	v_mul_lo_u32 v42, v47, v42
	v_subrev_u32_e32 v47, 32, v48
	v_mul_lo_u32 v43, v47, v43
	v_and_b32_e32 v47, 0x4040404, v49
	v_cvt_f32_i32_e32 v42, v42
	v_cvt_f32_i32_e32 v43, v43
	v_fma_mix_f32 v42, v45, v42, 0 op_sel_hi:[1,0,0]
	v_fma_mix_f32 v42, v44, v43, v42 op_sel_hi:[1,0,0]
	s_waitcnt vmcnt(3)
	v_lshrrev_b32_e32 v44, v17, v55
	v_bfe_u32 v43, v54, v13, 4
	v_lshlrev_b32_e32 v44, 4, v44
	v_and_or_b32 v43, v44, 48, v43
	v_lshrrev_b32_e32 v44, 4, v53
	v_and_b32_e32 v45, 0x3030303, v44
	v_bfe_u32 v44, v44, 24, 2
	v_sub_u16_sdwa v44, v44, v47 dst_sel:BYTE_1 dst_unused:UNUSED_PAD src0_sel:DWORD src1_sel:BYTE_3
	v_sub_u16_e32 v48, v45, v47
	v_sub_u16_sdwa v50, v45, v47 dst_sel:BYTE_1 dst_unused:UNUSED_PAD src0_sel:BYTE_1 src1_sel:BYTE_1
	v_sub_u16_sdwa v45, v45, v47 dst_sel:DWORD dst_unused:UNUSED_PAD src0_sel:WORD_1 src1_sel:WORD_1
	v_or_b32_sdwa v47, v48, v50 dst_sel:DWORD dst_unused:UNUSED_PAD src0_sel:BYTE_0 src1_sel:DWORD
	v_or_b32_sdwa v44, v45, v44 dst_sel:WORD_1 dst_unused:UNUSED_PAD src0_sel:BYTE_0 src1_sel:DWORD
	v_or_b32_sdwa v44, v47, v44 dst_sel:DWORD dst_unused:UNUSED_PAD src0_sel:WORD_0 src1_sel:DWORD
	v_dot4_i32_i8 v40, v44, v40, 0
	v_subrev_u32_e32 v43, 32, v43
	v_mul_lo_u32 v40, v43, v40
	v_lshrrev_b32_e32 v44, 1, v49
	v_lshrrev_b32_e32 v43, 30, v53
	v_and_b32_e32 v44, 0x4040404, v44
	v_cvt_f32_i32_e32 v40, v40
	v_sub_u16_sdwa v43, v43, v44 dst_sel:BYTE_1 dst_unused:UNUSED_PAD src0_sel:DWORD src1_sel:BYTE_3
	v_fma_mix_f32 v40, v41, v40, v42 op_sel_hi:[1,0,0]
	s_waitcnt vmcnt(1)
	v_lshrrev_b32_e32 v42, v18, v46
	v_bfe_u32 v41, v56, v14, 4
	v_lshlrev_b32_e32 v42, 4, v42
	v_and_or_b32 v41, v42, 48, v41
	v_lshrrev_b32_e32 v42, 6, v53
	v_and_b32_e32 v42, 0x3030303, v42
	v_sub_u16_e32 v45, v42, v44
	v_sub_u16_sdwa v46, v42, v44 dst_sel:BYTE_1 dst_unused:UNUSED_PAD src0_sel:BYTE_1 src1_sel:BYTE_1
	v_sub_u16_sdwa v42, v42, v44 dst_sel:DWORD dst_unused:UNUSED_PAD src0_sel:WORD_1 src1_sel:WORD_1
	v_or_b32_sdwa v44, v45, v46 dst_sel:DWORD dst_unused:UNUSED_PAD src0_sel:BYTE_0 src1_sel:DWORD
	v_or_b32_sdwa v42, v42, v43 dst_sel:WORD_1 dst_unused:UNUSED_PAD src0_sel:BYTE_0 src1_sel:DWORD
	v_or_b32_sdwa v42, v44, v42 dst_sel:DWORD dst_unused:UNUSED_PAD src0_sel:WORD_0 src1_sel:DWORD
	v_dot4_i32_i8 v38, v42, v38, 0
	v_subrev_u32_e32 v41, 32, v41
	v_mul_lo_u32 v38, v41, v38
	v_cvt_f32_i32_e32 v38, v38
	v_fma_mix_f32 v38, v39, v38, v40 op_sel_hi:[1,0,0]
	s_waitcnt vmcnt(0)
	v_fma_mix_f32 v2, v38, v7, v2 op_sel_hi:[0,1,0]
	s_andn2_b64 exec, exec, s[4:5]
	s_cbranch_execnz .LBB104_3
; %bb.4:
	s_or_b64 exec, exec, s[4:5]
.LBB104_5:
	s_or_b64 exec, exec, s[12:13]
	v_mbcnt_lo_u32_b32 v1, -1, 0
	v_mbcnt_hi_u32_b32 v3, -1, v1
	v_and_b32_e32 v1, 64, v3
	v_add_u32_e32 v4, 64, v1
	v_xor_b32_e32 v1, 32, v3
	v_cmp_lt_i32_e32 vcc, v1, v4
	v_cndmask_b32_e32 v1, v3, v1, vcc
	v_lshlrev_b32_e32 v1, 2, v1
	ds_bpermute_b32 v1, v1, v2
	v_xor_b32_e32 v5, 16, v3
	v_cmp_lt_i32_e32 vcc, v5, v4
	s_waitcnt lgkmcnt(0)
	v_add_f32_e32 v1, v2, v1
	v_cndmask_b32_e32 v2, v3, v5, vcc
	v_lshlrev_b32_e32 v2, 2, v2
	ds_bpermute_b32 v2, v2, v1
	v_xor_b32_e32 v5, 8, v3
	v_cmp_lt_i32_e32 vcc, v5, v4
	s_waitcnt lgkmcnt(0)
	v_add_f32_e32 v1, v1, v2
	;; [unrolled: 7-line block ×5, first 2 shown]
	v_cndmask_b32_e32 v2, v3, v5, vcc
	v_lshlrev_b32_e32 v2, 2, v2
	ds_bpermute_b32 v2, v2, v1
	v_cmp_eq_u32_e32 vcc, 0, v0
	s_and_b64 exec, exec, vcc
	s_cbranch_execz .LBB104_7
; %bb.6:
	s_waitcnt lgkmcnt(0)
	v_add_f32_e32 v0, v1, v2
	v_bfe_u32 v1, v0, 16, 1
	s_movk_i32 s0, 0x7fff
	v_add3_u32 v1, v0, v1, s0
	v_cmp_o_f32_e32 vcc, v0, v0
	v_mov_b32_e32 v0, 0x7fc0
	s_mul_i32 s0, s1, s7
	v_cndmask_b32_sdwa v2, v0, v1, vcc dst_sel:DWORD dst_unused:UNUSED_PAD src0_sel:DWORD src1_sel:WORD_1
	v_add_u32_e32 v0, s0, v9
	v_mov_b32_e32 v1, 0
	v_lshlrev_b64 v[0:1], 1, v[0:1]
	v_mov_b32_e32 v3, s3
	v_add_co_u32_e32 v0, vcc, s2, v0
	v_addc_co_u32_e32 v1, vcc, v3, v1, vcc
	global_store_short v[0:1], v2, off
.LBB104_7:
	s_endpgm
	.section	.rodata,"a",@progbits
	.p2align	6, 0x0
	.amdhsa_kernel _ZL13mul_mat_vec_qIN3c108BFloat16ELi256ELi16E10block_q3_KLi1EXadL_ZL17vec_dot_q3_K_q8_1PKvPK10block_q8_1RKiEEEvS4_S4_PT_iii
		.amdhsa_group_segment_fixed_size 0
		.amdhsa_private_segment_fixed_size 0
		.amdhsa_kernarg_size 296
		.amdhsa_user_sgpr_count 6
		.amdhsa_user_sgpr_private_segment_buffer 1
		.amdhsa_user_sgpr_dispatch_ptr 0
		.amdhsa_user_sgpr_queue_ptr 0
		.amdhsa_user_sgpr_kernarg_segment_ptr 1
		.amdhsa_user_sgpr_dispatch_id 0
		.amdhsa_user_sgpr_flat_scratch_init 0
		.amdhsa_user_sgpr_private_segment_size 0
		.amdhsa_uses_dynamic_stack 0
		.amdhsa_system_sgpr_private_segment_wavefront_offset 0
		.amdhsa_system_sgpr_workgroup_id_x 1
		.amdhsa_system_sgpr_workgroup_id_y 1
		.amdhsa_system_sgpr_workgroup_id_z 0
		.amdhsa_system_sgpr_workgroup_info 0
		.amdhsa_system_vgpr_workitem_id 1
		.amdhsa_next_free_vgpr 63
		.amdhsa_next_free_sgpr 14
		.amdhsa_reserve_vcc 1
		.amdhsa_reserve_flat_scratch 0
		.amdhsa_float_round_mode_32 0
		.amdhsa_float_round_mode_16_64 0
		.amdhsa_float_denorm_mode_32 3
		.amdhsa_float_denorm_mode_16_64 3
		.amdhsa_dx10_clamp 1
		.amdhsa_ieee_mode 1
		.amdhsa_fp16_overflow 0
		.amdhsa_exception_fp_ieee_invalid_op 0
		.amdhsa_exception_fp_denorm_src 0
		.amdhsa_exception_fp_ieee_div_zero 0
		.amdhsa_exception_fp_ieee_overflow 0
		.amdhsa_exception_fp_ieee_underflow 0
		.amdhsa_exception_fp_ieee_inexact 0
		.amdhsa_exception_int_div_zero 0
	.end_amdhsa_kernel
	.section	.text._ZL13mul_mat_vec_qIN3c108BFloat16ELi256ELi16E10block_q3_KLi1EXadL_ZL17vec_dot_q3_K_q8_1PKvPK10block_q8_1RKiEEEvS4_S4_PT_iii,"axG",@progbits,_ZL13mul_mat_vec_qIN3c108BFloat16ELi256ELi16E10block_q3_KLi1EXadL_ZL17vec_dot_q3_K_q8_1PKvPK10block_q8_1RKiEEEvS4_S4_PT_iii,comdat
.Lfunc_end104:
	.size	_ZL13mul_mat_vec_qIN3c108BFloat16ELi256ELi16E10block_q3_KLi1EXadL_ZL17vec_dot_q3_K_q8_1PKvPK10block_q8_1RKiEEEvS4_S4_PT_iii, .Lfunc_end104-_ZL13mul_mat_vec_qIN3c108BFloat16ELi256ELi16E10block_q3_KLi1EXadL_ZL17vec_dot_q3_K_q8_1PKvPK10block_q8_1RKiEEEvS4_S4_PT_iii
                                        ; -- End function
	.set _ZL13mul_mat_vec_qIN3c108BFloat16ELi256ELi16E10block_q3_KLi1EXadL_ZL17vec_dot_q3_K_q8_1PKvPK10block_q8_1RKiEEEvS4_S4_PT_iii.num_vgpr, 63
	.set _ZL13mul_mat_vec_qIN3c108BFloat16ELi256ELi16E10block_q3_KLi1EXadL_ZL17vec_dot_q3_K_q8_1PKvPK10block_q8_1RKiEEEvS4_S4_PT_iii.num_agpr, 0
	.set _ZL13mul_mat_vec_qIN3c108BFloat16ELi256ELi16E10block_q3_KLi1EXadL_ZL17vec_dot_q3_K_q8_1PKvPK10block_q8_1RKiEEEvS4_S4_PT_iii.numbered_sgpr, 14
	.set _ZL13mul_mat_vec_qIN3c108BFloat16ELi256ELi16E10block_q3_KLi1EXadL_ZL17vec_dot_q3_K_q8_1PKvPK10block_q8_1RKiEEEvS4_S4_PT_iii.num_named_barrier, 0
	.set _ZL13mul_mat_vec_qIN3c108BFloat16ELi256ELi16E10block_q3_KLi1EXadL_ZL17vec_dot_q3_K_q8_1PKvPK10block_q8_1RKiEEEvS4_S4_PT_iii.private_seg_size, 0
	.set _ZL13mul_mat_vec_qIN3c108BFloat16ELi256ELi16E10block_q3_KLi1EXadL_ZL17vec_dot_q3_K_q8_1PKvPK10block_q8_1RKiEEEvS4_S4_PT_iii.uses_vcc, 1
	.set _ZL13mul_mat_vec_qIN3c108BFloat16ELi256ELi16E10block_q3_KLi1EXadL_ZL17vec_dot_q3_K_q8_1PKvPK10block_q8_1RKiEEEvS4_S4_PT_iii.uses_flat_scratch, 0
	.set _ZL13mul_mat_vec_qIN3c108BFloat16ELi256ELi16E10block_q3_KLi1EXadL_ZL17vec_dot_q3_K_q8_1PKvPK10block_q8_1RKiEEEvS4_S4_PT_iii.has_dyn_sized_stack, 0
	.set _ZL13mul_mat_vec_qIN3c108BFloat16ELi256ELi16E10block_q3_KLi1EXadL_ZL17vec_dot_q3_K_q8_1PKvPK10block_q8_1RKiEEEvS4_S4_PT_iii.has_recursion, 0
	.set _ZL13mul_mat_vec_qIN3c108BFloat16ELi256ELi16E10block_q3_KLi1EXadL_ZL17vec_dot_q3_K_q8_1PKvPK10block_q8_1RKiEEEvS4_S4_PT_iii.has_indirect_call, 0
	.section	.AMDGPU.csdata,"",@progbits
; Kernel info:
; codeLenInByte = 1924
; TotalNumSgprs: 18
; NumVgprs: 63
; ScratchSize: 0
; MemoryBound: 0
; FloatMode: 240
; IeeeMode: 1
; LDSByteSize: 0 bytes/workgroup (compile time only)
; SGPRBlocks: 2
; VGPRBlocks: 15
; NumSGPRsForWavesPerEU: 18
; NumVGPRsForWavesPerEU: 63
; Occupancy: 4
; WaveLimiterHint : 0
; COMPUTE_PGM_RSRC2:SCRATCH_EN: 0
; COMPUTE_PGM_RSRC2:USER_SGPR: 6
; COMPUTE_PGM_RSRC2:TRAP_HANDLER: 0
; COMPUTE_PGM_RSRC2:TGID_X_EN: 1
; COMPUTE_PGM_RSRC2:TGID_Y_EN: 1
; COMPUTE_PGM_RSRC2:TGID_Z_EN: 0
; COMPUTE_PGM_RSRC2:TIDIG_COMP_CNT: 1
	.section	.text._ZL13mul_mat_vec_qIN3c108BFloat16ELi256ELi32E10block_q4_KLi2EXadL_ZL17vec_dot_q4_K_q8_1PKvPK10block_q8_1RKiEEEvS4_S4_PT_iii,"axG",@progbits,_ZL13mul_mat_vec_qIN3c108BFloat16ELi256ELi32E10block_q4_KLi2EXadL_ZL17vec_dot_q4_K_q8_1PKvPK10block_q8_1RKiEEEvS4_S4_PT_iii,comdat
	.globl	_ZL13mul_mat_vec_qIN3c108BFloat16ELi256ELi32E10block_q4_KLi2EXadL_ZL17vec_dot_q4_K_q8_1PKvPK10block_q8_1RKiEEEvS4_S4_PT_iii ; -- Begin function _ZL13mul_mat_vec_qIN3c108BFloat16ELi256ELi32E10block_q4_KLi2EXadL_ZL17vec_dot_q4_K_q8_1PKvPK10block_q8_1RKiEEEvS4_S4_PT_iii
	.p2align	8
	.type	_ZL13mul_mat_vec_qIN3c108BFloat16ELi256ELi32E10block_q4_KLi2EXadL_ZL17vec_dot_q4_K_q8_1PKvPK10block_q8_1RKiEEEvS4_S4_PT_iii,@function
_ZL13mul_mat_vec_qIN3c108BFloat16ELi256ELi32E10block_q4_KLi2EXadL_ZL17vec_dot_q4_K_q8_1PKvPK10block_q8_1RKiEEEvS4_S4_PT_iii: ; @_ZL13mul_mat_vec_qIN3c108BFloat16ELi256ELi32E10block_q4_KLi2EXadL_ZL17vec_dot_q4_K_q8_1PKvPK10block_q8_1RKiEEEvS4_S4_PT_iii
; %bb.0:
	s_load_dword s0, s[4:5], 0x34
	s_load_dwordx4 s[8:11], s[4:5], 0x18
	s_waitcnt lgkmcnt(0)
	s_lshr_b32 s0, s0, 16
	s_mul_i32 s6, s6, s0
	v_add_u32_e32 v9, s6, v1
	s_cmp_lt_u32 s7, s10
	v_cmp_gt_u32_e32 vcc, s9, v9
	s_cselect_b64 s[0:1], -1, 0
	s_and_b64 s[0:1], s[0:1], vcc
	s_and_saveexec_b64 s[2:3], s[0:1]
	s_cbranch_execz .LBB105_11
; %bb.1:
	s_load_dwordx2 s[2:3], s[4:5], 0x10
	s_ashr_i32 s0, s8, 31
	s_lshr_b32 s0, s0, 24
	s_add_i32 s0, s8, s0
	s_ashr_i32 s6, s0, 8
	v_lshrrev_b32_e32 v11, 4, v0
	v_cmp_gt_u32_e32 vcc, s6, v11
	v_mov_b32_e32 v10, 0
	s_and_saveexec_b64 s[10:11], vcc
	s_cbranch_execz .LBB105_9
; %bb.2:
	s_load_dwordx4 s[12:15], s[4:5], 0x0
	s_add_i32 s0, s8, 0x1ff
	s_ashr_i32 s1, s0, 31
	s_lshr_b32 s1, s1, 23
	v_lshlrev_b32_e32 v1, 1, v0
	s_add_i32 s0, s0, s1
	v_bfe_u32 v5, v1, 3, 2
	s_ashr_i32 s0, s0, 9
	v_and_b32_e32 v2, 30, v1
	v_lshlrev_b32_e32 v1, 1, v5
	s_mul_i32 s4, s7, s0
	v_mul_lo_u32 v12, v9, s6
	v_cmp_lt_u32_e32 vcc, 15, v2
	s_waitcnt lgkmcnt(0)
	v_mad_u64_u32 v[1:2], s[0:1], v1, 36, s[14:15]
	v_lshlrev_b32_e32 v3, 3, v11
	v_and_b32_e32 v6, 3, v0
	v_lshl_add_u32 v15, s4, 4, v3
	v_mov_b32_e32 v3, s12
	v_lshlrev_b32_e32 v13, 5, v5
	v_mov_b32_e32 v10, 0
	v_lshlrev_b32_e32 v14, 2, v6
	s_mov_b64 s[4:5], 0
	s_movk_i32 s8, 0x90
	v_mov_b32_e32 v4, s13
	v_lshlrev_b32_e32 v16, 1, v5
	s_mov_b32 s12, 0x5040100
	s_mov_b32 s13, 0x20004
	;; [unrolled: 1-line block ×3, first 2 shown]
	v_lshlrev_b32_e32 v17, 2, v6
	s_mov_b32 s15, 0x1010101
	s_branch .LBB105_4
.LBB105_3:                              ;   in Loop: Header=BB105_4 Depth=1
	s_or_b64 exec, exec, s[0:1]
	v_mad_i64_i32 v[7:8], s[0:1], v15, 36, v[1:2]
	v_add_u32_e32 v11, 4, v11
	v_add_u32_e32 v15, 32, v15
	v_add_co_u32_e64 v21, s[0:1], v7, v17
	v_addc_co_u32_e64 v22, s[0:1], 0, v8, s[0:1]
	global_load_dword v23, v[21:22], off offset:4
	global_load_dword v24, v[21:22], off offset:20
	;; [unrolled: 1-line block ×4, first 2 shown]
	global_load_dword v27, v[5:6], off
                                        ; kill: killed $vgpr21 killed $vgpr22
                                        ; kill: killed $vgpr5 killed $vgpr6
	s_nop 0
	global_load_dword v5, v[7:8], off
	global_load_dword v6, v[7:8], off offset:36
	s_waitcnt vmcnt(8)
	v_and_b32_e32 v7, 0xf0f0f0f, v18
	v_lshrrev_b32_e32 v18, 4, v18
	s_waitcnt vmcnt(7)
	v_and_b32_e32 v8, 0xf0f0f0f, v19
	v_lshrrev_b32_e32 v19, 4, v19
	v_and_b32_e32 v18, 0xf0f0f0f, v18
	v_and_b32_e32 v19, 0xf0f0f0f, v19
	v_lshrrev_b16_e32 v21, 8, v20
	v_cmp_le_u32_e64 s[0:1], s6, v11
	s_or_b64 s[4:5], s[0:1], s[4:5]
	s_waitcnt vmcnt(6)
	v_dot4_i32_i8 v7, v7, v23, 0
	s_waitcnt vmcnt(5)
	v_dot4_i32_i8 v7, v8, v24, v7
	v_dot4_i32_i8 v8, s15, v23, 0
	s_waitcnt vmcnt(4)
	v_dot4_i32_i8 v18, v18, v25, 0
	;; [unrolled: 3-line block ×3, first 2 shown]
	v_lshrrev_b32_e32 v19, 24, v20
	v_dot4_i32_i8 v22, s15, v25, 0
	v_and_b32_e32 v23, 0xff, v20
	v_bfe_u32 v20, v20, 16, 8
	v_dot4_i32_i8 v22, s15, v26, v22
	v_mul_lo_u32 v7, v7, v20
	v_mul_lo_u32 v8, v8, v23
	;; [unrolled: 1-line block ×4, first 2 shown]
	v_cvt_f32_i32_e32 v7, v7
	v_cvt_f32_i32_e32 v8, v8
	s_waitcnt vmcnt(2)
	v_cvt_f32_f16_sdwa v20, v27 dst_sel:DWORD dst_unused:UNUSED_PAD src0_sel:WORD_1
	v_cvt_f32_i32_e32 v19, v19
	v_cvt_f32_i32_e32 v18, v18
	s_waitcnt vmcnt(1)
	v_fma_mix_f32 v7, v5, v7, 0 op_sel_hi:[1,0,0]
	v_fma_mix_f32 v5, v5, v8, 0 op_sel_hi:[1,0,0]
	s_waitcnt vmcnt(0)
	v_fma_mix_f32 v5, v6, v19, v5 op_sel_hi:[1,0,0]
	v_fma_mix_f32 v7, v6, v18, v7 op_sel_hi:[1,0,0]
	v_mul_f32_e32 v5, v5, v20
	v_fma_mix_f32 v5, v7, v27, -v5 op_sel_hi:[0,1,0]
	v_add_f32_e32 v10, v10, v5
	s_andn2_b64 exec, exec, s[4:5]
	s_cbranch_execz .LBB105_8
.LBB105_4:                              ; =>This Inner Loop Header: Depth=1
	v_add_u32_e32 v5, v12, v11
	v_mad_i64_i32 v[5:6], s[0:1], v5, s8, v[3:4]
                                        ; implicit-def: $vgpr20
	v_add_co_u32_e64 v7, s[0:1], v5, v13
	v_addc_co_u32_e64 v8, s[0:1], 0, v6, s[0:1]
	v_add_co_u32_e64 v7, s[0:1], v7, v14
	v_addc_co_u32_e64 v8, s[0:1], 0, v8, s[0:1]
	global_load_dword v18, v[7:8], off offset:16
	global_load_dword v19, v[7:8], off offset:32
	v_add_co_u32_e64 v7, s[0:1], v5, v16
	v_addc_co_u32_e64 v8, s[0:1], 0, v6, s[0:1]
	s_and_saveexec_b64 s[0:1], vcc
	s_xor_b64 s[0:1], exec, s[0:1]
	s_cbranch_execz .LBB105_6
; %bb.5:                                ;   in Loop: Header=BB105_4 Depth=1
	global_load_ushort v20, v[7:8], off
	global_load_ushort v21, v[7:8], off offset:8
	global_load_ushort v22, v[7:8], off offset:4
	s_waitcnt vmcnt(1)
	v_perm_b32 v7, v20, v21, s12
	s_waitcnt vmcnt(0)
	v_perm_b32 v8, v21, v22, s12
	v_pk_lshrrev_b16 v8, 2, v8
	v_pk_lshrrev_b16 v7, s13, v7
	v_and_b32_e32 v8, 0xf0f3030, v8
	v_and_or_b32 v20, v7, s14, v8
                                        ; implicit-def: $vgpr7_vgpr8
.LBB105_6:                              ;   in Loop: Header=BB105_4 Depth=1
	s_andn2_saveexec_b64 s[0:1], s[0:1]
	s_cbranch_execz .LBB105_3
; %bb.7:                                ;   in Loop: Header=BB105_4 Depth=1
	global_load_ushort v20, v[7:8], off offset:4
	global_load_ushort v21, v[7:8], off offset:8
	s_waitcnt vmcnt(0)
	v_perm_b32 v7, v20, v21, s12
	v_and_b32_e32 v20, 0x3f3f3f3f, v7
	s_branch .LBB105_3
.LBB105_8:
	s_or_b64 exec, exec, s[4:5]
.LBB105_9:
	s_or_b64 exec, exec, s[10:11]
	v_mbcnt_lo_u32_b32 v1, -1, 0
	v_mbcnt_hi_u32_b32 v2, -1, v1
	v_and_b32_e32 v1, 64, v2
	v_add_u32_e32 v3, 64, v1
	v_xor_b32_e32 v1, 32, v2
	v_cmp_lt_i32_e32 vcc, v1, v3
	v_cndmask_b32_e32 v1, v2, v1, vcc
	v_lshlrev_b32_e32 v1, 2, v1
	ds_bpermute_b32 v1, v1, v10
	v_xor_b32_e32 v4, 16, v2
	v_cmp_lt_i32_e32 vcc, v4, v3
	v_cndmask_b32_e32 v4, v2, v4, vcc
	v_lshlrev_b32_e32 v4, 2, v4
	s_waitcnt lgkmcnt(0)
	v_add_f32_e32 v1, v10, v1
	ds_bpermute_b32 v4, v4, v1
	v_xor_b32_e32 v5, 8, v2
	v_cmp_lt_i32_e32 vcc, v5, v3
	s_waitcnt lgkmcnt(0)
	v_add_f32_e32 v1, v1, v4
	v_cndmask_b32_e32 v4, v2, v5, vcc
	v_lshlrev_b32_e32 v4, 2, v4
	ds_bpermute_b32 v4, v4, v1
	v_xor_b32_e32 v5, 4, v2
	v_cmp_lt_i32_e32 vcc, v5, v3
	s_waitcnt lgkmcnt(0)
	v_add_f32_e32 v1, v1, v4
	v_cndmask_b32_e32 v4, v2, v5, vcc
	v_lshlrev_b32_e32 v4, 2, v4
	;; [unrolled: 7-line block ×3, first 2 shown]
	ds_bpermute_b32 v4, v4, v1
	v_xor_b32_e32 v5, 1, v2
	v_cmp_lt_i32_e32 vcc, v5, v3
	v_cndmask_b32_e32 v2, v2, v5, vcc
	v_lshlrev_b32_e32 v2, 2, v2
	s_waitcnt lgkmcnt(0)
	v_add_f32_e32 v1, v1, v4
	ds_bpermute_b32 v2, v2, v1
	v_cmp_eq_u32_e32 vcc, 0, v0
	s_and_b64 exec, exec, vcc
	s_cbranch_execz .LBB105_11
; %bb.10:
	s_waitcnt lgkmcnt(0)
	v_add_f32_e32 v0, v1, v2
	v_bfe_u32 v1, v0, 16, 1
	s_movk_i32 s0, 0x7fff
	v_add3_u32 v1, v0, v1, s0
	v_cmp_o_f32_e32 vcc, v0, v0
	v_mov_b32_e32 v0, 0x7fc0
	s_mul_i32 s0, s9, s7
	v_cndmask_b32_sdwa v2, v0, v1, vcc dst_sel:DWORD dst_unused:UNUSED_PAD src0_sel:DWORD src1_sel:WORD_1
	v_add_u32_e32 v0, s0, v9
	v_mov_b32_e32 v1, 0
	v_lshlrev_b64 v[0:1], 1, v[0:1]
	v_mov_b32_e32 v3, s3
	v_add_co_u32_e32 v0, vcc, s2, v0
	v_addc_co_u32_e32 v1, vcc, v3, v1, vcc
	global_store_short v[0:1], v2, off
.LBB105_11:
	s_endpgm
	.section	.rodata,"a",@progbits
	.p2align	6, 0x0
	.amdhsa_kernel _ZL13mul_mat_vec_qIN3c108BFloat16ELi256ELi32E10block_q4_KLi2EXadL_ZL17vec_dot_q4_K_q8_1PKvPK10block_q8_1RKiEEEvS4_S4_PT_iii
		.amdhsa_group_segment_fixed_size 0
		.amdhsa_private_segment_fixed_size 0
		.amdhsa_kernarg_size 296
		.amdhsa_user_sgpr_count 6
		.amdhsa_user_sgpr_private_segment_buffer 1
		.amdhsa_user_sgpr_dispatch_ptr 0
		.amdhsa_user_sgpr_queue_ptr 0
		.amdhsa_user_sgpr_kernarg_segment_ptr 1
		.amdhsa_user_sgpr_dispatch_id 0
		.amdhsa_user_sgpr_flat_scratch_init 0
		.amdhsa_user_sgpr_private_segment_size 0
		.amdhsa_uses_dynamic_stack 0
		.amdhsa_system_sgpr_private_segment_wavefront_offset 0
		.amdhsa_system_sgpr_workgroup_id_x 1
		.amdhsa_system_sgpr_workgroup_id_y 1
		.amdhsa_system_sgpr_workgroup_id_z 0
		.amdhsa_system_sgpr_workgroup_info 0
		.amdhsa_system_vgpr_workitem_id 1
		.amdhsa_next_free_vgpr 28
		.amdhsa_next_free_sgpr 16
		.amdhsa_reserve_vcc 1
		.amdhsa_reserve_flat_scratch 0
		.amdhsa_float_round_mode_32 0
		.amdhsa_float_round_mode_16_64 0
		.amdhsa_float_denorm_mode_32 3
		.amdhsa_float_denorm_mode_16_64 3
		.amdhsa_dx10_clamp 1
		.amdhsa_ieee_mode 1
		.amdhsa_fp16_overflow 0
		.amdhsa_exception_fp_ieee_invalid_op 0
		.amdhsa_exception_fp_denorm_src 0
		.amdhsa_exception_fp_ieee_div_zero 0
		.amdhsa_exception_fp_ieee_overflow 0
		.amdhsa_exception_fp_ieee_underflow 0
		.amdhsa_exception_fp_ieee_inexact 0
		.amdhsa_exception_int_div_zero 0
	.end_amdhsa_kernel
	.section	.text._ZL13mul_mat_vec_qIN3c108BFloat16ELi256ELi32E10block_q4_KLi2EXadL_ZL17vec_dot_q4_K_q8_1PKvPK10block_q8_1RKiEEEvS4_S4_PT_iii,"axG",@progbits,_ZL13mul_mat_vec_qIN3c108BFloat16ELi256ELi32E10block_q4_KLi2EXadL_ZL17vec_dot_q4_K_q8_1PKvPK10block_q8_1RKiEEEvS4_S4_PT_iii,comdat
.Lfunc_end105:
	.size	_ZL13mul_mat_vec_qIN3c108BFloat16ELi256ELi32E10block_q4_KLi2EXadL_ZL17vec_dot_q4_K_q8_1PKvPK10block_q8_1RKiEEEvS4_S4_PT_iii, .Lfunc_end105-_ZL13mul_mat_vec_qIN3c108BFloat16ELi256ELi32E10block_q4_KLi2EXadL_ZL17vec_dot_q4_K_q8_1PKvPK10block_q8_1RKiEEEvS4_S4_PT_iii
                                        ; -- End function
	.set _ZL13mul_mat_vec_qIN3c108BFloat16ELi256ELi32E10block_q4_KLi2EXadL_ZL17vec_dot_q4_K_q8_1PKvPK10block_q8_1RKiEEEvS4_S4_PT_iii.num_vgpr, 28
	.set _ZL13mul_mat_vec_qIN3c108BFloat16ELi256ELi32E10block_q4_KLi2EXadL_ZL17vec_dot_q4_K_q8_1PKvPK10block_q8_1RKiEEEvS4_S4_PT_iii.num_agpr, 0
	.set _ZL13mul_mat_vec_qIN3c108BFloat16ELi256ELi32E10block_q4_KLi2EXadL_ZL17vec_dot_q4_K_q8_1PKvPK10block_q8_1RKiEEEvS4_S4_PT_iii.numbered_sgpr, 16
	.set _ZL13mul_mat_vec_qIN3c108BFloat16ELi256ELi32E10block_q4_KLi2EXadL_ZL17vec_dot_q4_K_q8_1PKvPK10block_q8_1RKiEEEvS4_S4_PT_iii.num_named_barrier, 0
	.set _ZL13mul_mat_vec_qIN3c108BFloat16ELi256ELi32E10block_q4_KLi2EXadL_ZL17vec_dot_q4_K_q8_1PKvPK10block_q8_1RKiEEEvS4_S4_PT_iii.private_seg_size, 0
	.set _ZL13mul_mat_vec_qIN3c108BFloat16ELi256ELi32E10block_q4_KLi2EXadL_ZL17vec_dot_q4_K_q8_1PKvPK10block_q8_1RKiEEEvS4_S4_PT_iii.uses_vcc, 1
	.set _ZL13mul_mat_vec_qIN3c108BFloat16ELi256ELi32E10block_q4_KLi2EXadL_ZL17vec_dot_q4_K_q8_1PKvPK10block_q8_1RKiEEEvS4_S4_PT_iii.uses_flat_scratch, 0
	.set _ZL13mul_mat_vec_qIN3c108BFloat16ELi256ELi32E10block_q4_KLi2EXadL_ZL17vec_dot_q4_K_q8_1PKvPK10block_q8_1RKiEEEvS4_S4_PT_iii.has_dyn_sized_stack, 0
	.set _ZL13mul_mat_vec_qIN3c108BFloat16ELi256ELi32E10block_q4_KLi2EXadL_ZL17vec_dot_q4_K_q8_1PKvPK10block_q8_1RKiEEEvS4_S4_PT_iii.has_recursion, 0
	.set _ZL13mul_mat_vec_qIN3c108BFloat16ELi256ELi32E10block_q4_KLi2EXadL_ZL17vec_dot_q4_K_q8_1PKvPK10block_q8_1RKiEEEvS4_S4_PT_iii.has_indirect_call, 0
	.section	.AMDGPU.csdata,"",@progbits
; Kernel info:
; codeLenInByte = 1188
; TotalNumSgprs: 20
; NumVgprs: 28
; ScratchSize: 0
; MemoryBound: 0
; FloatMode: 240
; IeeeMode: 1
; LDSByteSize: 0 bytes/workgroup (compile time only)
; SGPRBlocks: 2
; VGPRBlocks: 6
; NumSGPRsForWavesPerEU: 20
; NumVGPRsForWavesPerEU: 28
; Occupancy: 9
; WaveLimiterHint : 0
; COMPUTE_PGM_RSRC2:SCRATCH_EN: 0
; COMPUTE_PGM_RSRC2:USER_SGPR: 6
; COMPUTE_PGM_RSRC2:TRAP_HANDLER: 0
; COMPUTE_PGM_RSRC2:TGID_X_EN: 1
; COMPUTE_PGM_RSRC2:TGID_Y_EN: 1
; COMPUTE_PGM_RSRC2:TGID_Z_EN: 0
; COMPUTE_PGM_RSRC2:TIDIG_COMP_CNT: 1
	.section	.text._ZL13mul_mat_vec_qIN3c108BFloat16ELi256ELi32E10block_q5_KLi2EXadL_ZL17vec_dot_q5_K_q8_1PKvPK10block_q8_1RKiEEEvS4_S4_PT_iii,"axG",@progbits,_ZL13mul_mat_vec_qIN3c108BFloat16ELi256ELi32E10block_q5_KLi2EXadL_ZL17vec_dot_q5_K_q8_1PKvPK10block_q8_1RKiEEEvS4_S4_PT_iii,comdat
	.globl	_ZL13mul_mat_vec_qIN3c108BFloat16ELi256ELi32E10block_q5_KLi2EXadL_ZL17vec_dot_q5_K_q8_1PKvPK10block_q8_1RKiEEEvS4_S4_PT_iii ; -- Begin function _ZL13mul_mat_vec_qIN3c108BFloat16ELi256ELi32E10block_q5_KLi2EXadL_ZL17vec_dot_q5_K_q8_1PKvPK10block_q8_1RKiEEEvS4_S4_PT_iii
	.p2align	8
	.type	_ZL13mul_mat_vec_qIN3c108BFloat16ELi256ELi32E10block_q5_KLi2EXadL_ZL17vec_dot_q5_K_q8_1PKvPK10block_q8_1RKiEEEvS4_S4_PT_iii,@function
_ZL13mul_mat_vec_qIN3c108BFloat16ELi256ELi32E10block_q5_KLi2EXadL_ZL17vec_dot_q5_K_q8_1PKvPK10block_q8_1RKiEEEvS4_S4_PT_iii: ; @_ZL13mul_mat_vec_qIN3c108BFloat16ELi256ELi32E10block_q5_KLi2EXadL_ZL17vec_dot_q5_K_q8_1PKvPK10block_q8_1RKiEEEvS4_S4_PT_iii
; %bb.0:
	s_load_dword s0, s[4:5], 0x34
	s_load_dwordx4 s[8:11], s[4:5], 0x18
	s_waitcnt lgkmcnt(0)
	s_lshr_b32 s0, s0, 16
	s_mul_i32 s6, s6, s0
	v_add_u32_e32 v9, s6, v1
	s_cmp_lt_u32 s7, s10
	v_cmp_gt_u32_e32 vcc, s9, v9
	s_cselect_b64 s[0:1], -1, 0
	s_and_b64 s[0:1], s[0:1], vcc
	s_and_saveexec_b64 s[2:3], s[0:1]
	s_cbranch_execz .LBB106_11
; %bb.1:
	s_load_dwordx2 s[2:3], s[4:5], 0x10
	s_ashr_i32 s0, s8, 31
	s_lshr_b32 s0, s0, 24
	s_add_i32 s0, s8, s0
	s_ashr_i32 s6, s0, 8
	v_lshrrev_b32_e32 v11, 4, v0
	v_cmp_gt_u32_e32 vcc, s6, v11
	v_mov_b32_e32 v10, 0
	s_and_saveexec_b64 s[10:11], vcc
	s_cbranch_execz .LBB106_9
; %bb.2:
	s_load_dwordx4 s[12:15], s[4:5], 0x0
	s_add_i32 s0, s8, 0x1ff
	s_ashr_i32 s1, s0, 31
	s_lshr_b32 s1, s1, 23
	v_lshlrev_b32_e32 v1, 1, v0
	s_add_i32 s0, s0, s1
	v_bfe_u32 v5, v1, 3, 2
	s_ashr_i32 s0, s0, 9
	v_and_b32_e32 v2, 30, v1
	v_lshlrev_b32_e32 v15, 1, v5
	s_mul_i32 s4, s7, s0
	v_mul_lo_u32 v12, v9, s6
	v_cmp_lt_u32_e32 vcc, 15, v2
	s_waitcnt lgkmcnt(0)
	v_mad_u64_u32 v[1:2], s[0:1], v15, 36, s[14:15]
	v_lshlrev_b32_e32 v3, 3, v11
	v_and_b32_e32 v6, 3, v0
	v_lshl_add_u32 v16, s4, 4, v3
	v_mov_b32_e32 v3, s12
	v_lshlrev_b32_e32 v13, 5, v5
	v_mov_b32_e32 v10, 0
	v_lshlrev_b32_e32 v14, 2, v6
	s_mov_b64 s[4:5], 0
	s_movk_i32 s8, 0xb0
	v_mov_b32_e32 v4, s13
	v_lshlrev_b32_e32 v17, 1, v5
	s_mov_b32 s12, 0x5040100
	s_mov_b32 s13, 0x20004
	;; [unrolled: 1-line block ×3, first 2 shown]
	v_lshlrev_b32_e32 v18, 2, v6
	s_mov_b32 s15, 0x10101010
	s_mov_b32 s16, 0x1010101
	s_branch .LBB106_4
.LBB106_3:                              ;   in Loop: Header=BB106_4 Depth=1
	s_or_b64 exec, exec, s[0:1]
	v_mad_i64_i32 v[24:25], s[0:1], v16, 36, v[1:2]
	s_waitcnt vmcnt(1)
	v_ashrrev_i32_e32 v22, v15, v22
	v_add_u32_e32 v11, 4, v11
	v_add_co_u32_e64 v26, s[0:1], v24, v18
	v_addc_co_u32_e64 v27, s[0:1], 0, v25, s[0:1]
	global_load_dword v8, v[26:27], off offset:20
	global_load_dword v28, v[26:27], off offset:4
	global_load_dword v7, v[5:6], off
	global_load_dword v29, v[26:27], off offset:56
	global_load_dword v30, v[26:27], off offset:40
	global_load_dword v31, v[24:25], off
                                        ; kill: killed $vgpr5 killed $vgpr6
                                        ; kill: killed $vgpr26 killed $vgpr27
	s_nop 0
	global_load_dword v5, v[24:25], off offset:36
	s_waitcnt vmcnt(7)
	v_ashrrev_i32_e32 v6, v15, v23
	v_and_b32_e32 v23, 0xf0f0f0f, v21
	v_lshlrev_b32_e32 v24, 4, v22
	v_and_or_b32 v23, v24, s15, v23
	v_and_b32_e32 v24, 0xf0f0f0f, v19
	v_lshlrev_b32_e32 v25, 4, v6
	v_lshrrev_b32_e32 v19, 4, v19
	v_and_or_b32 v24, v25, s15, v24
	v_lshrrev_b32_e32 v21, 4, v21
	v_and_b32_e32 v19, 0xf0f0f0f, v19
	v_lshlrev_b32_e32 v6, 3, v6
	v_and_b32_e32 v21, 0xf0f0f0f, v21
	v_lshlrev_b32_e32 v22, 3, v22
	v_and_or_b32 v6, v6, s15, v19
	v_and_or_b32 v21, v22, s15, v21
	v_lshrrev_b16_e32 v22, 8, v20
	v_lshrrev_b32_e32 v19, 24, v20
	v_cmp_le_u32_e64 s[0:1], s6, v11
	s_or_b64 s[4:5], s[0:1], s[4:5]
	v_add_u32_e32 v16, 32, v16
	s_waitcnt vmcnt(6)
	v_dot4_i32_i8 v24, v24, v8, 0
	v_dot4_i32_i8 v8, s16, v8, 0
	s_waitcnt vmcnt(5)
	v_dot4_i32_i8 v23, v23, v28, v24
	v_and_b32_e32 v24, 0xff, v20
	v_bfe_u32 v20, v20, 16, 8
	v_dot4_i32_i8 v8, s16, v28, v8
	s_waitcnt vmcnt(3)
	v_dot4_i32_i8 v6, v6, v29, 0
	v_dot4_i32_i8 v26, s16, v29, 0
	s_waitcnt vmcnt(2)
	v_dot4_i32_i8 v6, v21, v30, v6
	v_dot4_i32_i8 v21, s16, v30, v26
	v_mul_lo_u32 v20, v23, v20
	v_mul_lo_u32 v8, v8, v24
	;; [unrolled: 1-line block ×4, first 2 shown]
	v_cvt_f32_i32_e32 v20, v20
	v_cvt_f32_i32_e32 v8, v8
	;; [unrolled: 1-line block ×4, first 2 shown]
	v_cvt_f32_f16_sdwa v25, v7 dst_sel:DWORD dst_unused:UNUSED_PAD src0_sel:WORD_1
	s_waitcnt vmcnt(1)
	v_fma_mix_f32 v20, v31, v20, 0 op_sel_hi:[1,0,0]
	v_fma_mix_f32 v8, v31, v8, 0 op_sel_hi:[1,0,0]
	s_waitcnt vmcnt(0)
	v_fma_mix_f32 v6, v5, v6, v20 op_sel_hi:[1,0,0]
	v_fma_mix_f32 v5, v5, v19, v8 op_sel_hi:[1,0,0]
	v_mul_f32_e32 v5, v5, v25
	v_fma_mix_f32 v5, v6, v7, -v5 op_sel_hi:[0,1,0]
	v_add_f32_e32 v10, v10, v5
	s_andn2_b64 exec, exec, s[4:5]
	s_cbranch_execz .LBB106_8
.LBB106_4:                              ; =>This Inner Loop Header: Depth=1
	v_add_u32_e32 v5, v12, v11
	v_mad_i64_i32 v[5:6], s[0:1], v5, s8, v[3:4]
                                        ; implicit-def: $vgpr20
	v_add_co_u32_e64 v7, s[0:1], v5, v13
	v_addc_co_u32_e64 v8, s[0:1], 0, v6, s[0:1]
	v_add_co_u32_e64 v7, s[0:1], v7, v14
	v_addc_co_u32_e64 v8, s[0:1], 0, v8, s[0:1]
	;; [unrolled: 2-line block ×3, first 2 shown]
	global_load_dword v21, v[7:8], off offset:48
	global_load_dword v19, v[7:8], off offset:64
	;; [unrolled: 1-line block ×4, first 2 shown]
	v_add_co_u32_e64 v7, s[0:1], v5, v17
	v_addc_co_u32_e64 v8, s[0:1], 0, v6, s[0:1]
	s_and_saveexec_b64 s[0:1], vcc
	s_xor_b64 s[0:1], exec, s[0:1]
	s_cbranch_execz .LBB106_6
; %bb.5:                                ;   in Loop: Header=BB106_4 Depth=1
	global_load_ushort v20, v[7:8], off
	global_load_ushort v24, v[7:8], off offset:8
	global_load_ushort v25, v[7:8], off offset:4
	s_waitcnt vmcnt(1)
	v_perm_b32 v7, v20, v24, s12
	s_waitcnt vmcnt(0)
	v_perm_b32 v8, v24, v25, s12
	v_pk_lshrrev_b16 v8, 2, v8
	v_pk_lshrrev_b16 v7, s13, v7
	v_and_b32_e32 v8, 0xf0f3030, v8
	v_and_or_b32 v20, v7, s14, v8
                                        ; implicit-def: $vgpr7_vgpr8
.LBB106_6:                              ;   in Loop: Header=BB106_4 Depth=1
	s_andn2_saveexec_b64 s[0:1], s[0:1]
	s_cbranch_execz .LBB106_3
; %bb.7:                                ;   in Loop: Header=BB106_4 Depth=1
	global_load_ushort v20, v[7:8], off offset:4
	global_load_ushort v24, v[7:8], off offset:8
	s_waitcnt vmcnt(0)
	v_perm_b32 v7, v20, v24, s12
	v_and_b32_e32 v20, 0x3f3f3f3f, v7
	s_branch .LBB106_3
.LBB106_8:
	s_or_b64 exec, exec, s[4:5]
.LBB106_9:
	s_or_b64 exec, exec, s[10:11]
	v_mbcnt_lo_u32_b32 v1, -1, 0
	v_mbcnt_hi_u32_b32 v2, -1, v1
	v_and_b32_e32 v1, 64, v2
	v_add_u32_e32 v3, 64, v1
	v_xor_b32_e32 v1, 32, v2
	v_cmp_lt_i32_e32 vcc, v1, v3
	v_cndmask_b32_e32 v1, v2, v1, vcc
	v_lshlrev_b32_e32 v1, 2, v1
	ds_bpermute_b32 v1, v1, v10
	v_xor_b32_e32 v4, 16, v2
	v_cmp_lt_i32_e32 vcc, v4, v3
	v_cndmask_b32_e32 v4, v2, v4, vcc
	v_lshlrev_b32_e32 v4, 2, v4
	s_waitcnt lgkmcnt(0)
	v_add_f32_e32 v1, v10, v1
	ds_bpermute_b32 v4, v4, v1
	v_xor_b32_e32 v5, 8, v2
	v_cmp_lt_i32_e32 vcc, v5, v3
	s_waitcnt lgkmcnt(0)
	v_add_f32_e32 v1, v1, v4
	v_cndmask_b32_e32 v4, v2, v5, vcc
	v_lshlrev_b32_e32 v4, 2, v4
	ds_bpermute_b32 v4, v4, v1
	v_xor_b32_e32 v5, 4, v2
	v_cmp_lt_i32_e32 vcc, v5, v3
	s_waitcnt lgkmcnt(0)
	v_add_f32_e32 v1, v1, v4
	v_cndmask_b32_e32 v4, v2, v5, vcc
	v_lshlrev_b32_e32 v4, 2, v4
	;; [unrolled: 7-line block ×3, first 2 shown]
	ds_bpermute_b32 v4, v4, v1
	v_xor_b32_e32 v5, 1, v2
	v_cmp_lt_i32_e32 vcc, v5, v3
	v_cndmask_b32_e32 v2, v2, v5, vcc
	v_lshlrev_b32_e32 v2, 2, v2
	s_waitcnt lgkmcnt(0)
	v_add_f32_e32 v1, v1, v4
	ds_bpermute_b32 v2, v2, v1
	v_cmp_eq_u32_e32 vcc, 0, v0
	s_and_b64 exec, exec, vcc
	s_cbranch_execz .LBB106_11
; %bb.10:
	s_waitcnt lgkmcnt(0)
	v_add_f32_e32 v0, v1, v2
	v_bfe_u32 v1, v0, 16, 1
	s_movk_i32 s0, 0x7fff
	v_add3_u32 v1, v0, v1, s0
	v_cmp_o_f32_e32 vcc, v0, v0
	v_mov_b32_e32 v0, 0x7fc0
	s_mul_i32 s0, s9, s7
	v_cndmask_b32_sdwa v2, v0, v1, vcc dst_sel:DWORD dst_unused:UNUSED_PAD src0_sel:DWORD src1_sel:WORD_1
	v_add_u32_e32 v0, s0, v9
	v_mov_b32_e32 v1, 0
	v_lshlrev_b64 v[0:1], 1, v[0:1]
	v_mov_b32_e32 v3, s3
	v_add_co_u32_e32 v0, vcc, s2, v0
	v_addc_co_u32_e32 v1, vcc, v3, v1, vcc
	global_store_short v[0:1], v2, off
.LBB106_11:
	s_endpgm
	.section	.rodata,"a",@progbits
	.p2align	6, 0x0
	.amdhsa_kernel _ZL13mul_mat_vec_qIN3c108BFloat16ELi256ELi32E10block_q5_KLi2EXadL_ZL17vec_dot_q5_K_q8_1PKvPK10block_q8_1RKiEEEvS4_S4_PT_iii
		.amdhsa_group_segment_fixed_size 0
		.amdhsa_private_segment_fixed_size 0
		.amdhsa_kernarg_size 296
		.amdhsa_user_sgpr_count 6
		.amdhsa_user_sgpr_private_segment_buffer 1
		.amdhsa_user_sgpr_dispatch_ptr 0
		.amdhsa_user_sgpr_queue_ptr 0
		.amdhsa_user_sgpr_kernarg_segment_ptr 1
		.amdhsa_user_sgpr_dispatch_id 0
		.amdhsa_user_sgpr_flat_scratch_init 0
		.amdhsa_user_sgpr_private_segment_size 0
		.amdhsa_uses_dynamic_stack 0
		.amdhsa_system_sgpr_private_segment_wavefront_offset 0
		.amdhsa_system_sgpr_workgroup_id_x 1
		.amdhsa_system_sgpr_workgroup_id_y 1
		.amdhsa_system_sgpr_workgroup_id_z 0
		.amdhsa_system_sgpr_workgroup_info 0
		.amdhsa_system_vgpr_workitem_id 1
		.amdhsa_next_free_vgpr 32
		.amdhsa_next_free_sgpr 17
		.amdhsa_reserve_vcc 1
		.amdhsa_reserve_flat_scratch 0
		.amdhsa_float_round_mode_32 0
		.amdhsa_float_round_mode_16_64 0
		.amdhsa_float_denorm_mode_32 3
		.amdhsa_float_denorm_mode_16_64 3
		.amdhsa_dx10_clamp 1
		.amdhsa_ieee_mode 1
		.amdhsa_fp16_overflow 0
		.amdhsa_exception_fp_ieee_invalid_op 0
		.amdhsa_exception_fp_denorm_src 0
		.amdhsa_exception_fp_ieee_div_zero 0
		.amdhsa_exception_fp_ieee_overflow 0
		.amdhsa_exception_fp_ieee_underflow 0
		.amdhsa_exception_fp_ieee_inexact 0
		.amdhsa_exception_int_div_zero 0
	.end_amdhsa_kernel
	.section	.text._ZL13mul_mat_vec_qIN3c108BFloat16ELi256ELi32E10block_q5_KLi2EXadL_ZL17vec_dot_q5_K_q8_1PKvPK10block_q8_1RKiEEEvS4_S4_PT_iii,"axG",@progbits,_ZL13mul_mat_vec_qIN3c108BFloat16ELi256ELi32E10block_q5_KLi2EXadL_ZL17vec_dot_q5_K_q8_1PKvPK10block_q8_1RKiEEEvS4_S4_PT_iii,comdat
.Lfunc_end106:
	.size	_ZL13mul_mat_vec_qIN3c108BFloat16ELi256ELi32E10block_q5_KLi2EXadL_ZL17vec_dot_q5_K_q8_1PKvPK10block_q8_1RKiEEEvS4_S4_PT_iii, .Lfunc_end106-_ZL13mul_mat_vec_qIN3c108BFloat16ELi256ELi32E10block_q5_KLi2EXadL_ZL17vec_dot_q5_K_q8_1PKvPK10block_q8_1RKiEEEvS4_S4_PT_iii
                                        ; -- End function
	.set _ZL13mul_mat_vec_qIN3c108BFloat16ELi256ELi32E10block_q5_KLi2EXadL_ZL17vec_dot_q5_K_q8_1PKvPK10block_q8_1RKiEEEvS4_S4_PT_iii.num_vgpr, 32
	.set _ZL13mul_mat_vec_qIN3c108BFloat16ELi256ELi32E10block_q5_KLi2EXadL_ZL17vec_dot_q5_K_q8_1PKvPK10block_q8_1RKiEEEvS4_S4_PT_iii.num_agpr, 0
	.set _ZL13mul_mat_vec_qIN3c108BFloat16ELi256ELi32E10block_q5_KLi2EXadL_ZL17vec_dot_q5_K_q8_1PKvPK10block_q8_1RKiEEEvS4_S4_PT_iii.numbered_sgpr, 17
	.set _ZL13mul_mat_vec_qIN3c108BFloat16ELi256ELi32E10block_q5_KLi2EXadL_ZL17vec_dot_q5_K_q8_1PKvPK10block_q8_1RKiEEEvS4_S4_PT_iii.num_named_barrier, 0
	.set _ZL13mul_mat_vec_qIN3c108BFloat16ELi256ELi32E10block_q5_KLi2EXadL_ZL17vec_dot_q5_K_q8_1PKvPK10block_q8_1RKiEEEvS4_S4_PT_iii.private_seg_size, 0
	.set _ZL13mul_mat_vec_qIN3c108BFloat16ELi256ELi32E10block_q5_KLi2EXadL_ZL17vec_dot_q5_K_q8_1PKvPK10block_q8_1RKiEEEvS4_S4_PT_iii.uses_vcc, 1
	.set _ZL13mul_mat_vec_qIN3c108BFloat16ELi256ELi32E10block_q5_KLi2EXadL_ZL17vec_dot_q5_K_q8_1PKvPK10block_q8_1RKiEEEvS4_S4_PT_iii.uses_flat_scratch, 0
	.set _ZL13mul_mat_vec_qIN3c108BFloat16ELi256ELi32E10block_q5_KLi2EXadL_ZL17vec_dot_q5_K_q8_1PKvPK10block_q8_1RKiEEEvS4_S4_PT_iii.has_dyn_sized_stack, 0
	.set _ZL13mul_mat_vec_qIN3c108BFloat16ELi256ELi32E10block_q5_KLi2EXadL_ZL17vec_dot_q5_K_q8_1PKvPK10block_q8_1RKiEEEvS4_S4_PT_iii.has_recursion, 0
	.set _ZL13mul_mat_vec_qIN3c108BFloat16ELi256ELi32E10block_q5_KLi2EXadL_ZL17vec_dot_q5_K_q8_1PKvPK10block_q8_1RKiEEEvS4_S4_PT_iii.has_indirect_call, 0
	.section	.AMDGPU.csdata,"",@progbits
; Kernel info:
; codeLenInByte = 1280
; TotalNumSgprs: 21
; NumVgprs: 32
; ScratchSize: 0
; MemoryBound: 0
; FloatMode: 240
; IeeeMode: 1
; LDSByteSize: 0 bytes/workgroup (compile time only)
; SGPRBlocks: 2
; VGPRBlocks: 7
; NumSGPRsForWavesPerEU: 21
; NumVGPRsForWavesPerEU: 32
; Occupancy: 8
; WaveLimiterHint : 0
; COMPUTE_PGM_RSRC2:SCRATCH_EN: 0
; COMPUTE_PGM_RSRC2:USER_SGPR: 6
; COMPUTE_PGM_RSRC2:TRAP_HANDLER: 0
; COMPUTE_PGM_RSRC2:TGID_X_EN: 1
; COMPUTE_PGM_RSRC2:TGID_Y_EN: 1
; COMPUTE_PGM_RSRC2:TGID_Z_EN: 0
; COMPUTE_PGM_RSRC2:TIDIG_COMP_CNT: 1
	.section	.text._ZL13mul_mat_vec_qIN3c108BFloat16ELi256ELi32E10block_q6_KLi1EXadL_ZL17vec_dot_q6_K_q8_1PKvPK10block_q8_1RKiEEEvS4_S4_PT_iii,"axG",@progbits,_ZL13mul_mat_vec_qIN3c108BFloat16ELi256ELi32E10block_q6_KLi1EXadL_ZL17vec_dot_q6_K_q8_1PKvPK10block_q8_1RKiEEEvS4_S4_PT_iii,comdat
	.globl	_ZL13mul_mat_vec_qIN3c108BFloat16ELi256ELi32E10block_q6_KLi1EXadL_ZL17vec_dot_q6_K_q8_1PKvPK10block_q8_1RKiEEEvS4_S4_PT_iii ; -- Begin function _ZL13mul_mat_vec_qIN3c108BFloat16ELi256ELi32E10block_q6_KLi1EXadL_ZL17vec_dot_q6_K_q8_1PKvPK10block_q8_1RKiEEEvS4_S4_PT_iii
	.p2align	8
	.type	_ZL13mul_mat_vec_qIN3c108BFloat16ELi256ELi32E10block_q6_KLi1EXadL_ZL17vec_dot_q6_K_q8_1PKvPK10block_q8_1RKiEEEvS4_S4_PT_iii,@function
_ZL13mul_mat_vec_qIN3c108BFloat16ELi256ELi32E10block_q6_KLi1EXadL_ZL17vec_dot_q6_K_q8_1PKvPK10block_q8_1RKiEEEvS4_S4_PT_iii: ; @_ZL13mul_mat_vec_qIN3c108BFloat16ELi256ELi32E10block_q6_KLi1EXadL_ZL17vec_dot_q6_K_q8_1PKvPK10block_q8_1RKiEEEvS4_S4_PT_iii
; %bb.0:
	s_load_dword s0, s[4:5], 0x34
	s_load_dwordx4 s[8:11], s[4:5], 0x18
	s_waitcnt lgkmcnt(0)
	s_lshr_b32 s0, s0, 16
	s_mul_i32 s6, s6, s0
	v_add_u32_e32 v5, s6, v1
	s_cmp_lt_u32 s7, s10
	v_cmp_gt_u32_e32 vcc, s9, v5
	s_cselect_b64 s[0:1], -1, 0
	s_and_b64 s[0:1], s[0:1], vcc
	s_and_saveexec_b64 s[2:3], s[0:1]
	s_cbranch_execz .LBB107_7
; %bb.1:
	s_load_dwordx2 s[2:3], s[4:5], 0x10
	s_ashr_i32 s0, s8, 31
	s_lshr_b32 s0, s0, 24
	s_add_i32 s0, s8, s0
	s_ashr_i32 s6, s0, 8
	v_lshrrev_b32_e32 v7, 5, v0
	v_cmp_gt_u32_e32 vcc, s6, v7
	v_mov_b32_e32 v6, 0
	s_and_saveexec_b64 s[10:11], vcc
	s_cbranch_execz .LBB107_5
; %bb.2:
	s_load_dwordx4 s[12:15], s[4:5], 0x0
	s_add_i32 s0, s8, 0x1ff
	v_and_b32_e32 v1, 31, v0
	s_ashr_i32 s1, s0, 31
	v_add_u32_e32 v2, 0xf0, v1
	v_cmp_gt_u32_e32 vcc, 16, v1
	s_lshr_b32 s1, s1, 23
	v_cndmask_b32_e32 v3, v2, v1, vcc
	v_cmp_lt_u32_e32 vcc, 15, v1
	s_add_i32 s0, s0, s1
	v_lshlrev_b32_e32 v9, 2, v1
	v_cndmask_b32_e64 v13, 0, 8, vcc
	v_and_b32_e32 v1, 7, v0
	s_ashr_i32 s0, s0, 9
	v_or_b32_e32 v2, v13, v1
	v_lshlrev_b32_e32 v11, 2, v1
	v_cndmask_b32_e64 v1, 0, 4, vcc
	s_mul_i32 s4, s7, s0
	v_lshlrev_b32_e32 v10, 2, v2
	s_waitcnt lgkmcnt(0)
	v_mad_u64_u32 v[1:2], s[0:1], v1, 36, s[14:15]
	v_and_b32_e32 v4, 0xf8, v3
	v_cmp_ne_u32_e32 vcc, 0, v4
	v_cndmask_b32_e64 v4, 0, 1, vcc
	v_mul_lo_u32 v8, v5, s6
	v_mad_u64_u32 v[1:2], s[0:1], v4, 36, v[1:2]
	v_bfe_u32 v3, v3, 2, 6
	v_add_u32_e32 v13, v3, v13
	v_lshlrev_b32_e32 v3, 3, v7
	v_lshl_add_u32 v14, s4, 4, v3
	v_mov_b32_e32 v3, s12
	v_mov_b32_e32 v6, 0
	v_cndmask_b32_e64 v12, 0, 2, vcc
	s_mov_b64 s[4:5], 0
	s_movk_i32 s8, 0xd2
	v_mov_b32_e32 v4, s13
	s_mov_b32 s12, 0x30303030
	s_movk_i32 s13, 0x3f00
	s_movk_i32 s14, 0xe000
	v_mov_b32_e32 v15, 8
.LBB107_3:                              ; =>This Inner Loop Header: Depth=1
	v_add_u32_e32 v18, v8, v7
	v_mad_i64_i32 v[18:19], s[0:1], v18, s8, v[3:4]
	v_mad_i64_i32 v[16:17], s[0:1], v14, 36, v[1:2]
	v_add_co_u32_e64 v21, s[0:1], v18, v9
	v_addc_co_u32_e64 v22, s[0:1], 0, v19, s[0:1]
	v_add_co_u32_e64 v23, s[0:1], v18, v10
	v_addc_co_u32_e64 v24, s[0:1], 0, v19, s[0:1]
	global_load_dword v25, v[23:24], off offset:128
	global_load_dword v26, v[21:22], off
	v_add_co_u32_e32 v20, vcc, v16, v11
	v_addc_co_u32_e32 v21, vcc, 0, v17, vcc
	global_load_dword v22, v[20:21], off offset:4
	global_load_dword v23, v[20:21], off offset:76
	v_add_co_u32_e32 v20, vcc, v18, v13
	v_addc_co_u32_e32 v21, vcc, 0, v19, vcc
	global_load_sbyte v24, v[20:21], off offset:192
	global_load_sbyte v27, v[20:21], off offset:196
	global_load_dword v28, v[16:17], off
	global_load_dword v29, v[16:17], off offset:72
	global_load_ushort v30, v[18:19], off offset:208
	v_add_u32_e32 v7, 2, v7
	v_cmp_le_u32_e32 vcc, s6, v7
	v_add_u32_e32 v14, 16, v14
	s_or_b64 s[4:5], vcc, s[4:5]
	s_waitcnt vmcnt(8)
	v_ashrrev_i32_e32 v16, v12, v25
	s_waitcnt vmcnt(7)
	v_and_b32_e32 v17, 0xf0f0f0f, v26
	v_lshrrev_b32_e32 v18, 4, v26
	v_lshlrev_b32_e32 v19, 4, v16
	v_and_b32_e32 v18, 0xf0f0f0f, v18
	v_and_or_b32 v17, v19, s12, v17
	v_and_or_b32 v16, v16, s12, v18
	v_lshlrev_b16_e32 v18, 8, v17
	v_and_b32_e32 v19, 0x3f00, v17
	v_and_b32_sdwa v20, v17, s13 dst_sel:DWORD dst_unused:UNUSED_PAD src0_sel:WORD_1 src1_sel:DWORD
	v_lshlrev_b16_sdwa v17, v15, v17 dst_sel:DWORD dst_unused:UNUSED_PAD src0_sel:DWORD src1_sel:WORD_1
	v_add_u16_e32 v18, 0xe000, v18
	v_lshlrev_b16_e32 v21, 8, v16
	v_and_b32_e32 v25, 0x3f00, v16
	v_or_b32_sdwa v18, v19, v18 dst_sel:DWORD dst_unused:UNUSED_PAD src0_sel:DWORD src1_sel:BYTE_1
	v_and_b32_sdwa v19, v16, s13 dst_sel:DWORD dst_unused:UNUSED_PAD src0_sel:WORD_1 src1_sel:DWORD
	v_lshlrev_b16_sdwa v16, v15, v16 dst_sel:DWORD dst_unused:UNUSED_PAD src0_sel:DWORD src1_sel:WORD_1
	v_add_u16_e32 v17, 0xe000, v17
	v_add_u16_e32 v21, 0xe000, v21
	;; [unrolled: 1-line block ×3, first 2 shown]
	v_or_b32_sdwa v17, v20, v17 dst_sel:DWORD dst_unused:UNUSED_PAD src0_sel:DWORD src1_sel:BYTE_1
	v_or_b32_sdwa v20, v25, v21 dst_sel:DWORD dst_unused:UNUSED_PAD src0_sel:DWORD src1_sel:BYTE_1
	;; [unrolled: 1-line block ×3, first 2 shown]
	v_add_u16_e32 v18, 0xe000, v18
	v_add_u16_sdwa v17, v17, s14 dst_sel:WORD_1 dst_unused:UNUSED_PAD src0_sel:DWORD src1_sel:DWORD
	v_add_u16_e32 v19, 0xe000, v20
	v_add_u16_sdwa v16, v16, s14 dst_sel:WORD_1 dst_unused:UNUSED_PAD src0_sel:DWORD src1_sel:DWORD
	v_or_b32_e32 v17, v18, v17
	v_or_b32_e32 v16, v19, v16
	s_waitcnt vmcnt(6)
	v_dot4_i32_i8 v17, v17, v22, 0
	s_waitcnt vmcnt(5)
	v_dot4_i32_i8 v16, v16, v23, 0
	s_waitcnt vmcnt(4)
	v_mul_lo_u32 v17, v17, v24
	s_waitcnt vmcnt(3)
	v_mul_lo_u32 v16, v16, v27
	v_cvt_f32_i32_e32 v17, v17
	v_cvt_f32_i32_e32 v16, v16
	s_waitcnt vmcnt(2)
	v_fma_mix_f32 v17, v28, v17, 0 op_sel_hi:[1,0,0]
	s_waitcnt vmcnt(1)
	v_fma_mix_f32 v16, v29, v16, v17 op_sel_hi:[1,0,0]
	;; [unrolled: 2-line block ×3, first 2 shown]
	s_andn2_b64 exec, exec, s[4:5]
	s_cbranch_execnz .LBB107_3
; %bb.4:
	s_or_b64 exec, exec, s[4:5]
.LBB107_5:
	s_or_b64 exec, exec, s[10:11]
	v_mbcnt_lo_u32_b32 v1, -1, 0
	v_mbcnt_hi_u32_b32 v2, -1, v1
	v_and_b32_e32 v1, 64, v2
	v_add_u32_e32 v3, 64, v1
	v_xor_b32_e32 v1, 32, v2
	v_cmp_lt_i32_e32 vcc, v1, v3
	v_cndmask_b32_e32 v1, v2, v1, vcc
	v_lshlrev_b32_e32 v1, 2, v1
	ds_bpermute_b32 v1, v1, v6
	v_xor_b32_e32 v4, 16, v2
	v_cmp_lt_i32_e32 vcc, v4, v3
	v_cndmask_b32_e32 v4, v2, v4, vcc
	v_lshlrev_b32_e32 v4, 2, v4
	s_waitcnt lgkmcnt(0)
	v_add_f32_e32 v1, v6, v1
	ds_bpermute_b32 v4, v4, v1
	v_xor_b32_e32 v6, 8, v2
	v_cmp_lt_i32_e32 vcc, v6, v3
	s_waitcnt lgkmcnt(0)
	v_add_f32_e32 v1, v1, v4
	v_cndmask_b32_e32 v4, v2, v6, vcc
	v_lshlrev_b32_e32 v4, 2, v4
	ds_bpermute_b32 v4, v4, v1
	v_xor_b32_e32 v6, 4, v2
	v_cmp_lt_i32_e32 vcc, v6, v3
	s_waitcnt lgkmcnt(0)
	v_add_f32_e32 v1, v1, v4
	v_cndmask_b32_e32 v4, v2, v6, vcc
	v_lshlrev_b32_e32 v4, 2, v4
	;; [unrolled: 7-line block ×3, first 2 shown]
	ds_bpermute_b32 v4, v4, v1
	v_xor_b32_e32 v6, 1, v2
	v_cmp_lt_i32_e32 vcc, v6, v3
	v_cndmask_b32_e32 v2, v2, v6, vcc
	v_lshlrev_b32_e32 v2, 2, v2
	s_waitcnt lgkmcnt(0)
	v_add_f32_e32 v1, v1, v4
	ds_bpermute_b32 v2, v2, v1
	v_cmp_eq_u32_e32 vcc, 0, v0
	s_and_b64 exec, exec, vcc
	s_cbranch_execz .LBB107_7
; %bb.6:
	s_waitcnt lgkmcnt(0)
	v_add_f32_e32 v0, v1, v2
	v_bfe_u32 v1, v0, 16, 1
	s_movk_i32 s0, 0x7fff
	v_add3_u32 v1, v0, v1, s0
	v_cmp_o_f32_e32 vcc, v0, v0
	v_mov_b32_e32 v0, 0x7fc0
	s_mul_i32 s0, s9, s7
	v_cndmask_b32_sdwa v2, v0, v1, vcc dst_sel:DWORD dst_unused:UNUSED_PAD src0_sel:DWORD src1_sel:WORD_1
	v_add_u32_e32 v0, s0, v5
	v_mov_b32_e32 v1, 0
	v_lshlrev_b64 v[0:1], 1, v[0:1]
	v_mov_b32_e32 v3, s3
	v_add_co_u32_e32 v0, vcc, s2, v0
	v_addc_co_u32_e32 v1, vcc, v3, v1, vcc
	global_store_short v[0:1], v2, off
.LBB107_7:
	s_endpgm
	.section	.rodata,"a",@progbits
	.p2align	6, 0x0
	.amdhsa_kernel _ZL13mul_mat_vec_qIN3c108BFloat16ELi256ELi32E10block_q6_KLi1EXadL_ZL17vec_dot_q6_K_q8_1PKvPK10block_q8_1RKiEEEvS4_S4_PT_iii
		.amdhsa_group_segment_fixed_size 0
		.amdhsa_private_segment_fixed_size 0
		.amdhsa_kernarg_size 296
		.amdhsa_user_sgpr_count 6
		.amdhsa_user_sgpr_private_segment_buffer 1
		.amdhsa_user_sgpr_dispatch_ptr 0
		.amdhsa_user_sgpr_queue_ptr 0
		.amdhsa_user_sgpr_kernarg_segment_ptr 1
		.amdhsa_user_sgpr_dispatch_id 0
		.amdhsa_user_sgpr_flat_scratch_init 0
		.amdhsa_user_sgpr_private_segment_size 0
		.amdhsa_uses_dynamic_stack 0
		.amdhsa_system_sgpr_private_segment_wavefront_offset 0
		.amdhsa_system_sgpr_workgroup_id_x 1
		.amdhsa_system_sgpr_workgroup_id_y 1
		.amdhsa_system_sgpr_workgroup_id_z 0
		.amdhsa_system_sgpr_workgroup_info 0
		.amdhsa_system_vgpr_workitem_id 1
		.amdhsa_next_free_vgpr 31
		.amdhsa_next_free_sgpr 16
		.amdhsa_reserve_vcc 1
		.amdhsa_reserve_flat_scratch 0
		.amdhsa_float_round_mode_32 0
		.amdhsa_float_round_mode_16_64 0
		.amdhsa_float_denorm_mode_32 3
		.amdhsa_float_denorm_mode_16_64 3
		.amdhsa_dx10_clamp 1
		.amdhsa_ieee_mode 1
		.amdhsa_fp16_overflow 0
		.amdhsa_exception_fp_ieee_invalid_op 0
		.amdhsa_exception_fp_denorm_src 0
		.amdhsa_exception_fp_ieee_div_zero 0
		.amdhsa_exception_fp_ieee_overflow 0
		.amdhsa_exception_fp_ieee_underflow 0
		.amdhsa_exception_fp_ieee_inexact 0
		.amdhsa_exception_int_div_zero 0
	.end_amdhsa_kernel
	.section	.text._ZL13mul_mat_vec_qIN3c108BFloat16ELi256ELi32E10block_q6_KLi1EXadL_ZL17vec_dot_q6_K_q8_1PKvPK10block_q8_1RKiEEEvS4_S4_PT_iii,"axG",@progbits,_ZL13mul_mat_vec_qIN3c108BFloat16ELi256ELi32E10block_q6_KLi1EXadL_ZL17vec_dot_q6_K_q8_1PKvPK10block_q8_1RKiEEEvS4_S4_PT_iii,comdat
.Lfunc_end107:
	.size	_ZL13mul_mat_vec_qIN3c108BFloat16ELi256ELi32E10block_q6_KLi1EXadL_ZL17vec_dot_q6_K_q8_1PKvPK10block_q8_1RKiEEEvS4_S4_PT_iii, .Lfunc_end107-_ZL13mul_mat_vec_qIN3c108BFloat16ELi256ELi32E10block_q6_KLi1EXadL_ZL17vec_dot_q6_K_q8_1PKvPK10block_q8_1RKiEEEvS4_S4_PT_iii
                                        ; -- End function
	.set _ZL13mul_mat_vec_qIN3c108BFloat16ELi256ELi32E10block_q6_KLi1EXadL_ZL17vec_dot_q6_K_q8_1PKvPK10block_q8_1RKiEEEvS4_S4_PT_iii.num_vgpr, 31
	.set _ZL13mul_mat_vec_qIN3c108BFloat16ELi256ELi32E10block_q6_KLi1EXadL_ZL17vec_dot_q6_K_q8_1PKvPK10block_q8_1RKiEEEvS4_S4_PT_iii.num_agpr, 0
	.set _ZL13mul_mat_vec_qIN3c108BFloat16ELi256ELi32E10block_q6_KLi1EXadL_ZL17vec_dot_q6_K_q8_1PKvPK10block_q8_1RKiEEEvS4_S4_PT_iii.numbered_sgpr, 16
	.set _ZL13mul_mat_vec_qIN3c108BFloat16ELi256ELi32E10block_q6_KLi1EXadL_ZL17vec_dot_q6_K_q8_1PKvPK10block_q8_1RKiEEEvS4_S4_PT_iii.num_named_barrier, 0
	.set _ZL13mul_mat_vec_qIN3c108BFloat16ELi256ELi32E10block_q6_KLi1EXadL_ZL17vec_dot_q6_K_q8_1PKvPK10block_q8_1RKiEEEvS4_S4_PT_iii.private_seg_size, 0
	.set _ZL13mul_mat_vec_qIN3c108BFloat16ELi256ELi32E10block_q6_KLi1EXadL_ZL17vec_dot_q6_K_q8_1PKvPK10block_q8_1RKiEEEvS4_S4_PT_iii.uses_vcc, 1
	.set _ZL13mul_mat_vec_qIN3c108BFloat16ELi256ELi32E10block_q6_KLi1EXadL_ZL17vec_dot_q6_K_q8_1PKvPK10block_q8_1RKiEEEvS4_S4_PT_iii.uses_flat_scratch, 0
	.set _ZL13mul_mat_vec_qIN3c108BFloat16ELi256ELi32E10block_q6_KLi1EXadL_ZL17vec_dot_q6_K_q8_1PKvPK10block_q8_1RKiEEEvS4_S4_PT_iii.has_dyn_sized_stack, 0
	.set _ZL13mul_mat_vec_qIN3c108BFloat16ELi256ELi32E10block_q6_KLi1EXadL_ZL17vec_dot_q6_K_q8_1PKvPK10block_q8_1RKiEEEvS4_S4_PT_iii.has_recursion, 0
	.set _ZL13mul_mat_vec_qIN3c108BFloat16ELi256ELi32E10block_q6_KLi1EXadL_ZL17vec_dot_q6_K_q8_1PKvPK10block_q8_1RKiEEEvS4_S4_PT_iii.has_indirect_call, 0
	.section	.AMDGPU.csdata,"",@progbits
; Kernel info:
; codeLenInByte = 1104
; TotalNumSgprs: 20
; NumVgprs: 31
; ScratchSize: 0
; MemoryBound: 0
; FloatMode: 240
; IeeeMode: 1
; LDSByteSize: 0 bytes/workgroup (compile time only)
; SGPRBlocks: 2
; VGPRBlocks: 7
; NumSGPRsForWavesPerEU: 20
; NumVGPRsForWavesPerEU: 31
; Occupancy: 8
; WaveLimiterHint : 0
; COMPUTE_PGM_RSRC2:SCRATCH_EN: 0
; COMPUTE_PGM_RSRC2:USER_SGPR: 6
; COMPUTE_PGM_RSRC2:TRAP_HANDLER: 0
; COMPUTE_PGM_RSRC2:TGID_X_EN: 1
; COMPUTE_PGM_RSRC2:TGID_Y_EN: 1
; COMPUTE_PGM_RSRC2:TGID_Z_EN: 0
; COMPUTE_PGM_RSRC2:TIDIG_COMP_CNT: 1
	.section	.text._ZL13mul_mat_vec_qIN3c108BFloat16ELi256ELi8E13block_iq2_xxsLi1EXadL_ZL20vec_dot_iq2_xxs_q8_1PKvPK10block_q8_1RKiEEEvS4_S4_PT_iii,"axG",@progbits,_ZL13mul_mat_vec_qIN3c108BFloat16ELi256ELi8E13block_iq2_xxsLi1EXadL_ZL20vec_dot_iq2_xxs_q8_1PKvPK10block_q8_1RKiEEEvS4_S4_PT_iii,comdat
	.globl	_ZL13mul_mat_vec_qIN3c108BFloat16ELi256ELi8E13block_iq2_xxsLi1EXadL_ZL20vec_dot_iq2_xxs_q8_1PKvPK10block_q8_1RKiEEEvS4_S4_PT_iii ; -- Begin function _ZL13mul_mat_vec_qIN3c108BFloat16ELi256ELi8E13block_iq2_xxsLi1EXadL_ZL20vec_dot_iq2_xxs_q8_1PKvPK10block_q8_1RKiEEEvS4_S4_PT_iii
	.p2align	8
	.type	_ZL13mul_mat_vec_qIN3c108BFloat16ELi256ELi8E13block_iq2_xxsLi1EXadL_ZL20vec_dot_iq2_xxs_q8_1PKvPK10block_q8_1RKiEEEvS4_S4_PT_iii,@function
_ZL13mul_mat_vec_qIN3c108BFloat16ELi256ELi8E13block_iq2_xxsLi1EXadL_ZL20vec_dot_iq2_xxs_q8_1PKvPK10block_q8_1RKiEEEvS4_S4_PT_iii: ; @_ZL13mul_mat_vec_qIN3c108BFloat16ELi256ELi8E13block_iq2_xxsLi1EXadL_ZL20vec_dot_iq2_xxs_q8_1PKvPK10block_q8_1RKiEEEvS4_S4_PT_iii
; %bb.0:
	s_load_dword s8, s[4:5], 0x34
	s_load_dwordx4 s[0:3], s[4:5], 0x18
	s_waitcnt lgkmcnt(0)
	s_lshr_b32 s3, s8, 16
	s_mul_i32 s6, s6, s3
	v_add_u32_e32 v9, s6, v1
	s_cmp_lt_u32 s7, s2
	v_cmp_gt_u32_e32 vcc, s1, v9
	s_cselect_b64 s[2:3], -1, 0
	s_and_b64 s[2:3], s[2:3], vcc
	s_and_saveexec_b64 s[8:9], s[2:3]
	s_cbranch_execz .LBB108_7
; %bb.1:
	s_load_dwordx2 s[2:3], s[4:5], 0x10
	s_ashr_i32 s6, s0, 31
	s_lshr_b32 s6, s6, 24
	s_add_i32 s6, s0, s6
	s_ashr_i32 s6, s6, 8
	v_lshrrev_b32_e32 v11, 3, v0
	v_cmp_gt_u32_e32 vcc, s6, v11
	v_mov_b32_e32 v10, 0
	s_and_saveexec_b64 s[8:9], vcc
	s_cbranch_execz .LBB108_5
; %bb.2:
	s_load_dwordx4 s[12:15], s[4:5], 0x0
	s_addk_i32 s0, 0x1ff
	s_ashr_i32 s4, s0, 31
	s_lshr_b32 s4, s4, 23
	s_add_i32 s0, s0, s4
	v_and_b32_e32 v1, 7, v0
	s_ashr_i32 s0, s0, 9
	v_mul_lo_u32 v12, v9, s6
	v_lshlrev_b32_e32 v5, 2, v1
	s_waitcnt lgkmcnt(0)
	v_mad_u64_u32 v[1:2], s[4:5], v1, 36, s[14:15]
	s_mul_i32 s0, s7, s0
	v_lshlrev_b32_e32 v3, 3, v11
	v_lshl_add_u32 v13, s0, 4, v3
	v_mov_b32_e32 v3, s12
	v_mov_b32_e32 v10, 0
	s_mov_b64 s[4:5], 0
	s_movk_i32 s0, 0x42
	v_mov_b32_e32 v4, s13
	v_lshlrev_b32_e32 v14, 1, v5
	v_mov_b32_e32 v15, 3
.LBB108_3:                              ; =>This Inner Loop Header: Depth=1
	v_add_u32_e32 v5, v12, v11
	v_mad_i64_i32 v[7:8], s[10:11], v5, s0, v[3:4]
	v_mad_i64_i32 v[5:6], s[10:11], v13, 36, v[1:2]
	v_add_co_u32_e32 v18, vcc, v7, v14
	v_addc_co_u32_e32 v19, vcc, 0, v8, vcc
	global_load_dword v17, v[18:19], off offset:6
	global_load_dword v16, v[18:19], off offset:2
	s_getpc_b64 s[10:11]
	s_add_u32 s10, s10, _ZL11iq2xxs_grid@rel32@lo+4
	s_addc_u32 s11, s11, _ZL11iq2xxs_grid@rel32@hi+12
	s_getpc_b64 s[12:13]
	s_add_u32 s12, s12, _ZL12ksigns_iq2xs@rel32@lo+4
	s_addc_u32 s13, s13, _ZL12ksigns_iq2xs@rel32@hi+12
	v_add_u32_e32 v11, 8, v11
	v_add_u32_e32 v13, 64, v13
	s_waitcnt vmcnt(1)
	v_and_b32_e32 v25, 0x7f, v17
	s_waitcnt vmcnt(0)
	v_lshlrev_b32_sdwa v24, v15, v16 dst_sel:DWORD dst_unused:UNUSED_PAD src0_sel:DWORD src1_sel:BYTE_0
	global_load_sbyte v26, v25, s[12:13]
	global_load_dwordx4 v[18:21], v[5:6], off offset:4
	global_load_dwordx2 v[22:23], v24, s[10:11]
	s_waitcnt vmcnt(2)
	v_and_b32_e32 v27, 1, v26
	v_cmp_eq_u16_e32 vcc, 0, v27
	s_waitcnt vmcnt(0)
	v_mul_i32_i24_sdwa v24, v22, sext(v18) dst_sel:DWORD dst_unused:UNUSED_PAD src0_sel:BYTE_0 src1_sel:BYTE_0
	v_sub_u32_e32 v27, 0, v24
	v_cndmask_b32_e32 v24, v27, v24, vcc
	v_mul_i32_i24_sdwa v27, v22, sext(v18) dst_sel:DWORD dst_unused:UNUSED_PAD src0_sel:BYTE_1 src1_sel:BYTE_1
	v_and_b32_e32 v28, 2, v26
	v_cmp_eq_u16_e32 vcc, 0, v28
	v_sub_u32_e32 v28, 0, v27
	v_cndmask_b32_e32 v27, v28, v27, vcc
	v_add_u32_e32 v24, v27, v24
	v_mul_i32_i24_sdwa v27, v22, sext(v18) dst_sel:DWORD dst_unused:UNUSED_PAD src0_sel:BYTE_2 src1_sel:BYTE_2
	v_and_b32_e32 v28, 4, v26
	v_cmp_eq_u16_e32 vcc, 0, v28
	v_sub_u32_e32 v28, 0, v27
	v_mul_i32_i24_sdwa v18, v22, sext(v18) dst_sel:DWORD dst_unused:UNUSED_PAD src0_sel:BYTE_3 src1_sel:BYTE_3
	v_and_b32_e32 v22, 8, v26
	v_cndmask_b32_e32 v27, v28, v27, vcc
	v_cmp_eq_u16_e32 vcc, 0, v22
	v_sub_u32_e32 v22, 0, v18
	v_cndmask_b32_e32 v18, v22, v18, vcc
	v_add3_u32 v18, v24, v27, v18
	v_mul_i32_i24_sdwa v22, v23, sext(v19) dst_sel:DWORD dst_unused:UNUSED_PAD src0_sel:BYTE_0 src1_sel:BYTE_0
	v_and_b32_e32 v24, 16, v26
	v_cmp_eq_u16_e32 vcc, 0, v24
	v_sub_u32_e32 v24, 0, v22
	v_cndmask_b32_e32 v22, v24, v22, vcc
	v_mul_i32_i24_sdwa v24, v23, sext(v19) dst_sel:DWORD dst_unused:UNUSED_PAD src0_sel:BYTE_1 src1_sel:BYTE_1
	v_and_b32_e32 v27, 32, v26
	v_cmp_eq_u16_e32 vcc, 0, v27
	v_sub_u32_e32 v27, 0, v24
	v_cndmask_b32_e32 v24, v27, v24, vcc
	v_add3_u32 v18, v18, v22, v24
	v_mul_i32_i24_sdwa v22, v23, sext(v19) dst_sel:DWORD dst_unused:UNUSED_PAD src0_sel:BYTE_2 src1_sel:BYTE_2
	v_cmp_gt_u32_e32 vcc, 64, v25
	v_sub_u32_e32 v24, 0, v22
	v_mul_i32_i24_sdwa v19, v23, sext(v19) dst_sel:DWORD dst_unused:UNUSED_PAD src0_sel:BYTE_3 src1_sel:BYTE_3
	v_cndmask_b32_e32 v22, v24, v22, vcc
	v_sub_u32_e32 v23, 0, v19
	v_cmp_gt_i16_e32 vcc, 0, v26
	v_cndmask_b32_e32 v19, v19, v23, vcc
	v_bfe_u32 v24, v17, 7, 7
	v_add3_u32 v22, v18, v22, v19
	v_lshlrev_b32_sdwa v23, v15, v16 dst_sel:DWORD dst_unused:UNUSED_PAD src0_sel:DWORD src1_sel:BYTE_1
	global_load_sbyte v25, v24, s[12:13]
	global_load_dwordx2 v[18:19], v23, s[10:11]
	s_waitcnt vmcnt(1)
	v_and_b32_e32 v26, 1, v25
	s_waitcnt vmcnt(0)
	v_mul_i32_i24_sdwa v23, v18, sext(v20) dst_sel:DWORD dst_unused:UNUSED_PAD src0_sel:BYTE_0 src1_sel:BYTE_0
	v_cmp_eq_u16_e32 vcc, 0, v26
	v_sub_u32_e32 v26, 0, v23
	v_cndmask_b32_e32 v23, v26, v23, vcc
	v_mul_i32_i24_sdwa v26, v18, sext(v20) dst_sel:DWORD dst_unused:UNUSED_PAD src0_sel:BYTE_1 src1_sel:BYTE_1
	v_and_b32_e32 v27, 2, v25
	v_cmp_eq_u16_e32 vcc, 0, v27
	v_sub_u32_e32 v27, 0, v26
	v_cndmask_b32_e32 v26, v27, v26, vcc
	v_add3_u32 v22, v22, v23, v26
	v_mul_i32_i24_sdwa v23, v18, sext(v20) dst_sel:DWORD dst_unused:UNUSED_PAD src0_sel:BYTE_2 src1_sel:BYTE_2
	v_and_b32_e32 v26, 4, v25
	v_cmp_eq_u16_e32 vcc, 0, v26
	v_sub_u32_e32 v26, 0, v23
	v_mul_i32_i24_sdwa v18, v18, sext(v20) dst_sel:DWORD dst_unused:UNUSED_PAD src0_sel:BYTE_3 src1_sel:BYTE_3
	v_and_b32_e32 v20, 8, v25
	v_cndmask_b32_e32 v23, v26, v23, vcc
	v_cmp_eq_u16_e32 vcc, 0, v20
	v_sub_u32_e32 v20, 0, v18
	v_cndmask_b32_e32 v18, v20, v18, vcc
	v_add3_u32 v18, v22, v23, v18
	v_mul_i32_i24_sdwa v20, v19, sext(v21) dst_sel:DWORD dst_unused:UNUSED_PAD src0_sel:BYTE_0 src1_sel:BYTE_0
	v_and_b32_e32 v22, 16, v25
	v_cmp_eq_u16_e32 vcc, 0, v22
	v_sub_u32_e32 v22, 0, v20
	v_cndmask_b32_e32 v20, v22, v20, vcc
	v_mul_i32_i24_sdwa v22, v19, sext(v21) dst_sel:DWORD dst_unused:UNUSED_PAD src0_sel:BYTE_1 src1_sel:BYTE_1
	v_and_b32_e32 v23, 32, v25
	v_cmp_eq_u16_e32 vcc, 0, v23
	v_sub_u32_e32 v23, 0, v22
	v_cndmask_b32_e32 v22, v23, v22, vcc
	v_add3_u32 v18, v18, v20, v22
	v_mul_i32_i24_sdwa v20, v19, sext(v21) dst_sel:DWORD dst_unused:UNUSED_PAD src0_sel:BYTE_2 src1_sel:BYTE_2
	v_cmp_gt_u32_e32 vcc, 64, v24
	v_sub_u32_e32 v22, 0, v20
	v_mul_i32_i24_sdwa v19, v19, sext(v21) dst_sel:DWORD dst_unused:UNUSED_PAD src0_sel:BYTE_3 src1_sel:BYTE_3
	v_cndmask_b32_e32 v20, v22, v20, vcc
	v_sub_u32_e32 v21, 0, v19
	v_cmp_gt_i16_e32 vcc, 0, v25
	v_cndmask_b32_e32 v19, v19, v21, vcc
	v_bfe_u32 v26, v17, 14, 7
	v_add3_u32 v24, v18, v20, v19
	v_lshlrev_b32_sdwa v25, v15, v16 dst_sel:DWORD dst_unused:UNUSED_PAD src0_sel:DWORD src1_sel:BYTE_2
	global_load_sbyte v27, v26, s[12:13]
	global_load_dwordx4 v[18:21], v[5:6], off offset:20
	global_load_dwordx2 v[22:23], v25, s[10:11]
	v_lshlrev_b32_sdwa v16, v15, v16 dst_sel:DWORD dst_unused:UNUSED_PAD src0_sel:DWORD src1_sel:BYTE_3
	s_waitcnt vmcnt(2)
	v_and_b32_e32 v28, 1, v27
	v_cmp_eq_u16_e32 vcc, 0, v28
	s_waitcnt vmcnt(0)
	v_mul_i32_i24_sdwa v25, v22, sext(v18) dst_sel:DWORD dst_unused:UNUSED_PAD src0_sel:BYTE_0 src1_sel:BYTE_0
	v_sub_u32_e32 v28, 0, v25
	v_cndmask_b32_e32 v25, v28, v25, vcc
	v_mul_i32_i24_sdwa v28, v22, sext(v18) dst_sel:DWORD dst_unused:UNUSED_PAD src0_sel:BYTE_1 src1_sel:BYTE_1
	v_and_b32_e32 v29, 2, v27
	v_cmp_eq_u16_e32 vcc, 0, v29
	v_sub_u32_e32 v29, 0, v28
	v_cndmask_b32_e32 v28, v29, v28, vcc
	v_add3_u32 v24, v24, v25, v28
	v_mul_i32_i24_sdwa v25, v22, sext(v18) dst_sel:DWORD dst_unused:UNUSED_PAD src0_sel:BYTE_2 src1_sel:BYTE_2
	v_and_b32_e32 v28, 4, v27
	v_cmp_eq_u16_e32 vcc, 0, v28
	v_sub_u32_e32 v28, 0, v25
	v_mul_i32_i24_sdwa v18, v22, sext(v18) dst_sel:DWORD dst_unused:UNUSED_PAD src0_sel:BYTE_3 src1_sel:BYTE_3
	v_and_b32_e32 v22, 8, v27
	v_cndmask_b32_e32 v25, v28, v25, vcc
	v_cmp_eq_u16_e32 vcc, 0, v22
	v_sub_u32_e32 v22, 0, v18
	v_cndmask_b32_e32 v18, v22, v18, vcc
	v_add3_u32 v18, v24, v25, v18
	v_mul_i32_i24_sdwa v22, v23, sext(v19) dst_sel:DWORD dst_unused:UNUSED_PAD src0_sel:BYTE_0 src1_sel:BYTE_0
	v_and_b32_e32 v24, 16, v27
	v_cmp_eq_u16_e32 vcc, 0, v24
	v_sub_u32_e32 v24, 0, v22
	v_cndmask_b32_e32 v22, v24, v22, vcc
	v_mul_i32_i24_sdwa v24, v23, sext(v19) dst_sel:DWORD dst_unused:UNUSED_PAD src0_sel:BYTE_1 src1_sel:BYTE_1
	v_and_b32_e32 v25, 32, v27
	v_cmp_eq_u16_e32 vcc, 0, v25
	v_sub_u32_e32 v25, 0, v24
	v_cndmask_b32_e32 v24, v25, v24, vcc
	v_add3_u32 v18, v18, v22, v24
	v_mul_i32_i24_sdwa v22, v23, sext(v19) dst_sel:DWORD dst_unused:UNUSED_PAD src0_sel:BYTE_2 src1_sel:BYTE_2
	v_cmp_gt_u32_e32 vcc, 64, v26
	v_sub_u32_e32 v24, 0, v22
	v_mul_i32_i24_sdwa v19, v23, sext(v19) dst_sel:DWORD dst_unused:UNUSED_PAD src0_sel:BYTE_3 src1_sel:BYTE_3
	v_cndmask_b32_e32 v22, v24, v22, vcc
	v_sub_u32_e32 v23, 0, v19
	v_cmp_gt_i16_e32 vcc, 0, v27
	v_cndmask_b32_e32 v19, v19, v23, vcc
	v_bfe_u32 v23, v17, 21, 7
	v_add3_u32 v22, v18, v22, v19
	global_load_sbyte v24, v23, s[12:13]
	global_load_dwordx2 v[18:19], v16, s[10:11]
	v_lshrrev_b32_e32 v17, 28, v17
	global_load_ushort v7, v[7:8], off
	v_cvt_f32_ubyte0_e32 v8, v17
	global_load_ushort v5, v[5:6], off
	v_add_f32_e32 v8, 0.5, v8
	s_waitcnt vmcnt(3)
	v_and_b32_e32 v25, 1, v24
	s_waitcnt vmcnt(2)
	v_mul_i32_i24_sdwa v16, v18, sext(v20) dst_sel:DWORD dst_unused:UNUSED_PAD src0_sel:BYTE_0 src1_sel:BYTE_0
	v_cmp_eq_u16_e32 vcc, 0, v25
	v_sub_u32_e32 v25, 0, v16
	v_cndmask_b32_e32 v16, v25, v16, vcc
	v_mul_i32_i24_sdwa v25, v18, sext(v20) dst_sel:DWORD dst_unused:UNUSED_PAD src0_sel:BYTE_1 src1_sel:BYTE_1
	v_and_b32_e32 v26, 2, v24
	v_cmp_eq_u16_e32 vcc, 0, v26
	v_sub_u32_e32 v26, 0, v25
	v_cndmask_b32_e32 v25, v26, v25, vcc
	v_add3_u32 v16, v22, v16, v25
	v_mul_i32_i24_sdwa v22, v18, sext(v20) dst_sel:DWORD dst_unused:UNUSED_PAD src0_sel:BYTE_2 src1_sel:BYTE_2
	v_and_b32_e32 v25, 4, v24
	v_cmp_eq_u16_e32 vcc, 0, v25
	v_sub_u32_e32 v25, 0, v22
	v_mul_i32_i24_sdwa v18, v18, sext(v20) dst_sel:DWORD dst_unused:UNUSED_PAD src0_sel:BYTE_3 src1_sel:BYTE_3
	v_and_b32_e32 v20, 8, v24
	v_cndmask_b32_e32 v22, v25, v22, vcc
	v_cmp_eq_u16_e32 vcc, 0, v20
	v_sub_u32_e32 v20, 0, v18
	v_cndmask_b32_e32 v18, v20, v18, vcc
	v_add3_u32 v16, v16, v22, v18
	v_mul_i32_i24_sdwa v18, v19, sext(v21) dst_sel:DWORD dst_unused:UNUSED_PAD src0_sel:BYTE_0 src1_sel:BYTE_0
	v_and_b32_e32 v20, 16, v24
	v_cmp_eq_u16_e32 vcc, 0, v20
	v_sub_u32_e32 v20, 0, v18
	v_cndmask_b32_e32 v18, v20, v18, vcc
	v_mul_i32_i24_sdwa v20, v19, sext(v21) dst_sel:DWORD dst_unused:UNUSED_PAD src0_sel:BYTE_1 src1_sel:BYTE_1
	v_and_b32_e32 v22, 32, v24
	v_cmp_eq_u16_e32 vcc, 0, v22
	v_sub_u32_e32 v22, 0, v20
	v_cndmask_b32_e32 v20, v22, v20, vcc
	v_add3_u32 v16, v16, v18, v20
	v_mul_i32_i24_sdwa v18, v19, sext(v21) dst_sel:DWORD dst_unused:UNUSED_PAD src0_sel:BYTE_2 src1_sel:BYTE_2
	v_cmp_gt_u32_e32 vcc, 64, v23
	v_sub_u32_e32 v20, 0, v18
	v_mul_i32_i24_sdwa v19, v19, sext(v21) dst_sel:DWORD dst_unused:UNUSED_PAD src0_sel:BYTE_3 src1_sel:BYTE_3
	v_cndmask_b32_e32 v18, v20, v18, vcc
	v_sub_u32_e32 v20, 0, v19
	v_cmp_gt_i16_e32 vcc, 0, v24
	s_waitcnt vmcnt(1)
	v_cvt_f32_f16_e32 v7, v7
	v_cndmask_b32_e32 v19, v19, v20, vcc
	s_waitcnt vmcnt(0)
	v_cvt_f32_f16_e32 v5, v5
	v_add3_u32 v16, v16, v18, v19
	v_cvt_f32_i32_e32 v6, v16
	v_mul_f32_e32 v7, v8, v7
	v_mul_f32_e32 v5, v7, v5
	;; [unrolled: 1-line block ×3, first 2 shown]
	v_cmp_le_u32_e32 vcc, s6, v11
	v_fmac_f32_e32 v10, v5, v6
	s_or_b64 s[4:5], vcc, s[4:5]
	s_andn2_b64 exec, exec, s[4:5]
	s_cbranch_execnz .LBB108_3
; %bb.4:
	s_or_b64 exec, exec, s[4:5]
.LBB108_5:
	s_or_b64 exec, exec, s[8:9]
	v_mbcnt_lo_u32_b32 v1, -1, 0
	v_mbcnt_hi_u32_b32 v2, -1, v1
	v_and_b32_e32 v1, 64, v2
	v_add_u32_e32 v3, 64, v1
	v_xor_b32_e32 v1, 32, v2
	v_cmp_lt_i32_e32 vcc, v1, v3
	v_cndmask_b32_e32 v1, v2, v1, vcc
	v_lshlrev_b32_e32 v1, 2, v1
	ds_bpermute_b32 v1, v1, v10
	v_xor_b32_e32 v4, 16, v2
	v_cmp_lt_i32_e32 vcc, v4, v3
	v_cndmask_b32_e32 v4, v2, v4, vcc
	v_lshlrev_b32_e32 v4, 2, v4
	s_waitcnt lgkmcnt(0)
	v_add_f32_e32 v1, v10, v1
	ds_bpermute_b32 v4, v4, v1
	v_xor_b32_e32 v5, 8, v2
	v_cmp_lt_i32_e32 vcc, v5, v3
	s_waitcnt lgkmcnt(0)
	v_add_f32_e32 v1, v1, v4
	v_cndmask_b32_e32 v4, v2, v5, vcc
	v_lshlrev_b32_e32 v4, 2, v4
	ds_bpermute_b32 v4, v4, v1
	v_xor_b32_e32 v5, 4, v2
	v_cmp_lt_i32_e32 vcc, v5, v3
	s_waitcnt lgkmcnt(0)
	v_add_f32_e32 v1, v1, v4
	v_cndmask_b32_e32 v4, v2, v5, vcc
	v_lshlrev_b32_e32 v4, 2, v4
	;; [unrolled: 7-line block ×3, first 2 shown]
	ds_bpermute_b32 v4, v4, v1
	v_xor_b32_e32 v5, 1, v2
	v_cmp_lt_i32_e32 vcc, v5, v3
	v_cndmask_b32_e32 v2, v2, v5, vcc
	v_lshlrev_b32_e32 v2, 2, v2
	s_waitcnt lgkmcnt(0)
	v_add_f32_e32 v1, v1, v4
	ds_bpermute_b32 v2, v2, v1
	v_cmp_eq_u32_e32 vcc, 0, v0
	s_and_b64 exec, exec, vcc
	s_cbranch_execz .LBB108_7
; %bb.6:
	s_waitcnt lgkmcnt(0)
	v_add_f32_e32 v0, v1, v2
	v_bfe_u32 v1, v0, 16, 1
	s_movk_i32 s0, 0x7fff
	v_add3_u32 v1, v0, v1, s0
	v_cmp_o_f32_e32 vcc, v0, v0
	v_mov_b32_e32 v0, 0x7fc0
	s_mul_i32 s0, s1, s7
	v_cndmask_b32_sdwa v2, v0, v1, vcc dst_sel:DWORD dst_unused:UNUSED_PAD src0_sel:DWORD src1_sel:WORD_1
	v_add_u32_e32 v0, s0, v9
	v_mov_b32_e32 v1, 0
	v_lshlrev_b64 v[0:1], 1, v[0:1]
	v_mov_b32_e32 v3, s3
	v_add_co_u32_e32 v0, vcc, s2, v0
	v_addc_co_u32_e32 v1, vcc, v3, v1, vcc
	global_store_short v[0:1], v2, off
.LBB108_7:
	s_endpgm
	.section	.rodata,"a",@progbits
	.p2align	6, 0x0
	.amdhsa_kernel _ZL13mul_mat_vec_qIN3c108BFloat16ELi256ELi8E13block_iq2_xxsLi1EXadL_ZL20vec_dot_iq2_xxs_q8_1PKvPK10block_q8_1RKiEEEvS4_S4_PT_iii
		.amdhsa_group_segment_fixed_size 0
		.amdhsa_private_segment_fixed_size 0
		.amdhsa_kernarg_size 296
		.amdhsa_user_sgpr_count 6
		.amdhsa_user_sgpr_private_segment_buffer 1
		.amdhsa_user_sgpr_dispatch_ptr 0
		.amdhsa_user_sgpr_queue_ptr 0
		.amdhsa_user_sgpr_kernarg_segment_ptr 1
		.amdhsa_user_sgpr_dispatch_id 0
		.amdhsa_user_sgpr_flat_scratch_init 0
		.amdhsa_user_sgpr_private_segment_size 0
		.amdhsa_uses_dynamic_stack 0
		.amdhsa_system_sgpr_private_segment_wavefront_offset 0
		.amdhsa_system_sgpr_workgroup_id_x 1
		.amdhsa_system_sgpr_workgroup_id_y 1
		.amdhsa_system_sgpr_workgroup_id_z 0
		.amdhsa_system_sgpr_workgroup_info 0
		.amdhsa_system_vgpr_workitem_id 1
		.amdhsa_next_free_vgpr 30
		.amdhsa_next_free_sgpr 16
		.amdhsa_reserve_vcc 1
		.amdhsa_reserve_flat_scratch 0
		.amdhsa_float_round_mode_32 0
		.amdhsa_float_round_mode_16_64 0
		.amdhsa_float_denorm_mode_32 3
		.amdhsa_float_denorm_mode_16_64 3
		.amdhsa_dx10_clamp 1
		.amdhsa_ieee_mode 1
		.amdhsa_fp16_overflow 0
		.amdhsa_exception_fp_ieee_invalid_op 0
		.amdhsa_exception_fp_denorm_src 0
		.amdhsa_exception_fp_ieee_div_zero 0
		.amdhsa_exception_fp_ieee_overflow 0
		.amdhsa_exception_fp_ieee_underflow 0
		.amdhsa_exception_fp_ieee_inexact 0
		.amdhsa_exception_int_div_zero 0
	.end_amdhsa_kernel
	.section	.text._ZL13mul_mat_vec_qIN3c108BFloat16ELi256ELi8E13block_iq2_xxsLi1EXadL_ZL20vec_dot_iq2_xxs_q8_1PKvPK10block_q8_1RKiEEEvS4_S4_PT_iii,"axG",@progbits,_ZL13mul_mat_vec_qIN3c108BFloat16ELi256ELi8E13block_iq2_xxsLi1EXadL_ZL20vec_dot_iq2_xxs_q8_1PKvPK10block_q8_1RKiEEEvS4_S4_PT_iii,comdat
.Lfunc_end108:
	.size	_ZL13mul_mat_vec_qIN3c108BFloat16ELi256ELi8E13block_iq2_xxsLi1EXadL_ZL20vec_dot_iq2_xxs_q8_1PKvPK10block_q8_1RKiEEEvS4_S4_PT_iii, .Lfunc_end108-_ZL13mul_mat_vec_qIN3c108BFloat16ELi256ELi8E13block_iq2_xxsLi1EXadL_ZL20vec_dot_iq2_xxs_q8_1PKvPK10block_q8_1RKiEEEvS4_S4_PT_iii
                                        ; -- End function
	.set _ZL13mul_mat_vec_qIN3c108BFloat16ELi256ELi8E13block_iq2_xxsLi1EXadL_ZL20vec_dot_iq2_xxs_q8_1PKvPK10block_q8_1RKiEEEvS4_S4_PT_iii.num_vgpr, 30
	.set _ZL13mul_mat_vec_qIN3c108BFloat16ELi256ELi8E13block_iq2_xxsLi1EXadL_ZL20vec_dot_iq2_xxs_q8_1PKvPK10block_q8_1RKiEEEvS4_S4_PT_iii.num_agpr, 0
	.set _ZL13mul_mat_vec_qIN3c108BFloat16ELi256ELi8E13block_iq2_xxsLi1EXadL_ZL20vec_dot_iq2_xxs_q8_1PKvPK10block_q8_1RKiEEEvS4_S4_PT_iii.numbered_sgpr, 16
	.set _ZL13mul_mat_vec_qIN3c108BFloat16ELi256ELi8E13block_iq2_xxsLi1EXadL_ZL20vec_dot_iq2_xxs_q8_1PKvPK10block_q8_1RKiEEEvS4_S4_PT_iii.num_named_barrier, 0
	.set _ZL13mul_mat_vec_qIN3c108BFloat16ELi256ELi8E13block_iq2_xxsLi1EXadL_ZL20vec_dot_iq2_xxs_q8_1PKvPK10block_q8_1RKiEEEvS4_S4_PT_iii.private_seg_size, 0
	.set _ZL13mul_mat_vec_qIN3c108BFloat16ELi256ELi8E13block_iq2_xxsLi1EXadL_ZL20vec_dot_iq2_xxs_q8_1PKvPK10block_q8_1RKiEEEvS4_S4_PT_iii.uses_vcc, 1
	.set _ZL13mul_mat_vec_qIN3c108BFloat16ELi256ELi8E13block_iq2_xxsLi1EXadL_ZL20vec_dot_iq2_xxs_q8_1PKvPK10block_q8_1RKiEEEvS4_S4_PT_iii.uses_flat_scratch, 0
	.set _ZL13mul_mat_vec_qIN3c108BFloat16ELi256ELi8E13block_iq2_xxsLi1EXadL_ZL20vec_dot_iq2_xxs_q8_1PKvPK10block_q8_1RKiEEEvS4_S4_PT_iii.has_dyn_sized_stack, 0
	.set _ZL13mul_mat_vec_qIN3c108BFloat16ELi256ELi8E13block_iq2_xxsLi1EXadL_ZL20vec_dot_iq2_xxs_q8_1PKvPK10block_q8_1RKiEEEvS4_S4_PT_iii.has_recursion, 0
	.set _ZL13mul_mat_vec_qIN3c108BFloat16ELi256ELi8E13block_iq2_xxsLi1EXadL_ZL20vec_dot_iq2_xxs_q8_1PKvPK10block_q8_1RKiEEEvS4_S4_PT_iii.has_indirect_call, 0
	.section	.AMDGPU.csdata,"",@progbits
; Kernel info:
; codeLenInByte = 1740
; TotalNumSgprs: 20
; NumVgprs: 30
; ScratchSize: 0
; MemoryBound: 0
; FloatMode: 240
; IeeeMode: 1
; LDSByteSize: 0 bytes/workgroup (compile time only)
; SGPRBlocks: 2
; VGPRBlocks: 7
; NumSGPRsForWavesPerEU: 20
; NumVGPRsForWavesPerEU: 30
; Occupancy: 8
; WaveLimiterHint : 0
; COMPUTE_PGM_RSRC2:SCRATCH_EN: 0
; COMPUTE_PGM_RSRC2:USER_SGPR: 6
; COMPUTE_PGM_RSRC2:TRAP_HANDLER: 0
; COMPUTE_PGM_RSRC2:TGID_X_EN: 1
; COMPUTE_PGM_RSRC2:TGID_Y_EN: 1
; COMPUTE_PGM_RSRC2:TGID_Z_EN: 0
; COMPUTE_PGM_RSRC2:TIDIG_COMP_CNT: 1
	.section	.text._ZL13mul_mat_vec_qIN3c108BFloat16ELi256ELi8E12block_iq2_xsLi1EXadL_ZL19vec_dot_iq2_xs_q8_1PKvPK10block_q8_1RKiEEEvS4_S4_PT_iii,"axG",@progbits,_ZL13mul_mat_vec_qIN3c108BFloat16ELi256ELi8E12block_iq2_xsLi1EXadL_ZL19vec_dot_iq2_xs_q8_1PKvPK10block_q8_1RKiEEEvS4_S4_PT_iii,comdat
	.globl	_ZL13mul_mat_vec_qIN3c108BFloat16ELi256ELi8E12block_iq2_xsLi1EXadL_ZL19vec_dot_iq2_xs_q8_1PKvPK10block_q8_1RKiEEEvS4_S4_PT_iii ; -- Begin function _ZL13mul_mat_vec_qIN3c108BFloat16ELi256ELi8E12block_iq2_xsLi1EXadL_ZL19vec_dot_iq2_xs_q8_1PKvPK10block_q8_1RKiEEEvS4_S4_PT_iii
	.p2align	8
	.type	_ZL13mul_mat_vec_qIN3c108BFloat16ELi256ELi8E12block_iq2_xsLi1EXadL_ZL19vec_dot_iq2_xs_q8_1PKvPK10block_q8_1RKiEEEvS4_S4_PT_iii,@function
_ZL13mul_mat_vec_qIN3c108BFloat16ELi256ELi8E12block_iq2_xsLi1EXadL_ZL19vec_dot_iq2_xs_q8_1PKvPK10block_q8_1RKiEEEvS4_S4_PT_iii: ; @_ZL13mul_mat_vec_qIN3c108BFloat16ELi256ELi8E12block_iq2_xsLi1EXadL_ZL19vec_dot_iq2_xs_q8_1PKvPK10block_q8_1RKiEEEvS4_S4_PT_iii
; %bb.0:
	s_load_dword s8, s[4:5], 0x34
	s_load_dwordx4 s[0:3], s[4:5], 0x18
	s_waitcnt lgkmcnt(0)
	s_lshr_b32 s3, s8, 16
	s_mul_i32 s6, s6, s3
	v_add_u32_e32 v11, s6, v1
	s_cmp_lt_u32 s7, s2
	v_cmp_gt_u32_e32 vcc, s1, v11
	s_cselect_b64 s[2:3], -1, 0
	s_and_b64 s[2:3], s[2:3], vcc
	s_and_saveexec_b64 s[8:9], s[2:3]
	s_cbranch_execz .LBB109_7
; %bb.1:
	s_load_dwordx2 s[2:3], s[4:5], 0x10
	s_ashr_i32 s6, s0, 31
	s_lshr_b32 s6, s6, 24
	s_add_i32 s6, s0, s6
	s_ashr_i32 s6, s6, 8
	v_lshrrev_b32_e32 v12, 3, v0
	v_cmp_gt_u32_e32 vcc, s6, v12
	v_mov_b32_e32 v13, 0
	s_and_saveexec_b64 s[8:9], vcc
	s_cbranch_execz .LBB109_5
; %bb.2:
	s_load_dwordx4 s[12:15], s[4:5], 0x0
	s_addk_i32 s0, 0x1ff
	s_ashr_i32 s4, s0, 31
	s_lshr_b32 s4, s4, 23
	s_add_i32 s0, s0, s4
	v_and_b32_e32 v15, 7, v0
	s_ashr_i32 s0, s0, 9
	v_mul_lo_u32 v14, v11, s6
	s_waitcnt lgkmcnt(0)
	v_mad_u64_u32 v[1:2], s[4:5], v15, 36, s[14:15]
	s_mul_i32 s0, s7, s0
	v_lshlrev_b32_e32 v3, 3, v12
	v_lshlrev_b32_e32 v5, 2, v15
	v_lshl_add_u32 v17, s0, 4, v3
	v_mov_b32_e32 v3, s12
	v_mov_b32_e32 v16, 0
	s_mov_b64 s[4:5], 0
	s_movk_i32 s0, 0x4a
	v_mov_b32_e32 v4, s13
	v_lshlrev_b32_e32 v18, 1, v5
	v_mov_b32_e32 v13, 0
.LBB109_3:                              ; =>This Inner Loop Header: Depth=1
	v_add_u32_e32 v5, v14, v12
	v_mad_i64_i32 v[7:8], s[10:11], v5, s0, v[3:4]
	v_mad_i64_i32 v[5:6], s[10:11], v17, 36, v[1:2]
	v_add_co_u32_e32 v21, vcc, v7, v18
	v_addc_co_u32_e32 v22, vcc, 0, v8, vcc
	v_add_co_u32_e32 v23, vcc, v7, v15
	v_addc_co_u32_e32 v24, vcc, 0, v8, vcc
	global_load_ubyte v20, v[23:24], off offset:66
	global_load_dwordx2 v[9:10], v[21:22], off offset:2
	s_getpc_b64 s[10:11]
	s_add_u32 s10, s10, _ZL10iq2xs_grid@rel32@lo+4
	s_addc_u32 s11, s11, _ZL10iq2xs_grid@rel32@hi+12
	s_getpc_b64 s[12:13]
	s_add_u32 s12, s12, _ZL12ksigns_iq2xs@rel32@lo+4
	s_addc_u32 s13, s13, _ZL12ksigns_iq2xs@rel32@hi+12
	v_add_u32_e32 v12, 8, v12
	v_add_u32_e32 v17, 64, v17
	s_waitcnt vmcnt(0)
	v_and_b32_e32 v19, 0x1ff, v9
	v_bfe_u32 v27, v9, 9, 7
	v_lshlrev_b32_e32 v19, 3, v19
	global_load_sbyte v28, v27, s[12:13]
	global_load_dwordx4 v[21:24], v[5:6], off offset:4
	global_load_dwordx2 v[25:26], v19, s[10:11]
	s_waitcnt vmcnt(2)
	v_and_b32_e32 v27, 1, v28
	v_cmp_eq_u16_e32 vcc, 0, v27
	s_waitcnt vmcnt(0)
	v_mul_i32_i24_sdwa v19, v25, sext(v21) dst_sel:DWORD dst_unused:UNUSED_PAD src0_sel:BYTE_0 src1_sel:BYTE_0
	v_sub_u32_e32 v27, 0, v19
	v_cndmask_b32_e32 v19, v27, v19, vcc
	v_mul_i32_i24_sdwa v27, v25, sext(v21) dst_sel:DWORD dst_unused:UNUSED_PAD src0_sel:BYTE_1 src1_sel:BYTE_1
	v_and_b32_e32 v29, 2, v28
	v_cmp_eq_u16_e32 vcc, 0, v29
	v_sub_u32_e32 v29, 0, v27
	v_cndmask_b32_e32 v27, v29, v27, vcc
	v_add_u32_e32 v19, v27, v19
	v_mul_i32_i24_sdwa v27, v25, sext(v21) dst_sel:DWORD dst_unused:UNUSED_PAD src0_sel:BYTE_2 src1_sel:BYTE_2
	v_and_b32_e32 v29, 4, v28
	v_cmp_eq_u16_e32 vcc, 0, v29
	v_sub_u32_e32 v29, 0, v27
	v_mul_i32_i24_sdwa v21, v25, sext(v21) dst_sel:DWORD dst_unused:UNUSED_PAD src0_sel:BYTE_3 src1_sel:BYTE_3
	v_and_b32_e32 v25, 8, v28
	v_cndmask_b32_e32 v27, v29, v27, vcc
	v_cmp_eq_u16_e32 vcc, 0, v25
	v_sub_u32_e32 v25, 0, v21
	v_cndmask_b32_e32 v21, v25, v21, vcc
	v_add3_u32 v19, v19, v27, v21
	v_mul_i32_i24_sdwa v21, v26, sext(v22) dst_sel:DWORD dst_unused:UNUSED_PAD src0_sel:BYTE_0 src1_sel:BYTE_0
	v_and_b32_e32 v25, 16, v28
	v_cmp_eq_u16_e32 vcc, 0, v25
	v_sub_u32_e32 v25, 0, v21
	v_cndmask_b32_e32 v21, v25, v21, vcc
	v_mul_i32_i24_sdwa v25, v26, sext(v22) dst_sel:DWORD dst_unused:UNUSED_PAD src0_sel:BYTE_1 src1_sel:BYTE_1
	v_and_b32_e32 v27, 32, v28
	v_cmp_eq_u16_e32 vcc, 0, v27
	v_sub_u32_e32 v27, 0, v25
	v_cndmask_b32_e32 v25, v27, v25, vcc
	v_add3_u32 v19, v19, v21, v25
	v_mul_i32_i24_sdwa v21, v26, sext(v22) dst_sel:DWORD dst_unused:UNUSED_PAD src0_sel:BYTE_2 src1_sel:BYTE_2
	v_sub_u32_e32 v25, 0, v21
	v_cmp_gt_i16_e32 vcc, 0, v9
	v_mul_i32_i24_sdwa v22, v26, sext(v22) dst_sel:DWORD dst_unused:UNUSED_PAD src0_sel:BYTE_3 src1_sel:BYTE_3
	v_cndmask_b32_e32 v21, v21, v25, vcc
	v_sub_u32_e32 v25, 0, v22
	v_cmp_gt_i16_e32 vcc, 0, v28
	v_cndmask_b32_e32 v22, v22, v25, vcc
	v_add3_u32 v19, v19, v21, v22
	v_lshrrev_b32_e32 v21, 13, v9
	v_lshrrev_b32_e32 v22, 25, v9
	v_and_b32_e32 v21, 0xff8, v21
	global_load_sbyte v27, v22, s[12:13]
	global_load_dwordx2 v[25:26], v21, s[10:11]
	s_waitcnt vmcnt(1)
	v_and_b32_e32 v22, 1, v27
	s_waitcnt vmcnt(0)
	v_mul_i32_i24_sdwa v21, v25, sext(v23) dst_sel:DWORD dst_unused:UNUSED_PAD src0_sel:BYTE_0 src1_sel:BYTE_0
	v_cmp_eq_u16_e32 vcc, 0, v22
	v_sub_u32_e32 v22, 0, v21
	v_cndmask_b32_e32 v21, v22, v21, vcc
	v_mul_i32_i24_sdwa v22, v25, sext(v23) dst_sel:DWORD dst_unused:UNUSED_PAD src0_sel:BYTE_1 src1_sel:BYTE_1
	v_and_b32_e32 v28, 2, v27
	v_cmp_eq_u16_e32 vcc, 0, v28
	v_sub_u32_e32 v28, 0, v22
	v_cndmask_b32_e32 v28, v28, v22, vcc
	v_mul_i32_i24_sdwa v22, v25, sext(v23) dst_sel:DWORD dst_unused:UNUSED_PAD src0_sel:BYTE_2 src1_sel:BYTE_2
	v_and_b32_e32 v29, 4, v27
	v_cmp_eq_u16_e32 vcc, 0, v29
	v_sub_u32_e32 v29, 0, v22
	v_cndmask_b32_e32 v29, v29, v22, vcc
	v_mul_i32_i24_sdwa v22, v25, sext(v23) dst_sel:DWORD dst_unused:UNUSED_PAD src0_sel:BYTE_3 src1_sel:BYTE_3
	v_and_b32_e32 v23, 8, v27
	v_cmp_eq_u16_e32 vcc, 0, v23
	v_sub_u32_e32 v23, 0, v22
	v_cndmask_b32_e32 v30, v23, v22, vcc
	v_mul_i32_i24_sdwa v22, v26, sext(v24) dst_sel:DWORD dst_unused:UNUSED_PAD src0_sel:BYTE_0 src1_sel:BYTE_0
	v_and_b32_e32 v23, 16, v27
	v_cmp_eq_u16_e32 vcc, 0, v23
	v_sub_u32_e32 v23, 0, v22
	v_cndmask_b32_e32 v31, v23, v22, vcc
	v_mul_i32_i24_sdwa v22, v26, sext(v24) dst_sel:DWORD dst_unused:UNUSED_PAD src0_sel:BYTE_1 src1_sel:BYTE_1
	v_and_b32_e32 v23, 32, v27
	v_cmp_eq_u16_e32 vcc, 0, v23
	v_sub_u32_e32 v23, 0, v22
	v_cndmask_b32_e32 v32, v23, v22, vcc
	v_mul_i32_i24_sdwa v22, v26, sext(v24) dst_sel:DWORD dst_unused:UNUSED_PAD src0_sel:BYTE_2 src1_sel:BYTE_2
	v_sub_u32_e32 v23, 0, v22
	v_cmp_lt_i16_sdwa vcc, v9, v16 src0_sel:WORD_1 src1_sel:DWORD
	v_mul_i32_i24_sdwa v9, v26, sext(v24) dst_sel:DWORD dst_unused:UNUSED_PAD src0_sel:BYTE_3 src1_sel:BYTE_3
	v_cndmask_b32_e32 v33, v22, v23, vcc
	v_sub_u32_e32 v22, 0, v9
	v_cmp_gt_i16_e32 vcc, 0, v27
	v_cndmask_b32_e32 v34, v9, v22, vcc
	v_and_b32_e32 v9, 0x1ff, v10
	v_bfe_u32 v22, v10, 9, 7
	v_lshlrev_b32_e32 v9, 3, v9
	global_load_sbyte v35, v22, s[12:13]
	s_nop 0
	global_load_dwordx4 v[22:25], v[5:6], off offset:20
	global_load_dwordx2 v[26:27], v9, s[10:11]
	s_waitcnt vmcnt(2)
	v_and_b32_e32 v36, 1, v35
	v_cmp_eq_u16_e32 vcc, 0, v36
	s_waitcnt vmcnt(0)
	v_mul_i32_i24_sdwa v9, v26, sext(v22) dst_sel:DWORD dst_unused:UNUSED_PAD src0_sel:BYTE_0 src1_sel:BYTE_0
	v_sub_u32_e32 v36, 0, v9
	v_cndmask_b32_e32 v9, v36, v9, vcc
	v_mul_i32_i24_sdwa v36, v26, sext(v22) dst_sel:DWORD dst_unused:UNUSED_PAD src0_sel:BYTE_1 src1_sel:BYTE_1
	v_and_b32_e32 v37, 2, v35
	v_cmp_eq_u16_e32 vcc, 0, v37
	v_sub_u32_e32 v37, 0, v36
	v_cndmask_b32_e32 v36, v37, v36, vcc
	v_add_u32_e32 v9, v36, v9
	v_mul_i32_i24_sdwa v36, v26, sext(v22) dst_sel:DWORD dst_unused:UNUSED_PAD src0_sel:BYTE_2 src1_sel:BYTE_2
	v_and_b32_e32 v37, 4, v35
	v_cmp_eq_u16_e32 vcc, 0, v37
	v_sub_u32_e32 v37, 0, v36
	v_mul_i32_i24_sdwa v22, v26, sext(v22) dst_sel:DWORD dst_unused:UNUSED_PAD src0_sel:BYTE_3 src1_sel:BYTE_3
	v_and_b32_e32 v26, 8, v35
	v_cndmask_b32_e32 v36, v37, v36, vcc
	v_cmp_eq_u16_e32 vcc, 0, v26
	v_sub_u32_e32 v26, 0, v22
	v_cndmask_b32_e32 v22, v26, v22, vcc
	v_add3_u32 v9, v9, v36, v22
	v_mul_i32_i24_sdwa v22, v27, sext(v23) dst_sel:DWORD dst_unused:UNUSED_PAD src0_sel:BYTE_0 src1_sel:BYTE_0
	v_and_b32_e32 v26, 16, v35
	v_cmp_eq_u16_e32 vcc, 0, v26
	v_sub_u32_e32 v26, 0, v22
	v_cndmask_b32_e32 v22, v26, v22, vcc
	v_mul_i32_i24_sdwa v26, v27, sext(v23) dst_sel:DWORD dst_unused:UNUSED_PAD src0_sel:BYTE_1 src1_sel:BYTE_1
	v_and_b32_e32 v36, 32, v35
	v_cmp_eq_u16_e32 vcc, 0, v36
	v_sub_u32_e32 v36, 0, v26
	v_cndmask_b32_e32 v26, v36, v26, vcc
	v_add3_u32 v9, v9, v22, v26
	v_mul_i32_i24_sdwa v22, v27, sext(v23) dst_sel:DWORD dst_unused:UNUSED_PAD src0_sel:BYTE_2 src1_sel:BYTE_2
	v_sub_u32_e32 v26, 0, v22
	v_cmp_gt_i16_e32 vcc, 0, v10
	v_mul_i32_i24_sdwa v23, v27, sext(v23) dst_sel:DWORD dst_unused:UNUSED_PAD src0_sel:BYTE_3 src1_sel:BYTE_3
	v_cndmask_b32_e32 v22, v22, v26, vcc
	v_sub_u32_e32 v26, 0, v23
	v_cmp_gt_i16_e32 vcc, 0, v35
	v_cndmask_b32_e32 v23, v23, v26, vcc
	v_add3_u32 v9, v9, v22, v23
	v_lshrrev_b32_e32 v22, 13, v10
	v_and_b32_e32 v22, 0xff8, v22
	v_lshrrev_b32_e32 v23, 25, v10
	global_load_sbyte v26, v23, s[12:13]
	s_nop 0
	global_load_dwordx2 v[22:23], v22, s[10:11]
	s_waitcnt vmcnt(1)
	v_and_b32_e32 v35, 1, v26
	global_load_ushort v7, v[7:8], off
	s_waitcnt vmcnt(1)
	v_mul_i32_i24_sdwa v27, v22, sext(v24) dst_sel:DWORD dst_unused:UNUSED_PAD src0_sel:BYTE_0 src1_sel:BYTE_0
	global_load_ushort v5, v[5:6], off
	v_cmp_eq_u16_e32 vcc, 0, v35
	v_sub_u32_e32 v35, 0, v27
	v_cndmask_b32_e32 v27, v35, v27, vcc
	v_mul_i32_i24_sdwa v35, v22, sext(v24) dst_sel:DWORD dst_unused:UNUSED_PAD src0_sel:BYTE_1 src1_sel:BYTE_1
	v_and_b32_e32 v36, 2, v26
	v_cmp_eq_u16_e32 vcc, 0, v36
	v_sub_u32_e32 v36, 0, v35
	v_cndmask_b32_e32 v35, v36, v35, vcc
	v_add3_u32 v9, v9, v27, v35
	v_mul_i32_i24_sdwa v27, v22, sext(v24) dst_sel:DWORD dst_unused:UNUSED_PAD src0_sel:BYTE_2 src1_sel:BYTE_2
	v_and_b32_e32 v35, 4, v26
	v_cmp_eq_u16_e32 vcc, 0, v35
	v_sub_u32_e32 v35, 0, v27
	v_mul_i32_i24_sdwa v22, v22, sext(v24) dst_sel:DWORD dst_unused:UNUSED_PAD src0_sel:BYTE_3 src1_sel:BYTE_3
	v_and_b32_e32 v24, 8, v26
	v_cndmask_b32_e32 v27, v35, v27, vcc
	v_cmp_eq_u16_e32 vcc, 0, v24
	v_sub_u32_e32 v24, 0, v22
	v_cndmask_b32_e32 v22, v24, v22, vcc
	v_add3_u32 v9, v9, v27, v22
	v_mul_i32_i24_sdwa v22, v23, sext(v25) dst_sel:DWORD dst_unused:UNUSED_PAD src0_sel:BYTE_0 src1_sel:BYTE_0
	v_and_b32_e32 v24, 16, v26
	v_cmp_eq_u16_e32 vcc, 0, v24
	v_sub_u32_e32 v24, 0, v22
	v_cndmask_b32_e32 v22, v24, v22, vcc
	v_mul_i32_i24_sdwa v24, v23, sext(v25) dst_sel:DWORD dst_unused:UNUSED_PAD src0_sel:BYTE_1 src1_sel:BYTE_1
	v_and_b32_e32 v27, 32, v26
	v_cmp_eq_u16_e32 vcc, 0, v27
	v_sub_u32_e32 v27, 0, v24
	v_cndmask_b32_e32 v24, v27, v24, vcc
	v_add3_u32 v9, v9, v22, v24
	v_mul_i32_i24_sdwa v22, v23, sext(v25) dst_sel:DWORD dst_unused:UNUSED_PAD src0_sel:BYTE_2 src1_sel:BYTE_2
	v_sub_u32_e32 v24, 0, v22
	v_cmp_lt_i16_sdwa vcc, v10, v16 src0_sel:WORD_1 src1_sel:DWORD
	v_cndmask_b32_e32 v10, v22, v24, vcc
	v_mul_i32_i24_sdwa v22, v23, sext(v25) dst_sel:DWORD dst_unused:UNUSED_PAD src0_sel:BYTE_3 src1_sel:BYTE_3
	v_sub_u32_e32 v23, 0, v22
	v_cmp_gt_i16_e32 vcc, 0, v26
	v_cndmask_b32_e32 v22, v22, v23, vcc
	v_add3_u32 v9, v9, v10, v22
	v_add3_u32 v10, v19, v21, v28
	;; [unrolled: 1-line block ×5, first 2 shown]
	v_cvt_f32_i32_e32 v9, v9
	v_lshrrev_b16_e32 v19, 4, v20
	v_and_b32_e32 v20, 15, v20
	v_cvt_f32_ubyte0_e32 v8, v19
	v_cvt_f32_ubyte0_e32 v6, v20
	v_add_f32_e32 v8, 0.5, v8
	v_add_f32_e32 v6, 0.5, v6
	v_mul_f32_e32 v8, v8, v9
	v_cmp_le_u32_e32 vcc, s6, v12
	s_or_b64 s[4:5], vcc, s[4:5]
	s_waitcnt vmcnt(1)
	v_cvt_f32_f16_e32 v7, v7
	s_waitcnt vmcnt(0)
	v_cvt_f32_f16_e32 v5, v5
	v_mul_f32_e32 v5, v7, v5
	v_cvt_f32_i32_e32 v7, v10
	v_mul_f32_e32 v5, 0x3e800000, v5
	v_fmac_f32_e32 v8, v6, v7
	v_fmac_f32_e32 v13, v5, v8
	s_andn2_b64 exec, exec, s[4:5]
	s_cbranch_execnz .LBB109_3
; %bb.4:
	s_or_b64 exec, exec, s[4:5]
.LBB109_5:
	s_or_b64 exec, exec, s[8:9]
	v_mbcnt_lo_u32_b32 v1, -1, 0
	v_mbcnt_hi_u32_b32 v2, -1, v1
	v_and_b32_e32 v1, 64, v2
	v_add_u32_e32 v3, 64, v1
	v_xor_b32_e32 v1, 32, v2
	v_cmp_lt_i32_e32 vcc, v1, v3
	v_cndmask_b32_e32 v1, v2, v1, vcc
	v_lshlrev_b32_e32 v1, 2, v1
	ds_bpermute_b32 v1, v1, v13
	v_xor_b32_e32 v4, 16, v2
	v_cmp_lt_i32_e32 vcc, v4, v3
	v_cndmask_b32_e32 v4, v2, v4, vcc
	v_lshlrev_b32_e32 v4, 2, v4
	s_waitcnt lgkmcnt(0)
	v_add_f32_e32 v1, v13, v1
	ds_bpermute_b32 v4, v4, v1
	v_xor_b32_e32 v5, 8, v2
	v_cmp_lt_i32_e32 vcc, v5, v3
	s_waitcnt lgkmcnt(0)
	v_add_f32_e32 v1, v1, v4
	v_cndmask_b32_e32 v4, v2, v5, vcc
	v_lshlrev_b32_e32 v4, 2, v4
	ds_bpermute_b32 v4, v4, v1
	v_xor_b32_e32 v5, 4, v2
	v_cmp_lt_i32_e32 vcc, v5, v3
	s_waitcnt lgkmcnt(0)
	v_add_f32_e32 v1, v1, v4
	v_cndmask_b32_e32 v4, v2, v5, vcc
	v_lshlrev_b32_e32 v4, 2, v4
	;; [unrolled: 7-line block ×3, first 2 shown]
	ds_bpermute_b32 v4, v4, v1
	v_xor_b32_e32 v5, 1, v2
	v_cmp_lt_i32_e32 vcc, v5, v3
	v_cndmask_b32_e32 v2, v2, v5, vcc
	v_lshlrev_b32_e32 v2, 2, v2
	s_waitcnt lgkmcnt(0)
	v_add_f32_e32 v1, v1, v4
	ds_bpermute_b32 v2, v2, v1
	v_cmp_eq_u32_e32 vcc, 0, v0
	s_and_b64 exec, exec, vcc
	s_cbranch_execz .LBB109_7
; %bb.6:
	s_waitcnt lgkmcnt(0)
	v_add_f32_e32 v0, v1, v2
	v_bfe_u32 v1, v0, 16, 1
	s_movk_i32 s0, 0x7fff
	v_add3_u32 v1, v0, v1, s0
	v_cmp_o_f32_e32 vcc, v0, v0
	v_mov_b32_e32 v0, 0x7fc0
	s_mul_i32 s0, s1, s7
	v_cndmask_b32_sdwa v2, v0, v1, vcc dst_sel:DWORD dst_unused:UNUSED_PAD src0_sel:DWORD src1_sel:WORD_1
	v_add_u32_e32 v0, s0, v11
	v_mov_b32_e32 v1, 0
	v_lshlrev_b64 v[0:1], 1, v[0:1]
	v_mov_b32_e32 v3, s3
	v_add_co_u32_e32 v0, vcc, s2, v0
	v_addc_co_u32_e32 v1, vcc, v3, v1, vcc
	global_store_short v[0:1], v2, off
.LBB109_7:
	s_endpgm
	.section	.rodata,"a",@progbits
	.p2align	6, 0x0
	.amdhsa_kernel _ZL13mul_mat_vec_qIN3c108BFloat16ELi256ELi8E12block_iq2_xsLi1EXadL_ZL19vec_dot_iq2_xs_q8_1PKvPK10block_q8_1RKiEEEvS4_S4_PT_iii
		.amdhsa_group_segment_fixed_size 0
		.amdhsa_private_segment_fixed_size 0
		.amdhsa_kernarg_size 296
		.amdhsa_user_sgpr_count 6
		.amdhsa_user_sgpr_private_segment_buffer 1
		.amdhsa_user_sgpr_dispatch_ptr 0
		.amdhsa_user_sgpr_queue_ptr 0
		.amdhsa_user_sgpr_kernarg_segment_ptr 1
		.amdhsa_user_sgpr_dispatch_id 0
		.amdhsa_user_sgpr_flat_scratch_init 0
		.amdhsa_user_sgpr_private_segment_size 0
		.amdhsa_uses_dynamic_stack 0
		.amdhsa_system_sgpr_private_segment_wavefront_offset 0
		.amdhsa_system_sgpr_workgroup_id_x 1
		.amdhsa_system_sgpr_workgroup_id_y 1
		.amdhsa_system_sgpr_workgroup_id_z 0
		.amdhsa_system_sgpr_workgroup_info 0
		.amdhsa_system_vgpr_workitem_id 1
		.amdhsa_next_free_vgpr 38
		.amdhsa_next_free_sgpr 16
		.amdhsa_reserve_vcc 1
		.amdhsa_reserve_flat_scratch 0
		.amdhsa_float_round_mode_32 0
		.amdhsa_float_round_mode_16_64 0
		.amdhsa_float_denorm_mode_32 3
		.amdhsa_float_denorm_mode_16_64 3
		.amdhsa_dx10_clamp 1
		.amdhsa_ieee_mode 1
		.amdhsa_fp16_overflow 0
		.amdhsa_exception_fp_ieee_invalid_op 0
		.amdhsa_exception_fp_denorm_src 0
		.amdhsa_exception_fp_ieee_div_zero 0
		.amdhsa_exception_fp_ieee_overflow 0
		.amdhsa_exception_fp_ieee_underflow 0
		.amdhsa_exception_fp_ieee_inexact 0
		.amdhsa_exception_int_div_zero 0
	.end_amdhsa_kernel
	.section	.text._ZL13mul_mat_vec_qIN3c108BFloat16ELi256ELi8E12block_iq2_xsLi1EXadL_ZL19vec_dot_iq2_xs_q8_1PKvPK10block_q8_1RKiEEEvS4_S4_PT_iii,"axG",@progbits,_ZL13mul_mat_vec_qIN3c108BFloat16ELi256ELi8E12block_iq2_xsLi1EXadL_ZL19vec_dot_iq2_xs_q8_1PKvPK10block_q8_1RKiEEEvS4_S4_PT_iii,comdat
.Lfunc_end109:
	.size	_ZL13mul_mat_vec_qIN3c108BFloat16ELi256ELi8E12block_iq2_xsLi1EXadL_ZL19vec_dot_iq2_xs_q8_1PKvPK10block_q8_1RKiEEEvS4_S4_PT_iii, .Lfunc_end109-_ZL13mul_mat_vec_qIN3c108BFloat16ELi256ELi8E12block_iq2_xsLi1EXadL_ZL19vec_dot_iq2_xs_q8_1PKvPK10block_q8_1RKiEEEvS4_S4_PT_iii
                                        ; -- End function
	.set _ZL13mul_mat_vec_qIN3c108BFloat16ELi256ELi8E12block_iq2_xsLi1EXadL_ZL19vec_dot_iq2_xs_q8_1PKvPK10block_q8_1RKiEEEvS4_S4_PT_iii.num_vgpr, 38
	.set _ZL13mul_mat_vec_qIN3c108BFloat16ELi256ELi8E12block_iq2_xsLi1EXadL_ZL19vec_dot_iq2_xs_q8_1PKvPK10block_q8_1RKiEEEvS4_S4_PT_iii.num_agpr, 0
	.set _ZL13mul_mat_vec_qIN3c108BFloat16ELi256ELi8E12block_iq2_xsLi1EXadL_ZL19vec_dot_iq2_xs_q8_1PKvPK10block_q8_1RKiEEEvS4_S4_PT_iii.numbered_sgpr, 16
	.set _ZL13mul_mat_vec_qIN3c108BFloat16ELi256ELi8E12block_iq2_xsLi1EXadL_ZL19vec_dot_iq2_xs_q8_1PKvPK10block_q8_1RKiEEEvS4_S4_PT_iii.num_named_barrier, 0
	.set _ZL13mul_mat_vec_qIN3c108BFloat16ELi256ELi8E12block_iq2_xsLi1EXadL_ZL19vec_dot_iq2_xs_q8_1PKvPK10block_q8_1RKiEEEvS4_S4_PT_iii.private_seg_size, 0
	.set _ZL13mul_mat_vec_qIN3c108BFloat16ELi256ELi8E12block_iq2_xsLi1EXadL_ZL19vec_dot_iq2_xs_q8_1PKvPK10block_q8_1RKiEEEvS4_S4_PT_iii.uses_vcc, 1
	.set _ZL13mul_mat_vec_qIN3c108BFloat16ELi256ELi8E12block_iq2_xsLi1EXadL_ZL19vec_dot_iq2_xs_q8_1PKvPK10block_q8_1RKiEEEvS4_S4_PT_iii.uses_flat_scratch, 0
	.set _ZL13mul_mat_vec_qIN3c108BFloat16ELi256ELi8E12block_iq2_xsLi1EXadL_ZL19vec_dot_iq2_xs_q8_1PKvPK10block_q8_1RKiEEEvS4_S4_PT_iii.has_dyn_sized_stack, 0
	.set _ZL13mul_mat_vec_qIN3c108BFloat16ELi256ELi8E12block_iq2_xsLi1EXadL_ZL19vec_dot_iq2_xs_q8_1PKvPK10block_q8_1RKiEEEvS4_S4_PT_iii.has_recursion, 0
	.set _ZL13mul_mat_vec_qIN3c108BFloat16ELi256ELi8E12block_iq2_xsLi1EXadL_ZL19vec_dot_iq2_xs_q8_1PKvPK10block_q8_1RKiEEEvS4_S4_PT_iii.has_indirect_call, 0
	.section	.AMDGPU.csdata,"",@progbits
; Kernel info:
; codeLenInByte = 1784
; TotalNumSgprs: 20
; NumVgprs: 38
; ScratchSize: 0
; MemoryBound: 0
; FloatMode: 240
; IeeeMode: 1
; LDSByteSize: 0 bytes/workgroup (compile time only)
; SGPRBlocks: 2
; VGPRBlocks: 9
; NumSGPRsForWavesPerEU: 20
; NumVGPRsForWavesPerEU: 38
; Occupancy: 6
; WaveLimiterHint : 0
; COMPUTE_PGM_RSRC2:SCRATCH_EN: 0
; COMPUTE_PGM_RSRC2:USER_SGPR: 6
; COMPUTE_PGM_RSRC2:TRAP_HANDLER: 0
; COMPUTE_PGM_RSRC2:TGID_X_EN: 1
; COMPUTE_PGM_RSRC2:TGID_Y_EN: 1
; COMPUTE_PGM_RSRC2:TGID_Z_EN: 0
; COMPUTE_PGM_RSRC2:TIDIG_COMP_CNT: 1
	.section	.text._ZL13mul_mat_vec_qIN3c108BFloat16ELi256ELi8E13block_iq3_xxsLi1EXadL_ZL20vec_dot_iq3_xxs_q8_1PKvPK10block_q8_1RKiEEEvS4_S4_PT_iii,"axG",@progbits,_ZL13mul_mat_vec_qIN3c108BFloat16ELi256ELi8E13block_iq3_xxsLi1EXadL_ZL20vec_dot_iq3_xxs_q8_1PKvPK10block_q8_1RKiEEEvS4_S4_PT_iii,comdat
	.globl	_ZL13mul_mat_vec_qIN3c108BFloat16ELi256ELi8E13block_iq3_xxsLi1EXadL_ZL20vec_dot_iq3_xxs_q8_1PKvPK10block_q8_1RKiEEEvS4_S4_PT_iii ; -- Begin function _ZL13mul_mat_vec_qIN3c108BFloat16ELi256ELi8E13block_iq3_xxsLi1EXadL_ZL20vec_dot_iq3_xxs_q8_1PKvPK10block_q8_1RKiEEEvS4_S4_PT_iii
	.p2align	8
	.type	_ZL13mul_mat_vec_qIN3c108BFloat16ELi256ELi8E13block_iq3_xxsLi1EXadL_ZL20vec_dot_iq3_xxs_q8_1PKvPK10block_q8_1RKiEEEvS4_S4_PT_iii,@function
_ZL13mul_mat_vec_qIN3c108BFloat16ELi256ELi8E13block_iq3_xxsLi1EXadL_ZL20vec_dot_iq3_xxs_q8_1PKvPK10block_q8_1RKiEEEvS4_S4_PT_iii: ; @_ZL13mul_mat_vec_qIN3c108BFloat16ELi256ELi8E13block_iq3_xxsLi1EXadL_ZL20vec_dot_iq3_xxs_q8_1PKvPK10block_q8_1RKiEEEvS4_S4_PT_iii
; %bb.0:
	s_load_dword s0, s[4:5], 0x34
	s_load_dwordx4 s[8:11], s[4:5], 0x18
	s_waitcnt lgkmcnt(0)
	s_lshr_b32 s0, s0, 16
	s_mul_i32 s6, s6, s0
	v_add_u32_e32 v12, s6, v1
	s_cmp_lt_u32 s7, s10
	v_cmp_gt_u32_e32 vcc, s9, v12
	s_cselect_b64 s[0:1], -1, 0
	s_and_b64 s[0:1], s[0:1], vcc
	s_and_saveexec_b64 s[2:3], s[0:1]
	s_cbranch_execz .LBB110_7
; %bb.1:
	s_load_dwordx2 s[2:3], s[4:5], 0x10
	s_ashr_i32 s0, s8, 31
	s_lshr_b32 s0, s0, 24
	s_add_i32 s0, s8, s0
	s_ashr_i32 s6, s0, 8
	v_lshrrev_b32_e32 v14, 3, v0
	v_cmp_gt_u32_e32 vcc, s6, v14
	v_mov_b32_e32 v13, 0
	s_and_saveexec_b64 s[10:11], vcc
	s_cbranch_execz .LBB110_5
; %bb.2:
	s_load_dwordx4 s[12:15], s[4:5], 0x0
	s_add_i32 s0, s8, 0x1ff
	s_ashr_i32 s1, s0, 31
	s_lshr_b32 s1, s1, 23
	s_add_i32 s0, s0, s1
	s_ashr_i32 s0, s0, 9
	v_and_b32_e32 v1, 7, v0
	s_mul_i32 s4, s7, s0
	v_mul_lo_u32 v15, v12, s6
	v_lshlrev_b32_e32 v16, 3, v1
	v_lshlrev_b32_e32 v5, 1, v1
	s_waitcnt lgkmcnt(0)
	v_mad_u64_u32 v[1:2], s[0:1], v1, 36, s[14:15]
	v_lshlrev_b32_e32 v3, 3, v14
	v_lshl_add_u32 v17, s4, 4, v3
	v_mov_b32_e32 v3, s12
	v_mov_b32_e32 v13, 0
	s_mov_b64 s[4:5], 0
	s_movk_i32 s8, 0x62
	v_mov_b32_e32 v4, s13
	v_lshlrev_b32_e32 v18, 1, v5
	s_mov_b32 s16, 0xc060c00
	v_mov_b32_e32 v19, 2
	s_getpc_b64 s[12:13]
	s_add_u32 s12, s12, _ZL11iq3xxs_grid@rel32@lo+4
	s_addc_u32 s13, s13, _ZL11iq3xxs_grid@rel32@hi+12
.LBB110_3:                              ; =>This Inner Loop Header: Depth=1
	v_add_u32_e32 v5, v15, v14
	v_mad_i64_i32 v[5:6], s[0:1], v5, s8, v[3:4]
	s_getpc_b64 s[14:15]
	s_add_u32 s14, s14, _ZL8ksigns64@rel32@lo+4
	s_addc_u32 s15, s15, _ZL8ksigns64@rel32@hi+12
	v_add_u32_e32 v14, 8, v14
	v_add_co_u32_e32 v10, vcc, v5, v16
	v_add_co_u32_e64 v21, s[0:1], v5, v18
	v_addc_co_u32_e32 v11, vcc, 0, v6, vcc
	v_addc_co_u32_e64 v22, vcc, 0, v6, s[0:1]
	global_load_dwordx2 v[8:9], v[10:11], off offset:2
	global_load_dword v20, v[21:22], off offset:66
	v_cmp_le_u32_e32 vcc, s6, v14
	s_or_b64 s[4:5], vcc, s[4:5]
	s_waitcnt vmcnt(1)
	v_lshlrev_b32_sdwa v7, v19, v8 dst_sel:DWORD dst_unused:UNUSED_PAD src0_sel:DWORD src1_sel:BYTE_0
	s_waitcnt vmcnt(0)
	v_and_b32_e32 v10, 0x7f, v20
	v_lshlrev_b32_e32 v21, 3, v10
	global_load_dword v22, v7, s[12:13]
	global_load_dwordx2 v[10:11], v21, s[14:15]
	s_waitcnt vmcnt(0)
	v_xor_b32_e32 v7, v10, v22
	v_and_b32_e32 v21, 0xff000000, v10
	v_and_b32_e32 v22, 0xff0000, v10
	;; [unrolled: 1-line block ×3, first 2 shown]
	v_sub_u32_e32 v21, v7, v21
	v_sub_u32_e32 v22, v7, v22
	;; [unrolled: 1-line block ×4, first 2 shown]
	v_perm_b32 v7, v22, v7, s16
	v_and_b32_e32 v10, 0xff000000, v21
	v_and_b32_e32 v21, 0xff00, v23
	v_or3_b32 v21, v7, v10, v21
	v_lshlrev_b32_sdwa v7, v19, v8 dst_sel:DWORD dst_unused:UNUSED_PAD src0_sel:DWORD src1_sel:BYTE_1
	global_load_dword v7, v7, s[12:13]
	v_and_b32_e32 v10, 0xff000000, v11
	v_and_b32_e32 v22, 0xff0000, v11
	v_and_b32_e32 v23, 0xff00, v11
	s_waitcnt vmcnt(0)
	v_xor_b32_e32 v7, v11, v7
	v_sub_u32_e32 v11, v7, v11
	v_sub_u32_e32 v10, v7, v10
	;; [unrolled: 1-line block ×4, first 2 shown]
	v_perm_b32 v11, v22, v11, s16
	v_and_b32_e32 v10, 0xff000000, v10
	v_and_b32_e32 v7, 0xff00, v7
	v_lshlrev_b32_sdwa v23, v19, v8 dst_sel:DWORD dst_unused:UNUSED_PAD src0_sel:DWORD src1_sel:BYTE_2
	v_or3_b32 v22, v11, v10, v7
	v_lshrrev_b32_e32 v7, 4, v20
	v_and_b32_e32 v7, 0x3f8, v7
	global_load_dword v24, v23, s[12:13]
	global_load_dwordx2 v[10:11], v7, s[14:15]
	s_waitcnt vmcnt(0)
	v_xor_b32_e32 v7, v10, v24
	v_and_b32_e32 v23, 0xff000000, v10
	v_and_b32_e32 v24, 0xff0000, v10
	;; [unrolled: 1-line block ×3, first 2 shown]
	v_sub_u32_e32 v23, v7, v23
	v_sub_u32_e32 v24, v7, v24
	;; [unrolled: 1-line block ×4, first 2 shown]
	v_perm_b32 v7, v24, v7, s16
	v_and_b32_e32 v10, 0xff000000, v23
	v_and_b32_e32 v23, 0xff00, v25
	v_or3_b32 v23, v7, v10, v23
	v_lshlrev_b32_sdwa v7, v19, v8 dst_sel:DWORD dst_unused:UNUSED_PAD src0_sel:DWORD src1_sel:BYTE_3
	global_load_dword v7, v7, s[12:13]
	v_and_b32_e32 v8, 0xff000000, v11
	v_and_b32_e32 v10, 0xff0000, v11
	v_and_b32_e32 v24, 0xff00, v11
	s_waitcnt vmcnt(0)
	v_xor_b32_e32 v7, v11, v7
	v_sub_u32_e32 v11, v7, v11
	v_sub_u32_e32 v8, v7, v8
	;; [unrolled: 1-line block ×4, first 2 shown]
	v_perm_b32 v10, v10, v11, s16
	v_and_b32_e32 v8, 0xff000000, v8
	v_and_b32_e32 v7, 0xff00, v7
	v_or3_b32 v24, v10, v8, v7
	v_lshrrev_b32_e32 v7, 11, v20
	v_lshlrev_b32_sdwa v11, v19, v9 dst_sel:DWORD dst_unused:UNUSED_PAD src0_sel:DWORD src1_sel:BYTE_0
	v_and_b32_e32 v10, 0x3f8, v7
	global_load_dword v25, v11, s[12:13]
	global_load_dwordx2 v[7:8], v10, s[14:15]
	s_waitcnt vmcnt(0)
	v_xor_b32_e32 v10, v7, v25
	v_and_b32_e32 v11, 0xff000000, v7
	v_and_b32_e32 v25, 0xff0000, v7
	;; [unrolled: 1-line block ×3, first 2 shown]
	v_sub_u32_e32 v11, v10, v11
	v_sub_u32_e32 v25, v10, v25
	;; [unrolled: 1-line block ×4, first 2 shown]
	v_perm_b32 v7, v25, v7, s16
	v_and_b32_e32 v10, 0xff000000, v11
	v_and_b32_e32 v11, 0xff00, v26
	v_or3_b32 v25, v7, v10, v11
	v_lshlrev_b32_sdwa v7, v19, v9 dst_sel:DWORD dst_unused:UNUSED_PAD src0_sel:DWORD src1_sel:BYTE_1
	global_load_dword v7, v7, s[12:13]
	v_and_b32_e32 v10, 0xff000000, v8
	v_and_b32_e32 v11, 0xff0000, v8
	;; [unrolled: 1-line block ×3, first 2 shown]
	s_waitcnt vmcnt(0)
	v_xor_b32_e32 v7, v8, v7
	v_sub_u32_e32 v8, v7, v8
	v_sub_u32_e32 v10, v7, v10
	;; [unrolled: 1-line block ×4, first 2 shown]
	v_perm_b32 v8, v11, v8, s16
	v_and_b32_e32 v10, 0xff000000, v10
	v_and_b32_e32 v7, 0xff00, v7
	v_or3_b32 v26, v8, v10, v7
	v_lshrrev_b32_e32 v7, 18, v20
	v_lshlrev_b32_sdwa v11, v19, v9 dst_sel:DWORD dst_unused:UNUSED_PAD src0_sel:DWORD src1_sel:BYTE_2
	v_and_b32_e32 v10, 0x3f8, v7
	global_load_dword v27, v11, s[12:13]
	global_load_dwordx2 v[7:8], v10, s[14:15]
	v_lshlrev_b32_sdwa v9, v19, v9 dst_sel:DWORD dst_unused:UNUSED_PAD src0_sel:DWORD src1_sel:BYTE_3
	v_lshrrev_b32_e32 v20, 28, v20
	v_cvt_f32_ubyte0_e32 v20, v20
	v_add_f32_e32 v20, 0.5, v20
	s_waitcnt vmcnt(0)
	v_xor_b32_e32 v10, v7, v27
	v_and_b32_e32 v11, 0xff000000, v7
	v_and_b32_e32 v27, 0xff0000, v7
	;; [unrolled: 1-line block ×3, first 2 shown]
	v_sub_u32_e32 v11, v10, v11
	v_sub_u32_e32 v27, v10, v27
	;; [unrolled: 1-line block ×4, first 2 shown]
	v_perm_b32 v7, v27, v7, s16
	v_and_b32_e32 v10, 0xff000000, v11
	v_and_b32_e32 v11, 0xff00, v28
	v_or3_b32 v7, v7, v10, v11
	v_mad_i64_i32 v[10:11], s[0:1], v17, 36, v[1:2]
	v_add_u32_e32 v17, 64, v17
	global_load_dwordx4 v[27:30], v[10:11], off
	s_waitcnt vmcnt(0)
	v_dot4_i32_i8 v21, v21, v28, 0
	v_dot4_i32_i8 v21, v22, v29, v21
	;; [unrolled: 1-line block ×3, first 2 shown]
	global_load_dwordx4 v[28:31], v[10:11], off offset:16
	s_waitcnt vmcnt(0)
	v_dot4_i32_i8 v21, v24, v28, v21
	global_load_dword v22, v9, s[12:13]
	global_load_ushort v23, v[5:6], off
	global_load_dword v24, v[10:11], off offset:32
	v_and_b32_e32 v6, 0xff000000, v8
	v_and_b32_e32 v9, 0xff0000, v8
	;; [unrolled: 1-line block ×3, first 2 shown]
	v_dot4_i32_i8 v21, v25, v29, v21
	v_dot4_i32_i8 v21, v26, v30, v21
	;; [unrolled: 1-line block ×3, first 2 shown]
	v_cvt_f32_f16_e32 v7, v27
	s_waitcnt vmcnt(2)
	v_xor_b32_e32 v5, v8, v22
	v_sub_u32_e32 v8, v5, v8
	v_sub_u32_e32 v6, v5, v6
	;; [unrolled: 1-line block ×4, first 2 shown]
	s_waitcnt vmcnt(1)
	v_cvt_f32_f16_e32 v11, v23
	v_and_b32_e32 v6, 0xff000000, v6
	v_and_b32_e32 v5, 0xff00, v5
	v_perm_b32 v8, v9, v8, s16
	v_or3_b32 v5, v8, v6, v5
	s_waitcnt vmcnt(0)
	v_dot4_i32_i8 v5, v5, v24, v21
	v_cvt_f32_i32_e32 v5, v5
	v_mul_f32_e32 v6, v20, v11
	v_mul_f32_e32 v6, v6, v7
	v_mul_f32_e32 v6, 0.5, v6
	v_fmac_f32_e32 v13, v6, v5
	s_andn2_b64 exec, exec, s[4:5]
	s_cbranch_execnz .LBB110_3
; %bb.4:
	s_or_b64 exec, exec, s[4:5]
.LBB110_5:
	s_or_b64 exec, exec, s[10:11]
	v_mbcnt_lo_u32_b32 v1, -1, 0
	v_mbcnt_hi_u32_b32 v2, -1, v1
	v_and_b32_e32 v1, 64, v2
	v_add_u32_e32 v3, 64, v1
	v_xor_b32_e32 v1, 32, v2
	v_cmp_lt_i32_e32 vcc, v1, v3
	v_cndmask_b32_e32 v1, v2, v1, vcc
	v_lshlrev_b32_e32 v1, 2, v1
	ds_bpermute_b32 v1, v1, v13
	v_xor_b32_e32 v4, 16, v2
	v_cmp_lt_i32_e32 vcc, v4, v3
	v_cndmask_b32_e32 v4, v2, v4, vcc
	v_lshlrev_b32_e32 v4, 2, v4
	s_waitcnt lgkmcnt(0)
	v_add_f32_e32 v1, v13, v1
	ds_bpermute_b32 v4, v4, v1
	v_xor_b32_e32 v5, 8, v2
	v_cmp_lt_i32_e32 vcc, v5, v3
	s_waitcnt lgkmcnt(0)
	v_add_f32_e32 v1, v1, v4
	v_cndmask_b32_e32 v4, v2, v5, vcc
	v_lshlrev_b32_e32 v4, 2, v4
	ds_bpermute_b32 v4, v4, v1
	v_xor_b32_e32 v5, 4, v2
	v_cmp_lt_i32_e32 vcc, v5, v3
	s_waitcnt lgkmcnt(0)
	v_add_f32_e32 v1, v1, v4
	v_cndmask_b32_e32 v4, v2, v5, vcc
	v_lshlrev_b32_e32 v4, 2, v4
	;; [unrolled: 7-line block ×3, first 2 shown]
	ds_bpermute_b32 v4, v4, v1
	v_xor_b32_e32 v5, 1, v2
	v_cmp_lt_i32_e32 vcc, v5, v3
	v_cndmask_b32_e32 v2, v2, v5, vcc
	v_lshlrev_b32_e32 v2, 2, v2
	s_waitcnt lgkmcnt(0)
	v_add_f32_e32 v1, v1, v4
	ds_bpermute_b32 v2, v2, v1
	v_cmp_eq_u32_e32 vcc, 0, v0
	s_and_b64 exec, exec, vcc
	s_cbranch_execz .LBB110_7
; %bb.6:
	s_waitcnt lgkmcnt(0)
	v_add_f32_e32 v0, v1, v2
	v_bfe_u32 v1, v0, 16, 1
	s_movk_i32 s0, 0x7fff
	v_add3_u32 v1, v0, v1, s0
	v_cmp_o_f32_e32 vcc, v0, v0
	v_mov_b32_e32 v0, 0x7fc0
	s_mul_i32 s0, s9, s7
	v_cndmask_b32_sdwa v2, v0, v1, vcc dst_sel:DWORD dst_unused:UNUSED_PAD src0_sel:DWORD src1_sel:WORD_1
	v_add_u32_e32 v0, s0, v12
	v_mov_b32_e32 v1, 0
	v_lshlrev_b64 v[0:1], 1, v[0:1]
	v_mov_b32_e32 v3, s3
	v_add_co_u32_e32 v0, vcc, s2, v0
	v_addc_co_u32_e32 v1, vcc, v3, v1, vcc
	global_store_short v[0:1], v2, off
.LBB110_7:
	s_endpgm
	.section	.rodata,"a",@progbits
	.p2align	6, 0x0
	.amdhsa_kernel _ZL13mul_mat_vec_qIN3c108BFloat16ELi256ELi8E13block_iq3_xxsLi1EXadL_ZL20vec_dot_iq3_xxs_q8_1PKvPK10block_q8_1RKiEEEvS4_S4_PT_iii
		.amdhsa_group_segment_fixed_size 0
		.amdhsa_private_segment_fixed_size 0
		.amdhsa_kernarg_size 296
		.amdhsa_user_sgpr_count 6
		.amdhsa_user_sgpr_private_segment_buffer 1
		.amdhsa_user_sgpr_dispatch_ptr 0
		.amdhsa_user_sgpr_queue_ptr 0
		.amdhsa_user_sgpr_kernarg_segment_ptr 1
		.amdhsa_user_sgpr_dispatch_id 0
		.amdhsa_user_sgpr_flat_scratch_init 0
		.amdhsa_user_sgpr_private_segment_size 0
		.amdhsa_uses_dynamic_stack 0
		.amdhsa_system_sgpr_private_segment_wavefront_offset 0
		.amdhsa_system_sgpr_workgroup_id_x 1
		.amdhsa_system_sgpr_workgroup_id_y 1
		.amdhsa_system_sgpr_workgroup_id_z 0
		.amdhsa_system_sgpr_workgroup_info 0
		.amdhsa_system_vgpr_workitem_id 1
		.amdhsa_next_free_vgpr 32
		.amdhsa_next_free_sgpr 17
		.amdhsa_reserve_vcc 1
		.amdhsa_reserve_flat_scratch 0
		.amdhsa_float_round_mode_32 0
		.amdhsa_float_round_mode_16_64 0
		.amdhsa_float_denorm_mode_32 3
		.amdhsa_float_denorm_mode_16_64 3
		.amdhsa_dx10_clamp 1
		.amdhsa_ieee_mode 1
		.amdhsa_fp16_overflow 0
		.amdhsa_exception_fp_ieee_invalid_op 0
		.amdhsa_exception_fp_denorm_src 0
		.amdhsa_exception_fp_ieee_div_zero 0
		.amdhsa_exception_fp_ieee_overflow 0
		.amdhsa_exception_fp_ieee_underflow 0
		.amdhsa_exception_fp_ieee_inexact 0
		.amdhsa_exception_int_div_zero 0
	.end_amdhsa_kernel
	.section	.text._ZL13mul_mat_vec_qIN3c108BFloat16ELi256ELi8E13block_iq3_xxsLi1EXadL_ZL20vec_dot_iq3_xxs_q8_1PKvPK10block_q8_1RKiEEEvS4_S4_PT_iii,"axG",@progbits,_ZL13mul_mat_vec_qIN3c108BFloat16ELi256ELi8E13block_iq3_xxsLi1EXadL_ZL20vec_dot_iq3_xxs_q8_1PKvPK10block_q8_1RKiEEEvS4_S4_PT_iii,comdat
.Lfunc_end110:
	.size	_ZL13mul_mat_vec_qIN3c108BFloat16ELi256ELi8E13block_iq3_xxsLi1EXadL_ZL20vec_dot_iq3_xxs_q8_1PKvPK10block_q8_1RKiEEEvS4_S4_PT_iii, .Lfunc_end110-_ZL13mul_mat_vec_qIN3c108BFloat16ELi256ELi8E13block_iq3_xxsLi1EXadL_ZL20vec_dot_iq3_xxs_q8_1PKvPK10block_q8_1RKiEEEvS4_S4_PT_iii
                                        ; -- End function
	.set _ZL13mul_mat_vec_qIN3c108BFloat16ELi256ELi8E13block_iq3_xxsLi1EXadL_ZL20vec_dot_iq3_xxs_q8_1PKvPK10block_q8_1RKiEEEvS4_S4_PT_iii.num_vgpr, 32
	.set _ZL13mul_mat_vec_qIN3c108BFloat16ELi256ELi8E13block_iq3_xxsLi1EXadL_ZL20vec_dot_iq3_xxs_q8_1PKvPK10block_q8_1RKiEEEvS4_S4_PT_iii.num_agpr, 0
	.set _ZL13mul_mat_vec_qIN3c108BFloat16ELi256ELi8E13block_iq3_xxsLi1EXadL_ZL20vec_dot_iq3_xxs_q8_1PKvPK10block_q8_1RKiEEEvS4_S4_PT_iii.numbered_sgpr, 17
	.set _ZL13mul_mat_vec_qIN3c108BFloat16ELi256ELi8E13block_iq3_xxsLi1EXadL_ZL20vec_dot_iq3_xxs_q8_1PKvPK10block_q8_1RKiEEEvS4_S4_PT_iii.num_named_barrier, 0
	.set _ZL13mul_mat_vec_qIN3c108BFloat16ELi256ELi8E13block_iq3_xxsLi1EXadL_ZL20vec_dot_iq3_xxs_q8_1PKvPK10block_q8_1RKiEEEvS4_S4_PT_iii.private_seg_size, 0
	.set _ZL13mul_mat_vec_qIN3c108BFloat16ELi256ELi8E13block_iq3_xxsLi1EXadL_ZL20vec_dot_iq3_xxs_q8_1PKvPK10block_q8_1RKiEEEvS4_S4_PT_iii.uses_vcc, 1
	.set _ZL13mul_mat_vec_qIN3c108BFloat16ELi256ELi8E13block_iq3_xxsLi1EXadL_ZL20vec_dot_iq3_xxs_q8_1PKvPK10block_q8_1RKiEEEvS4_S4_PT_iii.uses_flat_scratch, 0
	.set _ZL13mul_mat_vec_qIN3c108BFloat16ELi256ELi8E13block_iq3_xxsLi1EXadL_ZL20vec_dot_iq3_xxs_q8_1PKvPK10block_q8_1RKiEEEvS4_S4_PT_iii.has_dyn_sized_stack, 0
	.set _ZL13mul_mat_vec_qIN3c108BFloat16ELi256ELi8E13block_iq3_xxsLi1EXadL_ZL20vec_dot_iq3_xxs_q8_1PKvPK10block_q8_1RKiEEEvS4_S4_PT_iii.has_recursion, 0
	.set _ZL13mul_mat_vec_qIN3c108BFloat16ELi256ELi8E13block_iq3_xxsLi1EXadL_ZL20vec_dot_iq3_xxs_q8_1PKvPK10block_q8_1RKiEEEvS4_S4_PT_iii.has_indirect_call, 0
	.section	.AMDGPU.csdata,"",@progbits
; Kernel info:
; codeLenInByte = 1668
; TotalNumSgprs: 21
; NumVgprs: 32
; ScratchSize: 0
; MemoryBound: 0
; FloatMode: 240
; IeeeMode: 1
; LDSByteSize: 0 bytes/workgroup (compile time only)
; SGPRBlocks: 2
; VGPRBlocks: 7
; NumSGPRsForWavesPerEU: 21
; NumVGPRsForWavesPerEU: 32
; Occupancy: 8
; WaveLimiterHint : 0
; COMPUTE_PGM_RSRC2:SCRATCH_EN: 0
; COMPUTE_PGM_RSRC2:USER_SGPR: 6
; COMPUTE_PGM_RSRC2:TRAP_HANDLER: 0
; COMPUTE_PGM_RSRC2:TGID_X_EN: 1
; COMPUTE_PGM_RSRC2:TGID_Y_EN: 1
; COMPUTE_PGM_RSRC2:TGID_Z_EN: 0
; COMPUTE_PGM_RSRC2:TIDIG_COMP_CNT: 1
	.section	.text._ZL13mul_mat_vec_qIN3c108BFloat16ELi256ELi8E11block_iq1_sLi1EXadL_ZL18vec_dot_iq1_s_q8_1PKvPK10block_q8_1RKiEEEvS4_S4_PT_iii,"axG",@progbits,_ZL13mul_mat_vec_qIN3c108BFloat16ELi256ELi8E11block_iq1_sLi1EXadL_ZL18vec_dot_iq1_s_q8_1PKvPK10block_q8_1RKiEEEvS4_S4_PT_iii,comdat
	.globl	_ZL13mul_mat_vec_qIN3c108BFloat16ELi256ELi8E11block_iq1_sLi1EXadL_ZL18vec_dot_iq1_s_q8_1PKvPK10block_q8_1RKiEEEvS4_S4_PT_iii ; -- Begin function _ZL13mul_mat_vec_qIN3c108BFloat16ELi256ELi8E11block_iq1_sLi1EXadL_ZL18vec_dot_iq1_s_q8_1PKvPK10block_q8_1RKiEEEvS4_S4_PT_iii
	.p2align	8
	.type	_ZL13mul_mat_vec_qIN3c108BFloat16ELi256ELi8E11block_iq1_sLi1EXadL_ZL18vec_dot_iq1_s_q8_1PKvPK10block_q8_1RKiEEEvS4_S4_PT_iii,@function
_ZL13mul_mat_vec_qIN3c108BFloat16ELi256ELi8E11block_iq1_sLi1EXadL_ZL18vec_dot_iq1_s_q8_1PKvPK10block_q8_1RKiEEEvS4_S4_PT_iii: ; @_ZL13mul_mat_vec_qIN3c108BFloat16ELi256ELi8E11block_iq1_sLi1EXadL_ZL18vec_dot_iq1_s_q8_1PKvPK10block_q8_1RKiEEEvS4_S4_PT_iii
; %bb.0:
	s_load_dword s8, s[4:5], 0x34
	s_load_dwordx4 s[0:3], s[4:5], 0x18
	s_waitcnt lgkmcnt(0)
	s_lshr_b32 s3, s8, 16
	s_mul_i32 s6, s6, s3
	v_add_u32_e32 v9, s6, v1
	s_cmp_lt_u32 s7, s2
	v_cmp_gt_u32_e32 vcc, s1, v9
	s_cselect_b64 s[2:3], -1, 0
	s_and_b64 s[2:3], s[2:3], vcc
	s_and_saveexec_b64 s[8:9], s[2:3]
	s_cbranch_execz .LBB111_7
; %bb.1:
	s_load_dwordx2 s[2:3], s[4:5], 0x10
	s_ashr_i32 s6, s0, 31
	s_lshr_b32 s6, s6, 24
	s_add_i32 s6, s0, s6
	s_ashr_i32 s6, s6, 8
	v_lshrrev_b32_e32 v11, 3, v0
	v_cmp_gt_u32_e32 vcc, s6, v11
	v_mov_b32_e32 v10, 0
	s_and_saveexec_b64 s[12:13], vcc
	s_cbranch_execz .LBB111_5
; %bb.2:
	s_load_dwordx4 s[8:11], s[4:5], 0x0
	s_addk_i32 s0, 0x1ff
	s_ashr_i32 s4, s0, 31
	s_lshr_b32 s4, s4, 23
	v_and_b32_e32 v1, 7, v0
	s_add_i32 s0, s0, s4
	v_mul_lo_u32 v12, v9, s6
	s_waitcnt lgkmcnt(0)
	v_mad_u64_u32 v[5:6], s[4:5], v1, 36, s[10:11]
	s_ashr_i32 s0, s0, 9
	s_mul_i32 s0, s7, s0
	v_lshlrev_b32_e32 v2, 1, v1
	v_lshlrev_b32_e32 v3, 3, v11
	v_mov_b32_e32 v10, 0
	v_lshl_add_u32 v13, s0, 4, v3
	s_mov_b64 s[4:5], 0
	v_lshlrev_b32_e32 v14, 1, v2
	v_lshlrev_b32_e32 v15, 1, v1
	s_movk_i32 s0, 0x700
.LBB111_3:                              ; =>This Inner Loop Header: Depth=1
	v_add_u32_e32 v1, v12, v11
	v_mad_i64_i32 v[7:8], s[10:11], v1, 50, s[8:9]
	v_mad_i64_i32 v[21:22], s[10:11], v13, 36, v[5:6]
	v_add_co_u32_e32 v1, vcc, v7, v14
	v_addc_co_u32_e32 v2, vcc, 0, v8, vcc
	v_add_co_u32_e32 v3, vcc, v7, v15
	v_addc_co_u32_e32 v4, vcc, 0, v8, vcc
	global_load_dword v17, v[1:2], off offset:2
	global_load_ushort v16, v[3:4], off offset:34
	s_nop 0
	global_load_dwordx4 v[1:4], v[21:22], off
	global_load_ushort v23, v[7:8], off
	s_getpc_b64 s[10:11]
	s_add_u32 s10, s10, _ZL13iq1s_grid_gpu@rel32@lo+4
	s_addc_u32 s11, s11, _ZL13iq1s_grid_gpu@rel32@hi+12
	v_add_u32_e32 v11, 8, v11
	v_cmp_le_u32_e32 vcc, s6, v11
	v_add_u32_e32 v13, 64, v13
	s_or_b64 s[4:5], vcc, s[4:5]
	s_waitcnt vmcnt(3)
	v_and_b32_e32 v7, 0xff, v17
	s_waitcnt vmcnt(2)
	v_lshlrev_b32_e32 v8, 8, v16
	v_bfe_u32 v18, v17, 8, 8
	v_lshlrev_b32_e32 v19, 5, v16
	v_bfe_u32 v20, v17, 16, 8
	v_lshlrev_b32_e32 v24, 2, v16
	v_lshrrev_b32_e32 v17, 24, v17
	v_lshrrev_b32_e32 v25, 1, v16
	v_and_or_b32 v7, v8, s0, v7
	v_and_or_b32 v8, v19, s0, v18
	;; [unrolled: 1-line block ×4, first 2 shown]
	global_load_dwordx4 v[17:20], v[21:22], off offset:16
	v_lshlrev_b32_e32 v7, 3, v7
	v_lshlrev_b32_e32 v8, 3, v8
	;; [unrolled: 1-line block ×4, first 2 shown]
	global_load_dword v26, v7, s[10:11]
	global_load_dword v27, v8, s[10:11]
                                        ; kill: killed $vgpr8
                                        ; kill: killed $vgpr7
	s_nop 0
	global_load_dword v7, v24, s[10:11]
	global_load_dword v8, v25, s[10:11]
                                        ; kill: killed $vgpr25
                                        ; kill: killed $sgpr10_sgpr11
                                        ; kill: killed $vgpr24
	s_nop 0
	global_load_dword v21, v[21:22], off offset:32
	s_waitcnt vmcnt(4)
	v_and_b32_e32 v22, 0xf0f0f0f, v26
	v_lshrrev_b32_e32 v24, 4, v26
	v_and_b32_e32 v24, 0xf0f0f0f, v24
	v_dot4_i32_i8 v2, v22, v2, 0
	v_dot4_i32_i8 v2, v24, v3, v2
	s_waitcnt vmcnt(3)
	v_and_b32_e32 v3, 0xf0f0f0f, v27
	v_dot4_i32_i8 v2, v3, v4, v2
	v_lshrrev_b32_e32 v4, 4, v27
	v_and_b32_e32 v4, 0xf0f0f0f, v4
	v_dot4_i32_i8 v2, v4, v17, v2
	s_waitcnt vmcnt(2)
	v_and_b32_e32 v4, 0xf0f0f0f, v7
	v_lshrrev_b32_e32 v7, 4, v7
	v_dot4_i32_i8 v2, v4, v18, v2
	v_and_b32_e32 v7, 0xf0f0f0f, v7
	v_dot4_i32_i8 v2, v7, v19, v2
	s_waitcnt vmcnt(1)
	v_and_b32_e32 v7, 0xf0f0f0f, v8
	v_dot4_i32_i8 v2, v7, v20, v2
	v_and_b32_e32 v7, 0x8000, v16
	v_lshrrev_b32_e32 v8, 4, v8
	v_cvt_f32_u32_e32 v7, v7
	v_and_b32_e32 v8, 0xf0f0f0f, v8
	v_cvt_f32_f16_sdwa v4, v1 dst_sel:DWORD dst_unused:UNUSED_PAD src0_sel:WORD_1
	s_waitcnt vmcnt(0)
	v_dot4_i32_i8 v2, v8, v21, v2
	v_cvt_f32_f16_e32 v17, v23
	v_cvt_f32_i32_e32 v2, v2
	v_mov_b32_e32 v3, 0xbf600000
	v_lshrrev_b32_e32 v16, 11, v16
	v_and_or_b32 v16, v16, 14, 1
	v_fmac_f32_e32 v3, 0xb7000000, v7
	v_cvt_f32_ubyte0_e32 v16, v16
	v_mul_f32_e32 v3, v3, v4
	v_mul_f32_e32 v8, v16, v17
	v_fma_mix_f32 v1, v2, v1, v3 op_sel_hi:[0,1,0]
	v_fmac_f32_e32 v10, v8, v1
	s_andn2_b64 exec, exec, s[4:5]
	s_cbranch_execnz .LBB111_3
; %bb.4:
	s_or_b64 exec, exec, s[4:5]
.LBB111_5:
	s_or_b64 exec, exec, s[12:13]
	v_mbcnt_lo_u32_b32 v1, -1, 0
	v_mbcnt_hi_u32_b32 v2, -1, v1
	v_and_b32_e32 v1, 64, v2
	v_add_u32_e32 v3, 64, v1
	v_xor_b32_e32 v1, 32, v2
	v_cmp_lt_i32_e32 vcc, v1, v3
	v_cndmask_b32_e32 v1, v2, v1, vcc
	v_lshlrev_b32_e32 v1, 2, v1
	ds_bpermute_b32 v1, v1, v10
	v_xor_b32_e32 v4, 16, v2
	v_cmp_lt_i32_e32 vcc, v4, v3
	v_cndmask_b32_e32 v4, v2, v4, vcc
	v_lshlrev_b32_e32 v4, 2, v4
	s_waitcnt lgkmcnt(0)
	v_add_f32_e32 v1, v10, v1
	ds_bpermute_b32 v4, v4, v1
	v_xor_b32_e32 v5, 8, v2
	v_cmp_lt_i32_e32 vcc, v5, v3
	s_waitcnt lgkmcnt(0)
	v_add_f32_e32 v1, v1, v4
	v_cndmask_b32_e32 v4, v2, v5, vcc
	v_lshlrev_b32_e32 v4, 2, v4
	ds_bpermute_b32 v4, v4, v1
	v_xor_b32_e32 v5, 4, v2
	v_cmp_lt_i32_e32 vcc, v5, v3
	s_waitcnt lgkmcnt(0)
	v_add_f32_e32 v1, v1, v4
	v_cndmask_b32_e32 v4, v2, v5, vcc
	v_lshlrev_b32_e32 v4, 2, v4
	;; [unrolled: 7-line block ×3, first 2 shown]
	ds_bpermute_b32 v4, v4, v1
	v_xor_b32_e32 v5, 1, v2
	v_cmp_lt_i32_e32 vcc, v5, v3
	v_cndmask_b32_e32 v2, v2, v5, vcc
	v_lshlrev_b32_e32 v2, 2, v2
	s_waitcnt lgkmcnt(0)
	v_add_f32_e32 v1, v1, v4
	ds_bpermute_b32 v2, v2, v1
	v_cmp_eq_u32_e32 vcc, 0, v0
	s_and_b64 exec, exec, vcc
	s_cbranch_execz .LBB111_7
; %bb.6:
	s_waitcnt lgkmcnt(0)
	v_add_f32_e32 v0, v1, v2
	v_bfe_u32 v1, v0, 16, 1
	s_movk_i32 s0, 0x7fff
	v_add3_u32 v1, v0, v1, s0
	v_cmp_o_f32_e32 vcc, v0, v0
	v_mov_b32_e32 v0, 0x7fc0
	s_mul_i32 s0, s1, s7
	v_cndmask_b32_sdwa v2, v0, v1, vcc dst_sel:DWORD dst_unused:UNUSED_PAD src0_sel:DWORD src1_sel:WORD_1
	v_add_u32_e32 v0, s0, v9
	v_mov_b32_e32 v1, 0
	v_lshlrev_b64 v[0:1], 1, v[0:1]
	v_mov_b32_e32 v3, s3
	v_add_co_u32_e32 v0, vcc, s2, v0
	v_addc_co_u32_e32 v1, vcc, v3, v1, vcc
	global_store_short v[0:1], v2, off
.LBB111_7:
	s_endpgm
	.section	.rodata,"a",@progbits
	.p2align	6, 0x0
	.amdhsa_kernel _ZL13mul_mat_vec_qIN3c108BFloat16ELi256ELi8E11block_iq1_sLi1EXadL_ZL18vec_dot_iq1_s_q8_1PKvPK10block_q8_1RKiEEEvS4_S4_PT_iii
		.amdhsa_group_segment_fixed_size 0
		.amdhsa_private_segment_fixed_size 0
		.amdhsa_kernarg_size 296
		.amdhsa_user_sgpr_count 6
		.amdhsa_user_sgpr_private_segment_buffer 1
		.amdhsa_user_sgpr_dispatch_ptr 0
		.amdhsa_user_sgpr_queue_ptr 0
		.amdhsa_user_sgpr_kernarg_segment_ptr 1
		.amdhsa_user_sgpr_dispatch_id 0
		.amdhsa_user_sgpr_flat_scratch_init 0
		.amdhsa_user_sgpr_private_segment_size 0
		.amdhsa_uses_dynamic_stack 0
		.amdhsa_system_sgpr_private_segment_wavefront_offset 0
		.amdhsa_system_sgpr_workgroup_id_x 1
		.amdhsa_system_sgpr_workgroup_id_y 1
		.amdhsa_system_sgpr_workgroup_id_z 0
		.amdhsa_system_sgpr_workgroup_info 0
		.amdhsa_system_vgpr_workitem_id 1
		.amdhsa_next_free_vgpr 28
		.amdhsa_next_free_sgpr 14
		.amdhsa_reserve_vcc 1
		.amdhsa_reserve_flat_scratch 0
		.amdhsa_float_round_mode_32 0
		.amdhsa_float_round_mode_16_64 0
		.amdhsa_float_denorm_mode_32 3
		.amdhsa_float_denorm_mode_16_64 3
		.amdhsa_dx10_clamp 1
		.amdhsa_ieee_mode 1
		.amdhsa_fp16_overflow 0
		.amdhsa_exception_fp_ieee_invalid_op 0
		.amdhsa_exception_fp_denorm_src 0
		.amdhsa_exception_fp_ieee_div_zero 0
		.amdhsa_exception_fp_ieee_overflow 0
		.amdhsa_exception_fp_ieee_underflow 0
		.amdhsa_exception_fp_ieee_inexact 0
		.amdhsa_exception_int_div_zero 0
	.end_amdhsa_kernel
	.section	.text._ZL13mul_mat_vec_qIN3c108BFloat16ELi256ELi8E11block_iq1_sLi1EXadL_ZL18vec_dot_iq1_s_q8_1PKvPK10block_q8_1RKiEEEvS4_S4_PT_iii,"axG",@progbits,_ZL13mul_mat_vec_qIN3c108BFloat16ELi256ELi8E11block_iq1_sLi1EXadL_ZL18vec_dot_iq1_s_q8_1PKvPK10block_q8_1RKiEEEvS4_S4_PT_iii,comdat
.Lfunc_end111:
	.size	_ZL13mul_mat_vec_qIN3c108BFloat16ELi256ELi8E11block_iq1_sLi1EXadL_ZL18vec_dot_iq1_s_q8_1PKvPK10block_q8_1RKiEEEvS4_S4_PT_iii, .Lfunc_end111-_ZL13mul_mat_vec_qIN3c108BFloat16ELi256ELi8E11block_iq1_sLi1EXadL_ZL18vec_dot_iq1_s_q8_1PKvPK10block_q8_1RKiEEEvS4_S4_PT_iii
                                        ; -- End function
	.set _ZL13mul_mat_vec_qIN3c108BFloat16ELi256ELi8E11block_iq1_sLi1EXadL_ZL18vec_dot_iq1_s_q8_1PKvPK10block_q8_1RKiEEEvS4_S4_PT_iii.num_vgpr, 28
	.set _ZL13mul_mat_vec_qIN3c108BFloat16ELi256ELi8E11block_iq1_sLi1EXadL_ZL18vec_dot_iq1_s_q8_1PKvPK10block_q8_1RKiEEEvS4_S4_PT_iii.num_agpr, 0
	.set _ZL13mul_mat_vec_qIN3c108BFloat16ELi256ELi8E11block_iq1_sLi1EXadL_ZL18vec_dot_iq1_s_q8_1PKvPK10block_q8_1RKiEEEvS4_S4_PT_iii.numbered_sgpr, 14
	.set _ZL13mul_mat_vec_qIN3c108BFloat16ELi256ELi8E11block_iq1_sLi1EXadL_ZL18vec_dot_iq1_s_q8_1PKvPK10block_q8_1RKiEEEvS4_S4_PT_iii.num_named_barrier, 0
	.set _ZL13mul_mat_vec_qIN3c108BFloat16ELi256ELi8E11block_iq1_sLi1EXadL_ZL18vec_dot_iq1_s_q8_1PKvPK10block_q8_1RKiEEEvS4_S4_PT_iii.private_seg_size, 0
	.set _ZL13mul_mat_vec_qIN3c108BFloat16ELi256ELi8E11block_iq1_sLi1EXadL_ZL18vec_dot_iq1_s_q8_1PKvPK10block_q8_1RKiEEEvS4_S4_PT_iii.uses_vcc, 1
	.set _ZL13mul_mat_vec_qIN3c108BFloat16ELi256ELi8E11block_iq1_sLi1EXadL_ZL18vec_dot_iq1_s_q8_1PKvPK10block_q8_1RKiEEEvS4_S4_PT_iii.uses_flat_scratch, 0
	.set _ZL13mul_mat_vec_qIN3c108BFloat16ELi256ELi8E11block_iq1_sLi1EXadL_ZL18vec_dot_iq1_s_q8_1PKvPK10block_q8_1RKiEEEvS4_S4_PT_iii.has_dyn_sized_stack, 0
	.set _ZL13mul_mat_vec_qIN3c108BFloat16ELi256ELi8E11block_iq1_sLi1EXadL_ZL18vec_dot_iq1_s_q8_1PKvPK10block_q8_1RKiEEEvS4_S4_PT_iii.has_recursion, 0
	.set _ZL13mul_mat_vec_qIN3c108BFloat16ELi256ELi8E11block_iq1_sLi1EXadL_ZL18vec_dot_iq1_s_q8_1PKvPK10block_q8_1RKiEEEvS4_S4_PT_iii.has_indirect_call, 0
	.section	.AMDGPU.csdata,"",@progbits
; Kernel info:
; codeLenInByte = 1028
; TotalNumSgprs: 18
; NumVgprs: 28
; ScratchSize: 0
; MemoryBound: 0
; FloatMode: 240
; IeeeMode: 1
; LDSByteSize: 0 bytes/workgroup (compile time only)
; SGPRBlocks: 2
; VGPRBlocks: 6
; NumSGPRsForWavesPerEU: 18
; NumVGPRsForWavesPerEU: 28
; Occupancy: 9
; WaveLimiterHint : 0
; COMPUTE_PGM_RSRC2:SCRATCH_EN: 0
; COMPUTE_PGM_RSRC2:USER_SGPR: 6
; COMPUTE_PGM_RSRC2:TRAP_HANDLER: 0
; COMPUTE_PGM_RSRC2:TGID_X_EN: 1
; COMPUTE_PGM_RSRC2:TGID_Y_EN: 1
; COMPUTE_PGM_RSRC2:TGID_Z_EN: 0
; COMPUTE_PGM_RSRC2:TIDIG_COMP_CNT: 1
	.section	.text._ZL13mul_mat_vec_qIN3c108BFloat16ELi32ELi4E12block_iq4_nlLi2EXadL_ZL19vec_dot_iq4_nl_q8_1PKvPK10block_q8_1RKiEEEvS4_S4_PT_iii,"axG",@progbits,_ZL13mul_mat_vec_qIN3c108BFloat16ELi32ELi4E12block_iq4_nlLi2EXadL_ZL19vec_dot_iq4_nl_q8_1PKvPK10block_q8_1RKiEEEvS4_S4_PT_iii,comdat
	.globl	_ZL13mul_mat_vec_qIN3c108BFloat16ELi32ELi4E12block_iq4_nlLi2EXadL_ZL19vec_dot_iq4_nl_q8_1PKvPK10block_q8_1RKiEEEvS4_S4_PT_iii ; -- Begin function _ZL13mul_mat_vec_qIN3c108BFloat16ELi32ELi4E12block_iq4_nlLi2EXadL_ZL19vec_dot_iq4_nl_q8_1PKvPK10block_q8_1RKiEEEvS4_S4_PT_iii
	.p2align	8
	.type	_ZL13mul_mat_vec_qIN3c108BFloat16ELi32ELi4E12block_iq4_nlLi2EXadL_ZL19vec_dot_iq4_nl_q8_1PKvPK10block_q8_1RKiEEEvS4_S4_PT_iii,@function
_ZL13mul_mat_vec_qIN3c108BFloat16ELi32ELi4E12block_iq4_nlLi2EXadL_ZL19vec_dot_iq4_nl_q8_1PKvPK10block_q8_1RKiEEEvS4_S4_PT_iii: ; @_ZL13mul_mat_vec_qIN3c108BFloat16ELi32ELi4E12block_iq4_nlLi2EXadL_ZL19vec_dot_iq4_nl_q8_1PKvPK10block_q8_1RKiEEEvS4_S4_PT_iii
; %bb.0:
	s_load_dword s8, s[4:5], 0x34
	s_load_dwordx4 s[0:3], s[4:5], 0x18
	s_waitcnt lgkmcnt(0)
	s_lshr_b32 s3, s8, 16
	s_mul_i32 s6, s6, s3
	v_add_u32_e32 v5, s6, v1
	s_cmp_lt_u32 s7, s2
	v_cmp_gt_u32_e32 vcc, s1, v5
	s_cselect_b64 s[2:3], -1, 0
	s_and_b64 s[2:3], s[2:3], vcc
	s_and_saveexec_b64 s[8:9], s[2:3]
	s_cbranch_execz .LBB112_7
; %bb.1:
	s_load_dwordx2 s[2:3], s[4:5], 0x10
	s_ashr_i32 s6, s0, 31
	s_lshr_b32 s6, s6, 27
	s_add_i32 s6, s0, s6
	s_ashr_i32 s6, s6, 5
	v_lshrrev_b32_e32 v7, 1, v0
	v_cmp_gt_u32_e32 vcc, s6, v7
	v_mov_b32_e32 v6, 0
	s_and_saveexec_b64 s[12:13], vcc
	s_cbranch_execz .LBB112_5
; %bb.2:
	s_addk_i32 s0, 0x1ff
	s_load_dwordx4 s[8:11], s[4:5], 0x0
	s_ashr_i32 s4, s0, 31
	s_lshr_b32 s4, s4, 23
	s_add_i32 s0, s0, s4
	v_mul_lo_u32 v8, v5, s6
	v_lshlrev_b32_e32 v1, 1, v0
	s_ashr_i32 s0, s0, 9
	v_and_b32_e32 v1, 2, v1
	s_mul_i32 s0, s7, s0
	v_lshlrev_b32_e32 v2, 1, v1
	s_lshl_b32 s0, s0, 4
	v_mov_b32_e32 v6, 0
	s_mov_b64 s[4:5], 0
	v_lshlrev_b32_e32 v9, 1, v2
	v_lshlrev_b32_e32 v10, 2, v1
.LBB112_3:                              ; =>This Inner Loop Header: Depth=1
	v_add_u32_e32 v1, v8, v7
	s_waitcnt lgkmcnt(0)
	v_mad_i64_i32 v[3:4], s[14:15], v1, 18, s[8:9]
	v_add_u32_e32 v2, s0, v7
	v_mad_i64_i32 v[1:2], s[14:15], v2, 36, s[10:11]
	v_add_co_u32_e32 v11, vcc, v3, v9
	v_addc_co_u32_e32 v12, vcc, 0, v4, vcc
	global_load_dwordx2 v[11:12], v[11:12], off offset:2
	s_getpc_b64 s[14:15]
	s_add_u32 s14, s14, _ZL13kvalues_iq4nl@rel32@lo+4
	s_addc_u32 s15, s15, _ZL13kvalues_iq4nl@rel32@hi+12
	v_add_co_u32_e32 v13, vcc, v1, v10
	v_addc_co_u32_e32 v14, vcc, 0, v2, vcc
	v_add_u32_e32 v7, 32, v7
	v_cmp_le_u32_e32 vcc, s6, v7
	s_or_b64 s[4:5], vcc, s[4:5]
	s_waitcnt vmcnt(0)
	v_and_b32_e32 v16, 15, v11
	v_bfe_u32 v17, v11, 8, 4
	v_bfe_u32 v18, v11, 16, 4
	;; [unrolled: 1-line block ×3, first 2 shown]
	global_load_ubyte v16, v16, s[14:15]
	s_nop 0
	global_load_ubyte v17, v17, s[14:15]
	s_nop 0
	global_load_ubyte v19, v18, s[14:15]
	global_load_ubyte v20, v15, s[14:15]
	s_waitcnt vmcnt(1)
	v_lshlrev_b32_e32 v18, 16, v19
	s_waitcnt vmcnt(0)
	v_lshlrev_b32_e32 v15, 24, v20
	v_lshl_or_b32 v16, v17, 8, v16
	v_or3_b32 v17, v16, v18, v15
	v_bfe_u32 v15, v11, 12, 4
	v_bfe_u32 v16, v11, 20, 4
	v_lshrrev_b32_e32 v18, 28, v11
	v_bfe_u32 v11, v11, 4, 4
	global_load_ubyte v19, v11, s[14:15]
	global_load_ubyte v20, v15, s[14:15]
	;; [unrolled: 1-line block ×4, first 2 shown]
	v_bfe_u32 v18, v12, 8, 4
	global_load_ubyte v18, v18, s[14:15]
	s_waitcnt vmcnt(3)
	v_lshl_or_b32 v16, v20, 8, v19
	s_waitcnt vmcnt(2)
	v_lshlrev_b32_e32 v15, 16, v21
	s_waitcnt vmcnt(1)
	v_lshlrev_b32_e32 v11, 24, v22
	v_or3_b32 v11, v16, v15, v11
	global_load_dwordx2 v[15:16], v[13:14], off offset:4
	v_bfe_u32 v19, v12, 16, 4
	global_load_dwordx2 v[13:14], v[13:14], off offset:20
	s_waitcnt vmcnt(1)
	v_dot4_i32_i8 v15, v17, v15, 0
	v_and_b32_e32 v17, 15, v12
	s_waitcnt vmcnt(0)
	v_dot4_i32_i8 v11, v11, v13, 0
	v_bfe_u32 v13, v12, 24, 4
	global_load_ubyte v17, v17, s[14:15]
	s_nop 0
	global_load_ubyte v20, v19, s[14:15]
	global_load_ubyte v21, v13, s[14:15]
	s_waitcnt vmcnt(1)
	v_lshlrev_b32_e32 v19, 16, v20
	s_waitcnt vmcnt(0)
	v_lshlrev_b32_e32 v13, 24, v21
	v_lshl_or_b32 v17, v18, 8, v17
	v_or3_b32 v13, v17, v19, v13
	v_bfe_u32 v17, v12, 12, 4
	v_bfe_u32 v18, v12, 20, 4
	v_lshrrev_b32_e32 v19, 28, v12
	v_bfe_u32 v12, v12, 4, 4
	global_load_ubyte v20, v12, s[14:15]
	global_load_ubyte v21, v17, s[14:15]
	;; [unrolled: 1-line block ×4, first 2 shown]
	v_dot4_i32_i8 v13, v13, v16, v15
	global_load_ushort v3, v[3:4], off
	s_waitcnt vmcnt(3)
	v_lshl_or_b32 v18, v21, 8, v20
	global_load_dword v1, v[1:2], off
	s_waitcnt vmcnt(2)
	v_lshlrev_b32_e32 v12, 24, v23
	v_lshlrev_b32_e32 v17, 16, v22
	v_or3_b32 v12, v18, v17, v12
	v_dot4_i32_i8 v11, v12, v14, v11
	s_waitcnt vmcnt(1)
	v_cvt_f32_f16_e32 v3, v3
	v_add_u32_e32 v2, v11, v13
	v_cvt_f32_i32_e32 v2, v2
	s_waitcnt vmcnt(0)
	v_cvt_f32_f16_e32 v1, v1
	v_mul_f32_e32 v1, v3, v1
	v_fmac_f32_e32 v6, v1, v2
	s_andn2_b64 exec, exec, s[4:5]
	s_cbranch_execnz .LBB112_3
; %bb.4:
	s_or_b64 exec, exec, s[4:5]
.LBB112_5:
	s_or_b64 exec, exec, s[12:13]
	v_mbcnt_lo_u32_b32 v1, -1, 0
	v_mbcnt_hi_u32_b32 v2, -1, v1
	v_and_b32_e32 v1, 64, v2
	v_add_u32_e32 v3, 64, v1
	v_xor_b32_e32 v1, 32, v2
	v_cmp_lt_i32_e32 vcc, v1, v3
	v_cndmask_b32_e32 v1, v2, v1, vcc
	v_lshlrev_b32_e32 v1, 2, v1
	ds_bpermute_b32 v1, v1, v6
	v_xor_b32_e32 v4, 16, v2
	v_cmp_lt_i32_e32 vcc, v4, v3
	v_cndmask_b32_e32 v4, v2, v4, vcc
	v_lshlrev_b32_e32 v4, 2, v4
	s_waitcnt lgkmcnt(0)
	v_add_f32_e32 v1, v6, v1
	ds_bpermute_b32 v4, v4, v1
	v_xor_b32_e32 v6, 8, v2
	v_cmp_lt_i32_e32 vcc, v6, v3
	s_waitcnt lgkmcnt(0)
	v_add_f32_e32 v1, v1, v4
	v_cndmask_b32_e32 v4, v2, v6, vcc
	v_lshlrev_b32_e32 v4, 2, v4
	ds_bpermute_b32 v4, v4, v1
	v_xor_b32_e32 v6, 4, v2
	v_cmp_lt_i32_e32 vcc, v6, v3
	s_waitcnt lgkmcnt(0)
	v_add_f32_e32 v1, v1, v4
	v_cndmask_b32_e32 v4, v2, v6, vcc
	v_lshlrev_b32_e32 v4, 2, v4
	;; [unrolled: 7-line block ×3, first 2 shown]
	ds_bpermute_b32 v4, v4, v1
	v_xor_b32_e32 v6, 1, v2
	v_cmp_lt_i32_e32 vcc, v6, v3
	v_cndmask_b32_e32 v2, v2, v6, vcc
	v_lshlrev_b32_e32 v2, 2, v2
	s_waitcnt lgkmcnt(0)
	v_add_f32_e32 v1, v1, v4
	ds_bpermute_b32 v2, v2, v1
	v_cmp_eq_u32_e32 vcc, 0, v0
	s_and_b64 exec, exec, vcc
	s_cbranch_execz .LBB112_7
; %bb.6:
	s_waitcnt lgkmcnt(0)
	v_add_f32_e32 v0, v1, v2
	v_bfe_u32 v1, v0, 16, 1
	s_movk_i32 s0, 0x7fff
	v_add3_u32 v1, v0, v1, s0
	v_cmp_o_f32_e32 vcc, v0, v0
	v_mov_b32_e32 v0, 0x7fc0
	s_mul_i32 s0, s1, s7
	v_cndmask_b32_sdwa v2, v0, v1, vcc dst_sel:DWORD dst_unused:UNUSED_PAD src0_sel:DWORD src1_sel:WORD_1
	v_add_u32_e32 v0, s0, v5
	v_mov_b32_e32 v1, 0
	v_lshlrev_b64 v[0:1], 1, v[0:1]
	v_mov_b32_e32 v3, s3
	v_add_co_u32_e32 v0, vcc, s2, v0
	v_addc_co_u32_e32 v1, vcc, v3, v1, vcc
	global_store_short v[0:1], v2, off
.LBB112_7:
	s_endpgm
	.section	.rodata,"a",@progbits
	.p2align	6, 0x0
	.amdhsa_kernel _ZL13mul_mat_vec_qIN3c108BFloat16ELi32ELi4E12block_iq4_nlLi2EXadL_ZL19vec_dot_iq4_nl_q8_1PKvPK10block_q8_1RKiEEEvS4_S4_PT_iii
		.amdhsa_group_segment_fixed_size 0
		.amdhsa_private_segment_fixed_size 0
		.amdhsa_kernarg_size 296
		.amdhsa_user_sgpr_count 6
		.amdhsa_user_sgpr_private_segment_buffer 1
		.amdhsa_user_sgpr_dispatch_ptr 0
		.amdhsa_user_sgpr_queue_ptr 0
		.amdhsa_user_sgpr_kernarg_segment_ptr 1
		.amdhsa_user_sgpr_dispatch_id 0
		.amdhsa_user_sgpr_flat_scratch_init 0
		.amdhsa_user_sgpr_private_segment_size 0
		.amdhsa_uses_dynamic_stack 0
		.amdhsa_system_sgpr_private_segment_wavefront_offset 0
		.amdhsa_system_sgpr_workgroup_id_x 1
		.amdhsa_system_sgpr_workgroup_id_y 1
		.amdhsa_system_sgpr_workgroup_id_z 0
		.amdhsa_system_sgpr_workgroup_info 0
		.amdhsa_system_vgpr_workitem_id 1
		.amdhsa_next_free_vgpr 24
		.amdhsa_next_free_sgpr 16
		.amdhsa_reserve_vcc 1
		.amdhsa_reserve_flat_scratch 0
		.amdhsa_float_round_mode_32 0
		.amdhsa_float_round_mode_16_64 0
		.amdhsa_float_denorm_mode_32 3
		.amdhsa_float_denorm_mode_16_64 3
		.amdhsa_dx10_clamp 1
		.amdhsa_ieee_mode 1
		.amdhsa_fp16_overflow 0
		.amdhsa_exception_fp_ieee_invalid_op 0
		.amdhsa_exception_fp_denorm_src 0
		.amdhsa_exception_fp_ieee_div_zero 0
		.amdhsa_exception_fp_ieee_overflow 0
		.amdhsa_exception_fp_ieee_underflow 0
		.amdhsa_exception_fp_ieee_inexact 0
		.amdhsa_exception_int_div_zero 0
	.end_amdhsa_kernel
	.section	.text._ZL13mul_mat_vec_qIN3c108BFloat16ELi32ELi4E12block_iq4_nlLi2EXadL_ZL19vec_dot_iq4_nl_q8_1PKvPK10block_q8_1RKiEEEvS4_S4_PT_iii,"axG",@progbits,_ZL13mul_mat_vec_qIN3c108BFloat16ELi32ELi4E12block_iq4_nlLi2EXadL_ZL19vec_dot_iq4_nl_q8_1PKvPK10block_q8_1RKiEEEvS4_S4_PT_iii,comdat
.Lfunc_end112:
	.size	_ZL13mul_mat_vec_qIN3c108BFloat16ELi32ELi4E12block_iq4_nlLi2EXadL_ZL19vec_dot_iq4_nl_q8_1PKvPK10block_q8_1RKiEEEvS4_S4_PT_iii, .Lfunc_end112-_ZL13mul_mat_vec_qIN3c108BFloat16ELi32ELi4E12block_iq4_nlLi2EXadL_ZL19vec_dot_iq4_nl_q8_1PKvPK10block_q8_1RKiEEEvS4_S4_PT_iii
                                        ; -- End function
	.set _ZL13mul_mat_vec_qIN3c108BFloat16ELi32ELi4E12block_iq4_nlLi2EXadL_ZL19vec_dot_iq4_nl_q8_1PKvPK10block_q8_1RKiEEEvS4_S4_PT_iii.num_vgpr, 24
	.set _ZL13mul_mat_vec_qIN3c108BFloat16ELi32ELi4E12block_iq4_nlLi2EXadL_ZL19vec_dot_iq4_nl_q8_1PKvPK10block_q8_1RKiEEEvS4_S4_PT_iii.num_agpr, 0
	.set _ZL13mul_mat_vec_qIN3c108BFloat16ELi32ELi4E12block_iq4_nlLi2EXadL_ZL19vec_dot_iq4_nl_q8_1PKvPK10block_q8_1RKiEEEvS4_S4_PT_iii.numbered_sgpr, 16
	.set _ZL13mul_mat_vec_qIN3c108BFloat16ELi32ELi4E12block_iq4_nlLi2EXadL_ZL19vec_dot_iq4_nl_q8_1PKvPK10block_q8_1RKiEEEvS4_S4_PT_iii.num_named_barrier, 0
	.set _ZL13mul_mat_vec_qIN3c108BFloat16ELi32ELi4E12block_iq4_nlLi2EXadL_ZL19vec_dot_iq4_nl_q8_1PKvPK10block_q8_1RKiEEEvS4_S4_PT_iii.private_seg_size, 0
	.set _ZL13mul_mat_vec_qIN3c108BFloat16ELi32ELi4E12block_iq4_nlLi2EXadL_ZL19vec_dot_iq4_nl_q8_1PKvPK10block_q8_1RKiEEEvS4_S4_PT_iii.uses_vcc, 1
	.set _ZL13mul_mat_vec_qIN3c108BFloat16ELi32ELi4E12block_iq4_nlLi2EXadL_ZL19vec_dot_iq4_nl_q8_1PKvPK10block_q8_1RKiEEEvS4_S4_PT_iii.uses_flat_scratch, 0
	.set _ZL13mul_mat_vec_qIN3c108BFloat16ELi32ELi4E12block_iq4_nlLi2EXadL_ZL19vec_dot_iq4_nl_q8_1PKvPK10block_q8_1RKiEEEvS4_S4_PT_iii.has_dyn_sized_stack, 0
	.set _ZL13mul_mat_vec_qIN3c108BFloat16ELi32ELi4E12block_iq4_nlLi2EXadL_ZL19vec_dot_iq4_nl_q8_1PKvPK10block_q8_1RKiEEEvS4_S4_PT_iii.has_recursion, 0
	.set _ZL13mul_mat_vec_qIN3c108BFloat16ELi32ELi4E12block_iq4_nlLi2EXadL_ZL19vec_dot_iq4_nl_q8_1PKvPK10block_q8_1RKiEEEvS4_S4_PT_iii.has_indirect_call, 0
	.section	.AMDGPU.csdata,"",@progbits
; Kernel info:
; codeLenInByte = 1076
; TotalNumSgprs: 20
; NumVgprs: 24
; ScratchSize: 0
; MemoryBound: 0
; FloatMode: 240
; IeeeMode: 1
; LDSByteSize: 0 bytes/workgroup (compile time only)
; SGPRBlocks: 2
; VGPRBlocks: 5
; NumSGPRsForWavesPerEU: 20
; NumVGPRsForWavesPerEU: 24
; Occupancy: 10
; WaveLimiterHint : 0
; COMPUTE_PGM_RSRC2:SCRATCH_EN: 0
; COMPUTE_PGM_RSRC2:USER_SGPR: 6
; COMPUTE_PGM_RSRC2:TRAP_HANDLER: 0
; COMPUTE_PGM_RSRC2:TGID_X_EN: 1
; COMPUTE_PGM_RSRC2:TGID_Y_EN: 1
; COMPUTE_PGM_RSRC2:TGID_Z_EN: 0
; COMPUTE_PGM_RSRC2:TIDIG_COMP_CNT: 1
	.section	.text._ZL13mul_mat_vec_qIN3c108BFloat16ELi256ELi8E11block_iq3_sLi1EXadL_ZL18vec_dot_iq3_s_q8_1PKvPK10block_q8_1RKiEEEvS4_S4_PT_iii,"axG",@progbits,_ZL13mul_mat_vec_qIN3c108BFloat16ELi256ELi8E11block_iq3_sLi1EXadL_ZL18vec_dot_iq3_s_q8_1PKvPK10block_q8_1RKiEEEvS4_S4_PT_iii,comdat
	.globl	_ZL13mul_mat_vec_qIN3c108BFloat16ELi256ELi8E11block_iq3_sLi1EXadL_ZL18vec_dot_iq3_s_q8_1PKvPK10block_q8_1RKiEEEvS4_S4_PT_iii ; -- Begin function _ZL13mul_mat_vec_qIN3c108BFloat16ELi256ELi8E11block_iq3_sLi1EXadL_ZL18vec_dot_iq3_s_q8_1PKvPK10block_q8_1RKiEEEvS4_S4_PT_iii
	.p2align	8
	.type	_ZL13mul_mat_vec_qIN3c108BFloat16ELi256ELi8E11block_iq3_sLi1EXadL_ZL18vec_dot_iq3_s_q8_1PKvPK10block_q8_1RKiEEEvS4_S4_PT_iii,@function
_ZL13mul_mat_vec_qIN3c108BFloat16ELi256ELi8E11block_iq3_sLi1EXadL_ZL18vec_dot_iq3_s_q8_1PKvPK10block_q8_1RKiEEEvS4_S4_PT_iii: ; @_ZL13mul_mat_vec_qIN3c108BFloat16ELi256ELi8E11block_iq3_sLi1EXadL_ZL18vec_dot_iq3_s_q8_1PKvPK10block_q8_1RKiEEEvS4_S4_PT_iii
; %bb.0:
	s_load_dword s0, s[4:5], 0x34
	s_load_dwordx4 s[8:11], s[4:5], 0x18
	s_waitcnt lgkmcnt(0)
	s_lshr_b32 s0, s0, 16
	s_mul_i32 s6, s6, s0
	v_add_u32_e32 v19, s6, v1
	s_cmp_lt_u32 s7, s10
	v_cmp_gt_u32_e32 vcc, s9, v19
	s_cselect_b64 s[0:1], -1, 0
	s_and_b64 s[0:1], s[0:1], vcc
	s_and_saveexec_b64 s[2:3], s[0:1]
	s_cbranch_execz .LBB113_9
; %bb.1:
	s_load_dwordx2 s[10:11], s[4:5], 0x10
	s_ashr_i32 s0, s8, 31
	s_lshr_b32 s0, s0, 24
	s_add_i32 s0, s8, s0
	s_ashr_i32 s6, s0, 8
	v_lshrrev_b32_e32 v21, 3, v0
	v_cmp_gt_u32_e32 vcc, s6, v21
	v_mov_b32_e32 v20, 0
	s_and_saveexec_b64 s[12:13], vcc
	s_cbranch_execz .LBB113_7
; %bb.2:
	s_load_dwordx4 s[0:3], s[4:5], 0x0
	v_and_b32_e32 v23, 7, v0
	v_lshlrev_b32_e32 v3, 2, v0
	v_and_b32_e32 v25, 4, v3
	v_lshlrev_b32_e32 v3, 2, v23
	s_waitcnt lgkmcnt(0)
	v_mad_u64_u32 v[1:2], s[2:3], v23, 36, s[2:3]
	v_mov_b32_e32 v4, s1
	v_add_co_u32_e32 v3, vcc, s0, v3
	s_add_i32 s4, s8, 0x1ff
	v_addc_co_u32_e32 v4, vcc, 0, v4, vcc
	s_movk_i32 s2, 0x4a
	s_ashr_i32 s5, s4, 31
	v_add_co_u32_e32 v3, vcc, s2, v3
	s_lshr_b32 s5, s5, 23
	v_mul_lo_u32 v22, v19, s6
	v_lshlrev_b32_e32 v5, 3, v23
	v_addc_co_u32_e32 v4, vcc, 0, v4, vcc
	s_add_i32 s4, s4, s5
	v_mov_b32_e32 v6, s1
	v_add_co_u32_e32 v5, vcc, s0, v5
	s_ashr_i32 s4, s4, 9
	v_addc_co_u32_e32 v6, vcc, 0, v6, vcc
	s_mul_i32 s4, s7, s4
	v_add_co_u32_e32 v5, vcc, 2, v5
	v_mov_b32_e32 v8, s1
	s_lshl_b32 s8, s4, 4
	v_mov_b32_e32 v20, 0
	v_bfe_u32 v24, v0, 1, 2
	v_add_u32_e32 v26, v21, v22
	v_addc_co_u32_e32 v6, vcc, 0, v6, vcc
	s_mov_b64 s[14:15], 0
	s_movk_i32 s16, 0x6e
	s_movk_i32 s17, 0x100
	s_mov_b32 s18, 0x1010101
	s_mov_b32 s19, 0x1000000
	s_mov_b32 s20, 0xc060c00
	v_mov_b32_e32 v7, s0
	v_mov_b32_e32 v27, 0xff0000
	;; [unrolled: 1-line block ×4, first 2 shown]
.LBB113_3:                              ; =>This Loop Header: Depth=1
                                        ;     Child Loop BB113_4 Depth 2
	v_add_u32_e32 v9, v21, v22
	v_mad_i64_i32 v[9:10], s[0:1], v9, s16, v[7:8]
	v_mad_i64_i32 v[13:14], s[0:1], v26, s16, v[3:4]
	v_add_co_u32_e32 v11, vcc, v9, v23
	v_addc_co_u32_e32 v12, vcc, 0, v10, vcc
	global_load_ubyte v31, v[11:12], off offset:66
	v_lshl_add_u32 v11, v21, 3, s8
	v_mad_i64_i32 v[11:12], s[0:1], v11, 36, v[1:2]
	v_mad_i64_i32 v[15:16], s[0:1], v26, s16, v[5:6]
	v_add_co_u32_e32 v17, vcc, 4, v11
	v_addc_co_u32_e32 v18, vcc, 0, v12, vcc
	s_mov_b32 s21, 7
	v_mov_b32_e32 v30, 0
.LBB113_4:                              ;   Parent Loop BB113_3 Depth=1
                                        ; =>  This Inner Loop Header: Depth=2
	global_load_ushort v32, v[15:16], off
	global_load_ubyte v34, v[13:14], off
	s_add_i32 s2, s21, 1
	s_waitcnt vmcnt(2)
	v_lshlrev_b32_e32 v33, s21, v31
	v_lshlrev_b32_e32 v35, s2, v31
	s_getpc_b64 s[0:1]
	s_add_u32 s0, s0, _ZL10iq3xs_grid@rel32@lo+4
	s_addc_u32 s1, s1, _ZL10iq3xs_grid@rel32@hi+12
	v_add_co_u32_e64 v15, s[2:3], 2, v15
	s_add_i32 s21, s21, -2
	s_cmp_lg_u32 s21, -1
	s_waitcnt vmcnt(1)
	v_and_b32_e32 v36, 0xff, v32
	v_lshrrev_b16_e32 v32, 8, v32
	v_and_or_b32 v35, v35, s17, v36
	v_and_or_b32 v32, v33, s17, v32
	v_lshlrev_b32_e32 v33, 2, v35
	v_lshlrev_b32_e32 v32, 2, v32
	global_load_dword v35, v33, s[0:1]
	global_load_dword v36, v32, s[0:1]
	s_nop 0
	global_load_dwordx2 v[32:33], v[17:18], off
	s_waitcnt vmcnt(3)
	v_and_b32_e32 v37, 15, v34
	v_lshrrev_b16_e32 v34, 4, v34
	v_and_b32_e32 v37, 0xffff, v37
	v_mul_lo_u32 v34, v34, s18
	v_mul_lo_u32 v37, v37, s18
	v_add_co_u32_e32 v17, vcc, 8, v17
	v_add_co_u32_e64 v13, s[0:1], 1, v13
	v_not_b32_e32 v34, v34
	v_addc_co_u32_e32 v18, vcc, 0, v18, vcc
	v_addc_co_u32_e64 v14, vcc, 0, v14, s[0:1]
	v_addc_co_u32_e64 v16, vcc, 0, v16, s[2:3]
	v_not_b32_e32 v37, v37
	v_and_b32_e32 v38, 0x8040201, v34
	v_and_b32_e32 v39, 0x40000, v34
	;; [unrolled: 1-line block ×8, first 2 shown]
	v_cmp_gt_u32_e32 vcc, s19, v38
	v_cmp_eq_u32_e64 s[2:3], 0, v40
	v_cmp_eq_u32_e64 s[4:5], 0, v34
	;; [unrolled: 1-line block ×3, first 2 shown]
	v_cndmask_b32_e64 v34, 0, -1, vcc
	v_cndmask_b32_e64 v39, 0, v28, s[2:3]
	v_cndmask_b32_e64 v40, 0, v29, s[4:5]
	v_cmp_gt_u32_e32 vcc, s19, v41
	v_cmp_eq_u32_e64 s[2:3], 0, v43
	v_cmp_eq_u32_e64 s[4:5], 0, v37
	v_cndmask_b32_e64 v38, 0, v27, s[0:1]
	v_cmp_eq_u32_e64 s[0:1], 0, v42
	v_cndmask_b32_e64 v37, 0, -1, vcc
	v_cndmask_b32_e64 v42, 0, v28, s[2:3]
	v_cndmask_b32_e64 v43, 0, v29, s[4:5]
	;; [unrolled: 1-line block ×3, first 2 shown]
	v_lshlrev_b32_e32 v37, 24, v37
	v_or_b32_e32 v45, v42, v43
	v_lshlrev_b32_e32 v34, 24, v34
	v_or_b32_e32 v44, v39, v40
	v_or3_b32 v45, v45, v41, v37
	v_or3_b32 v44, v44, v38, v34
	s_waitcnt vmcnt(2)
	v_xor_b32_e32 v35, v45, v35
	s_waitcnt vmcnt(1)
	v_xor_b32_e32 v36, v44, v36
	v_sub_u32_e32 v37, v35, v37
	v_sub_u32_e32 v41, v35, v41
	;; [unrolled: 1-line block ×8, first 2 shown]
	v_and_b32_e32 v37, 0xff000000, v37
	v_and_b32_e32 v40, 0xff00, v42
	v_perm_b32 v35, v41, v35, s20
	v_and_b32_e32 v34, 0xff000000, v34
	v_and_b32_e32 v39, 0xff00, v39
	v_perm_b32 v36, v38, v36, s20
	v_or3_b32 v35, v35, v37, v40
	v_or3_b32 v34, v36, v34, v39
	s_waitcnt vmcnt(0)
	v_dot4_i32_i8 v30, v35, v32, v30
	v_dot4_i32_i8 v30, v34, v33, v30
	s_cbranch_scc1 .LBB113_4
; %bb.5:                                ;   in Loop: Header=BB113_3 Depth=1
	global_load_ushort v13, v[9:10], off
	v_add_co_u32_e32 v9, vcc, v9, v24
	v_addc_co_u32_e32 v10, vcc, 0, v10, vcc
	global_load_dword v14, v[11:12], off
	global_load_ubyte v15, v[9:10], off offset:106
	v_cvt_f32_i32_e32 v9, v30
	v_add_u32_e32 v21, 8, v21
	v_cmp_le_u32_e32 vcc, s6, v21
	s_or_b64 s[14:15], vcc, s[14:15]
	v_add_u32_e32 v26, 8, v26
	s_waitcnt vmcnt(2)
	v_cvt_f32_f16_e32 v10, v13
	s_waitcnt vmcnt(1)
	v_cvt_f32_f16_e32 v11, v14
	s_waitcnt vmcnt(0)
	v_bfe_u32 v12, v15, v25, 4
	v_cvt_f32_ubyte0_e32 v12, v12
	v_add_f32_e32 v12, 0.5, v12
	v_mul_f32_e32 v10, v12, v10
	v_mul_f32_e32 v10, v10, v11
	v_mul_f32_e32 v10, 0.5, v10
	v_fmac_f32_e32 v20, v10, v9
	s_andn2_b64 exec, exec, s[14:15]
	s_cbranch_execnz .LBB113_3
; %bb.6:
	s_or_b64 exec, exec, s[14:15]
.LBB113_7:
	s_or_b64 exec, exec, s[12:13]
	v_mbcnt_lo_u32_b32 v1, -1, 0
	v_mbcnt_hi_u32_b32 v2, -1, v1
	v_and_b32_e32 v1, 64, v2
	v_add_u32_e32 v3, 64, v1
	v_xor_b32_e32 v1, 32, v2
	v_cmp_lt_i32_e32 vcc, v1, v3
	v_cndmask_b32_e32 v1, v2, v1, vcc
	v_lshlrev_b32_e32 v1, 2, v1
	ds_bpermute_b32 v1, v1, v20
	v_xor_b32_e32 v4, 16, v2
	v_cmp_lt_i32_e32 vcc, v4, v3
	v_cndmask_b32_e32 v4, v2, v4, vcc
	v_lshlrev_b32_e32 v4, 2, v4
	s_waitcnt lgkmcnt(0)
	v_add_f32_e32 v1, v20, v1
	ds_bpermute_b32 v4, v4, v1
	v_xor_b32_e32 v5, 8, v2
	v_cmp_lt_i32_e32 vcc, v5, v3
	s_waitcnt lgkmcnt(0)
	v_add_f32_e32 v1, v1, v4
	v_cndmask_b32_e32 v4, v2, v5, vcc
	v_lshlrev_b32_e32 v4, 2, v4
	ds_bpermute_b32 v4, v4, v1
	v_xor_b32_e32 v5, 4, v2
	v_cmp_lt_i32_e32 vcc, v5, v3
	s_waitcnt lgkmcnt(0)
	v_add_f32_e32 v1, v1, v4
	v_cndmask_b32_e32 v4, v2, v5, vcc
	v_lshlrev_b32_e32 v4, 2, v4
	;; [unrolled: 7-line block ×3, first 2 shown]
	ds_bpermute_b32 v4, v4, v1
	v_xor_b32_e32 v5, 1, v2
	v_cmp_lt_i32_e32 vcc, v5, v3
	v_cndmask_b32_e32 v2, v2, v5, vcc
	v_lshlrev_b32_e32 v2, 2, v2
	s_waitcnt lgkmcnt(0)
	v_add_f32_e32 v1, v1, v4
	ds_bpermute_b32 v2, v2, v1
	v_cmp_eq_u32_e32 vcc, 0, v0
	s_and_b64 exec, exec, vcc
	s_cbranch_execz .LBB113_9
; %bb.8:
	s_waitcnt lgkmcnt(0)
	v_add_f32_e32 v0, v1, v2
	v_bfe_u32 v1, v0, 16, 1
	s_movk_i32 s0, 0x7fff
	v_add3_u32 v1, v0, v1, s0
	v_cmp_o_f32_e32 vcc, v0, v0
	v_mov_b32_e32 v0, 0x7fc0
	s_mul_i32 s0, s9, s7
	v_cndmask_b32_sdwa v2, v0, v1, vcc dst_sel:DWORD dst_unused:UNUSED_PAD src0_sel:DWORD src1_sel:WORD_1
	v_add_u32_e32 v0, s0, v19
	v_mov_b32_e32 v1, 0
	v_lshlrev_b64 v[0:1], 1, v[0:1]
	v_mov_b32_e32 v3, s11
	v_add_co_u32_e32 v0, vcc, s10, v0
	v_addc_co_u32_e32 v1, vcc, v3, v1, vcc
	global_store_short v[0:1], v2, off
.LBB113_9:
	s_endpgm
	.section	.rodata,"a",@progbits
	.p2align	6, 0x0
	.amdhsa_kernel _ZL13mul_mat_vec_qIN3c108BFloat16ELi256ELi8E11block_iq3_sLi1EXadL_ZL18vec_dot_iq3_s_q8_1PKvPK10block_q8_1RKiEEEvS4_S4_PT_iii
		.amdhsa_group_segment_fixed_size 0
		.amdhsa_private_segment_fixed_size 0
		.amdhsa_kernarg_size 296
		.amdhsa_user_sgpr_count 6
		.amdhsa_user_sgpr_private_segment_buffer 1
		.amdhsa_user_sgpr_dispatch_ptr 0
		.amdhsa_user_sgpr_queue_ptr 0
		.amdhsa_user_sgpr_kernarg_segment_ptr 1
		.amdhsa_user_sgpr_dispatch_id 0
		.amdhsa_user_sgpr_flat_scratch_init 0
		.amdhsa_user_sgpr_private_segment_size 0
		.amdhsa_uses_dynamic_stack 0
		.amdhsa_system_sgpr_private_segment_wavefront_offset 0
		.amdhsa_system_sgpr_workgroup_id_x 1
		.amdhsa_system_sgpr_workgroup_id_y 1
		.amdhsa_system_sgpr_workgroup_id_z 0
		.amdhsa_system_sgpr_workgroup_info 0
		.amdhsa_system_vgpr_workitem_id 1
		.amdhsa_next_free_vgpr 46
		.amdhsa_next_free_sgpr 22
		.amdhsa_reserve_vcc 1
		.amdhsa_reserve_flat_scratch 0
		.amdhsa_float_round_mode_32 0
		.amdhsa_float_round_mode_16_64 0
		.amdhsa_float_denorm_mode_32 3
		.amdhsa_float_denorm_mode_16_64 3
		.amdhsa_dx10_clamp 1
		.amdhsa_ieee_mode 1
		.amdhsa_fp16_overflow 0
		.amdhsa_exception_fp_ieee_invalid_op 0
		.amdhsa_exception_fp_denorm_src 0
		.amdhsa_exception_fp_ieee_div_zero 0
		.amdhsa_exception_fp_ieee_overflow 0
		.amdhsa_exception_fp_ieee_underflow 0
		.amdhsa_exception_fp_ieee_inexact 0
		.amdhsa_exception_int_div_zero 0
	.end_amdhsa_kernel
	.section	.text._ZL13mul_mat_vec_qIN3c108BFloat16ELi256ELi8E11block_iq3_sLi1EXadL_ZL18vec_dot_iq3_s_q8_1PKvPK10block_q8_1RKiEEEvS4_S4_PT_iii,"axG",@progbits,_ZL13mul_mat_vec_qIN3c108BFloat16ELi256ELi8E11block_iq3_sLi1EXadL_ZL18vec_dot_iq3_s_q8_1PKvPK10block_q8_1RKiEEEvS4_S4_PT_iii,comdat
.Lfunc_end113:
	.size	_ZL13mul_mat_vec_qIN3c108BFloat16ELi256ELi8E11block_iq3_sLi1EXadL_ZL18vec_dot_iq3_s_q8_1PKvPK10block_q8_1RKiEEEvS4_S4_PT_iii, .Lfunc_end113-_ZL13mul_mat_vec_qIN3c108BFloat16ELi256ELi8E11block_iq3_sLi1EXadL_ZL18vec_dot_iq3_s_q8_1PKvPK10block_q8_1RKiEEEvS4_S4_PT_iii
                                        ; -- End function
	.set _ZL13mul_mat_vec_qIN3c108BFloat16ELi256ELi8E11block_iq3_sLi1EXadL_ZL18vec_dot_iq3_s_q8_1PKvPK10block_q8_1RKiEEEvS4_S4_PT_iii.num_vgpr, 46
	.set _ZL13mul_mat_vec_qIN3c108BFloat16ELi256ELi8E11block_iq3_sLi1EXadL_ZL18vec_dot_iq3_s_q8_1PKvPK10block_q8_1RKiEEEvS4_S4_PT_iii.num_agpr, 0
	.set _ZL13mul_mat_vec_qIN3c108BFloat16ELi256ELi8E11block_iq3_sLi1EXadL_ZL18vec_dot_iq3_s_q8_1PKvPK10block_q8_1RKiEEEvS4_S4_PT_iii.numbered_sgpr, 22
	.set _ZL13mul_mat_vec_qIN3c108BFloat16ELi256ELi8E11block_iq3_sLi1EXadL_ZL18vec_dot_iq3_s_q8_1PKvPK10block_q8_1RKiEEEvS4_S4_PT_iii.num_named_barrier, 0
	.set _ZL13mul_mat_vec_qIN3c108BFloat16ELi256ELi8E11block_iq3_sLi1EXadL_ZL18vec_dot_iq3_s_q8_1PKvPK10block_q8_1RKiEEEvS4_S4_PT_iii.private_seg_size, 0
	.set _ZL13mul_mat_vec_qIN3c108BFloat16ELi256ELi8E11block_iq3_sLi1EXadL_ZL18vec_dot_iq3_s_q8_1PKvPK10block_q8_1RKiEEEvS4_S4_PT_iii.uses_vcc, 1
	.set _ZL13mul_mat_vec_qIN3c108BFloat16ELi256ELi8E11block_iq3_sLi1EXadL_ZL18vec_dot_iq3_s_q8_1PKvPK10block_q8_1RKiEEEvS4_S4_PT_iii.uses_flat_scratch, 0
	.set _ZL13mul_mat_vec_qIN3c108BFloat16ELi256ELi8E11block_iq3_sLi1EXadL_ZL18vec_dot_iq3_s_q8_1PKvPK10block_q8_1RKiEEEvS4_S4_PT_iii.has_dyn_sized_stack, 0
	.set _ZL13mul_mat_vec_qIN3c108BFloat16ELi256ELi8E11block_iq3_sLi1EXadL_ZL18vec_dot_iq3_s_q8_1PKvPK10block_q8_1RKiEEEvS4_S4_PT_iii.has_recursion, 0
	.set _ZL13mul_mat_vec_qIN3c108BFloat16ELi256ELi8E11block_iq3_sLi1EXadL_ZL18vec_dot_iq3_s_q8_1PKvPK10block_q8_1RKiEEEvS4_S4_PT_iii.has_indirect_call, 0
	.section	.AMDGPU.csdata,"",@progbits
; Kernel info:
; codeLenInByte = 1372
; TotalNumSgprs: 26
; NumVgprs: 46
; ScratchSize: 0
; MemoryBound: 0
; FloatMode: 240
; IeeeMode: 1
; LDSByteSize: 0 bytes/workgroup (compile time only)
; SGPRBlocks: 3
; VGPRBlocks: 11
; NumSGPRsForWavesPerEU: 26
; NumVGPRsForWavesPerEU: 46
; Occupancy: 5
; WaveLimiterHint : 0
; COMPUTE_PGM_RSRC2:SCRATCH_EN: 0
; COMPUTE_PGM_RSRC2:USER_SGPR: 6
; COMPUTE_PGM_RSRC2:TRAP_HANDLER: 0
; COMPUTE_PGM_RSRC2:TGID_X_EN: 1
; COMPUTE_PGM_RSRC2:TGID_Y_EN: 1
; COMPUTE_PGM_RSRC2:TGID_Z_EN: 0
; COMPUTE_PGM_RSRC2:TIDIG_COMP_CNT: 1
	.section	.text._ZL13mul_mat_vec_qIN3c108BFloat16ELi256ELi8E11block_iq2_sLi1EXadL_ZL18vec_dot_iq2_s_q8_1PKvPK10block_q8_1RKiEEEvS4_S4_PT_iii,"axG",@progbits,_ZL13mul_mat_vec_qIN3c108BFloat16ELi256ELi8E11block_iq2_sLi1EXadL_ZL18vec_dot_iq2_s_q8_1PKvPK10block_q8_1RKiEEEvS4_S4_PT_iii,comdat
	.globl	_ZL13mul_mat_vec_qIN3c108BFloat16ELi256ELi8E11block_iq2_sLi1EXadL_ZL18vec_dot_iq2_s_q8_1PKvPK10block_q8_1RKiEEEvS4_S4_PT_iii ; -- Begin function _ZL13mul_mat_vec_qIN3c108BFloat16ELi256ELi8E11block_iq2_sLi1EXadL_ZL18vec_dot_iq2_s_q8_1PKvPK10block_q8_1RKiEEEvS4_S4_PT_iii
	.p2align	8
	.type	_ZL13mul_mat_vec_qIN3c108BFloat16ELi256ELi8E11block_iq2_sLi1EXadL_ZL18vec_dot_iq2_s_q8_1PKvPK10block_q8_1RKiEEEvS4_S4_PT_iii,@function
_ZL13mul_mat_vec_qIN3c108BFloat16ELi256ELi8E11block_iq2_sLi1EXadL_ZL18vec_dot_iq2_s_q8_1PKvPK10block_q8_1RKiEEEvS4_S4_PT_iii: ; @_ZL13mul_mat_vec_qIN3c108BFloat16ELi256ELi8E11block_iq2_sLi1EXadL_ZL18vec_dot_iq2_s_q8_1PKvPK10block_q8_1RKiEEEvS4_S4_PT_iii
; %bb.0:
	s_load_dword s0, s[4:5], 0x34
	s_load_dwordx4 s[8:11], s[4:5], 0x18
	s_waitcnt lgkmcnt(0)
	s_lshr_b32 s0, s0, 16
	s_mul_i32 s6, s6, s0
	v_add_u32_e32 v11, s6, v1
	s_cmp_lt_u32 s7, s10
	v_cmp_gt_u32_e32 vcc, s9, v11
	s_cselect_b64 s[0:1], -1, 0
	s_and_b64 s[0:1], s[0:1], vcc
	s_and_saveexec_b64 s[2:3], s[0:1]
	s_cbranch_execz .LBB114_7
; %bb.1:
	s_load_dwordx2 s[2:3], s[4:5], 0x10
	s_ashr_i32 s0, s8, 31
	s_lshr_b32 s0, s0, 24
	s_add_i32 s0, s8, s0
	s_ashr_i32 s6, s0, 8
	v_lshrrev_b32_e32 v13, 3, v0
	v_cmp_gt_u32_e32 vcc, s6, v13
	v_mov_b32_e32 v12, 0
	s_and_saveexec_b64 s[10:11], vcc
	s_cbranch_execz .LBB114_5
; %bb.2:
	s_load_dwordx4 s[12:15], s[4:5], 0x0
	s_add_i32 s0, s8, 0x1ff
	s_ashr_i32 s1, s0, 31
	s_lshr_b32 s1, s1, 23
	s_add_i32 s0, s0, s1
	s_ashr_i32 s0, s0, 9
	v_and_b32_e32 v15, 7, v0
	s_mul_i32 s4, s7, s0
	v_mul_lo_u32 v14, v11, s6
	s_waitcnt lgkmcnt(0)
	v_mad_u64_u32 v[1:2], s[0:1], v15, 36, s[14:15]
	v_lshlrev_b32_e32 v3, 3, v13
	v_lshl_add_u32 v17, s4, 4, v3
	v_mov_b32_e32 v3, s12
	v_mov_b32_e32 v12, 0
	v_lshlrev_b32_e32 v16, 2, v15
	s_mov_b64 s[4:5], 0
	s_movk_i32 s8, 0x52
	v_mov_b32_e32 v4, s13
	s_movk_i32 s12, 0x300
	s_mov_b32 s13, 0x1010101
	s_mov_b32 s14, 0x1000000
	v_mov_b32_e32 v18, 0xff0000
	v_mov_b32_e32 v19, 0xff00
	;; [unrolled: 1-line block ×3, first 2 shown]
	s_mov_b32 s15, 0xc060c00
	v_mov_b32_e32 v21, 4
.LBB114_3:                              ; =>This Inner Loop Header: Depth=1
	v_add_u32_e32 v7, v14, v13
	v_mad_i64_i32 v[7:8], s[16:17], v7, s8, v[3:4]
	s_getpc_b64 s[0:1]
	s_add_u32 s0, s0, _ZL9iq2s_grid@rel32@lo+4
	s_addc_u32 s1, s1, _ZL9iq2s_grid@rel32@hi+12
	v_mad_i64_i32 v[5:6], s[16:17], v17, 36, v[1:2]
	v_add_co_u32_e32 v9, vcc, v7, v16
	v_addc_co_u32_e32 v10, vcc, 0, v8, vcc
	v_add_co_u32_e32 v24, vcc, v7, v15
	v_addc_co_u32_e32 v25, vcc, 0, v8, vcc
	global_load_ushort v23, v[7:8], off
	global_load_dword v26, v[9:10], off offset:2
	global_load_ubyte v27, v[24:25], off offset:66
	global_load_ubyte v22, v[24:25], off offset:74
	global_load_dword v28, v[9:10], off offset:34
	v_add_u32_e32 v13, 8, v13
	v_add_u32_e32 v17, 64, v17
	s_waitcnt vmcnt(4)
	v_cvt_f32_f16_e32 v23, v23
	s_waitcnt vmcnt(3)
	v_and_b32_e32 v7, 0xff, v26
	s_waitcnt vmcnt(2)
	v_lshlrev_b32_e32 v8, 8, v27
	v_bfe_u32 v9, v26, 8, 8
	v_lshlrev_b32_e32 v10, 6, v27
	s_waitcnt vmcnt(0)
	v_lshrrev_b16_e32 v25, 4, v28
	v_lshrrev_b32_e32 v30, 8, v28
	v_bfe_u32 v29, v28, 8, 4
	v_bfe_u32 v31, v26, 16, 8
	v_lshlrev_b32_e32 v32, 4, v27
	v_lshrrev_b32_e32 v26, 24, v26
	v_lshlrev_b32_e32 v27, 2, v27
	v_and_or_b32 v7, v8, s12, v7
	v_and_or_b32 v8, v10, s12, v9
	v_and_b32_e32 v9, 15, v25
	v_lshrrev_b16_e32 v10, 4, v30
	v_bfe_u32 v33, v28, 16, 4
	v_bfe_u32 v35, v28, 24, 4
	v_mul_lo_u32 v25, v29, s13
	v_and_or_b32 v29, v32, s12, v31
	v_and_or_b32 v26, v27, s12, v26
	v_and_b32_e32 v9, 0xffff, v9
	v_lshlrev_b32_e32 v7, 3, v7
	v_lshlrev_b32_e32 v8, 3, v8
	v_and_b32_e32 v10, 15, v10
	v_mul_lo_u32 v36, v33, s13
	v_mul_lo_u32 v27, v35, s13
	v_lshlrev_b32_e32 v29, 3, v29
	v_lshlrev_b32_e32 v26, 3, v26
	v_mul_lo_u32 v35, v9, s13
	v_and_b32_e32 v37, 0xffff, v10
	global_load_dwordx2 v[30:31], v7, s[0:1]
	global_load_dwordx2 v[32:33], v8, s[0:1]
	;; [unrolled: 1-line block ×3, first 2 shown]
	s_nop 0
	global_load_dwordx2 v[7:8], v26, s[0:1]
	v_and_b32_e32 v24, 15, v28
	v_bfe_u32 v34, v28, 20, 4
	v_mul_lo_u32 v24, v24, s13
	v_mul_lo_u32 v34, v34, s13
	v_not_b32_e32 v26, v36
	v_not_b32_e32 v25, v25
	;; [unrolled: 1-line block ×4, first 2 shown]
	v_and_b32_e32 v34, 0x8040201, v24
	v_and_b32_e32 v36, 0x40000, v24
	v_cmp_gt_u32_e32 vcc, s14, v34
	v_and_b32_e32 v38, 0x200, v24
	v_cndmask_b32_e64 v34, 0, -1, vcc
	v_cmp_eq_u32_e32 vcc, 0, v36
	v_and_b32_e32 v24, 1, v24
	v_cndmask_b32_e32 v36, 0, v18, vcc
	v_cmp_eq_u32_e32 vcc, 0, v38
	v_and_b32_e32 v39, 0x8040201, v25
	v_cndmask_b32_e32 v38, 0, v19, vcc
	;; [unrolled: 3-line block ×3, first 2 shown]
	v_cmp_gt_u32_e32 vcc, s14, v39
	v_and_b32_e32 v41, 0x200, v25
	v_cndmask_b32_e64 v39, 0, -1, vcc
	v_cmp_eq_u32_e32 vcc, 0, v40
	v_and_b32_e32 v42, 1, v25
	v_cndmask_b32_e32 v24, 0, v18, vcc
	v_cmp_eq_u32_e32 vcc, 0, v41
	v_and_b32_e32 v49, 0x8040201, v26
	v_cndmask_b32_e32 v25, 0, v19, vcc
	v_cmp_eq_u32_e32 vcc, 0, v42
	v_and_b32_e32 v43, 0x40000, v26
	v_and_b32_e32 v44, 0x200, v26
	;; [unrolled: 1-line block ×4, first 2 shown]
	v_cndmask_b32_e32 v26, 0, v20, vcc
	v_cmp_gt_u32_e32 vcc, s14, v49
	v_cndmask_b32_e64 v40, 0, -1, vcc
	v_cmp_gt_u32_e32 vcc, s14, v46
	v_lshrrev_b16_sdwa v28, v21, v28 dst_sel:DWORD dst_unused:UNUSED_PAD src0_sel:DWORD src1_sel:BYTE_3
	v_cndmask_b32_e64 v41, 0, -1, vcc
	v_cmp_eq_u32_e32 vcc, 0, v43
	v_mul_lo_u32 v28, v28, s13
	v_cndmask_b32_e32 v42, 0, v18, vcc
	v_cmp_eq_u32_e32 vcc, 0, v44
	v_and_b32_e32 v47, 0x40000, v29
	v_cndmask_b32_e32 v43, 0, v19, vcc
	v_cmp_eq_u32_e32 vcc, 0, v45
	v_and_b32_e32 v48, 0x200, v29
	v_cndmask_b32_e32 v44, 0, v20, vcc
	v_cmp_eq_u32_e32 vcc, 0, v47
	v_not_b32_e32 v27, v27
	v_and_b32_e32 v29, 1, v29
	v_cndmask_b32_e32 v45, 0, v18, vcc
	v_cmp_eq_u32_e32 vcc, 0, v48
	v_not_b32_e32 v28, v28
	v_and_b32_e32 v50, 0x40000, v27
	v_and_b32_e32 v51, 0x200, v27
	;; [unrolled: 1-line block ×4, first 2 shown]
	v_cndmask_b32_e32 v46, 0, v19, vcc
	v_cmp_eq_u32_e32 vcc, 0, v29
	v_and_b32_e32 v53, 0x40000, v28
	v_and_b32_e32 v54, 0x200, v28
	;; [unrolled: 1-line block ×4, first 2 shown]
	v_cndmask_b32_e32 v47, 0, v20, vcc
	v_cmp_gt_u32_e32 vcc, s14, v27
	v_cndmask_b32_e64 v48, 0, -1, vcc
	v_cmp_gt_u32_e32 vcc, s14, v28
	v_cndmask_b32_e64 v49, 0, -1, vcc
	v_cmp_eq_u32_e32 vcc, 0, v50
	v_cndmask_b32_e32 v50, 0, v18, vcc
	v_cmp_eq_u32_e32 vcc, 0, v51
	v_cndmask_b32_e32 v51, 0, v19, vcc
	;; [unrolled: 2-line block ×3, first 2 shown]
	v_cmp_eq_u32_e32 vcc, 0, v53
	v_mul_lo_u32 v37, v37, s13
	v_not_b32_e32 v35, v35
	v_cndmask_b32_e32 v27, 0, v18, vcc
	v_cmp_eq_u32_e32 vcc, 0, v54
	v_cndmask_b32_e32 v28, 0, v19, vcc
	v_cmp_eq_u32_e32 vcc, 0, v55
	v_and_b32_e32 v53, 0x8040201, v35
	v_cndmask_b32_e32 v29, 0, v20, vcc
	v_and_b32_e32 v54, 0x40000, v35
	v_cmp_gt_u32_e32 vcc, s14, v53
	v_and_b32_e32 v55, 0x200, v35
	v_cndmask_b32_e64 v53, 0, -1, vcc
	v_cmp_eq_u32_e32 vcc, 0, v54
	v_and_b32_e32 v35, 1, v35
	v_not_b32_e32 v37, v37
	v_cndmask_b32_e32 v54, 0, v18, vcc
	v_cmp_eq_u32_e32 vcc, 0, v55
	v_cndmask_b32_e32 v55, 0, v19, vcc
	v_cmp_eq_u32_e32 vcc, 0, v35
	v_and_b32_e32 v59, 0x8040201, v37
	v_cndmask_b32_e32 v35, 0, v20, vcc
	v_and_b32_e32 v60, 0x40000, v37
	v_and_b32_e32 v61, 0x200, v37
	;; [unrolled: 1-line block ×3, first 2 shown]
	v_cmp_gt_u32_e64 s[0:1], s14, v59
	v_lshlrev_b32_e32 v53, 24, v53
	v_cmp_eq_u32_e32 vcc, 0, v37
	v_or_b32_e32 v37, v55, v35
	v_cndmask_b32_e64 v59, 0, -1, s[0:1]
	v_cmp_eq_u32_e64 s[0:1], 0, v60
	v_lshlrev_b32_e32 v34, 24, v34
	v_or_b32_e32 v57, v38, v56
	v_cndmask_b32_e64 v60, 0, v18, s[0:1]
	v_cmp_eq_u32_e64 s[0:1], 0, v61
	v_or3_b32 v37, v37, v54, v53
	v_lshlrev_b32_e32 v39, 24, v39
	v_or_b32_e32 v58, v25, v26
	v_or3_b32 v57, v57, v36, v34
	v_cndmask_b32_e64 v61, 0, v19, s[0:1]
	s_waitcnt vmcnt(3)
	v_xor_b32_e32 v31, v37, v31
	v_cndmask_b32_e32 v37, 0, v20, vcc
	v_or3_b32 v58, v58, v24, v39
	v_xor_b32_e32 v30, v57, v30
	v_lshlrev_b32_e32 v57, 24, v59
	v_or_b32_e32 v59, v61, v37
	v_lshlrev_b32_e32 v40, 24, v40
	v_or3_b32 v59, v59, v60, v57
	s_waitcnt vmcnt(2)
	v_xor_b32_e32 v58, v58, v32
	v_or_b32_e32 v32, v43, v44
	v_lshlrev_b32_e32 v41, 24, v41
	v_xor_b32_e32 v59, v59, v33
	v_or_b32_e32 v33, v46, v47
	v_or3_b32 v32, v32, v42, v40
	v_lshlrev_b32_e32 v48, 24, v48
	v_or3_b32 v33, v33, v45, v41
	s_waitcnt vmcnt(1)
	v_xor_b32_e32 v9, v32, v9
	v_or_b32_e32 v32, v51, v52
	v_lshlrev_b32_e32 v49, 24, v49
	v_xor_b32_e32 v10, v33, v10
	v_or_b32_e32 v33, v28, v29
	v_or3_b32 v32, v32, v50, v48
	v_or3_b32 v33, v33, v27, v49
	s_waitcnt vmcnt(0)
	v_xor_b32_e32 v32, v32, v7
	v_xor_b32_e32 v62, v33, v8
	v_sub_u32_e32 v40, v9, v40
	v_sub_u32_e32 v42, v9, v42
	;; [unrolled: 1-line block ×8, first 2 shown]
	global_load_dwordx4 v[7:10], v[5:6], off offset:16
	v_sub_u32_e32 v48, v32, v48
	v_sub_u32_e32 v50, v32, v50
	;; [unrolled: 1-line block ×12, first 2 shown]
	global_load_dwordx4 v[30:33], v[5:6], off
	global_load_dword v63, v[5:6], off offset:32
	v_sub_u32_e32 v6, v58, v24
	v_sub_u32_e32 v24, v58, v25
	;; [unrolled: 1-line block ×3, first 2 shown]
	v_perm_b32 v42, v42, v44, s15
	v_and_b32_e32 v40, 0xff000000, v40
	v_and_b32_e32 v43, 0xff00, v43
	v_perm_b32 v36, v36, v56, s15
	v_perm_b32 v6, v6, v25, s15
	v_and_b32_e32 v25, 0xff000000, v34
	v_and_b32_e32 v34, 0xff00, v38
	v_sub_u32_e32 v5, v58, v39
	v_perm_b32 v44, v45, v47, s15
	v_and_b32_e32 v41, 0xff000000, v41
	v_and_b32_e32 v45, 0xff00, v46
	v_perm_b32 v46, v50, v52, s15
	v_perm_b32 v35, v54, v35, s15
	v_and_b32_e32 v38, 0xff000000, v53
	v_and_b32_e32 v50, 0xff00, v55
	v_or3_b32 v40, v42, v40, v43
	v_or3_b32 v25, v36, v25, v34
	v_sub_u32_e32 v39, v59, v60
	v_sub_u32_e32 v37, v59, v37
	;; [unrolled: 1-line block ×6, first 2 shown]
	v_and_b32_e32 v47, 0xff000000, v48
	v_and_b32_e32 v48, 0xff00, v51
	;; [unrolled: 1-line block ×4, first 2 shown]
	v_or3_b32 v41, v44, v41, v45
	v_or3_b32 v34, v35, v38, v50
	v_perm_b32 v37, v39, v37, s15
	v_perm_b32 v27, v27, v29, s15
	v_and_b32_e32 v29, 0xff000000, v49
	v_and_b32_e32 v28, 0xff00, v28
	v_or3_b32 v42, v46, v47, v48
	v_or3_b32 v5, v6, v5, v24
	;; [unrolled: 1-line block ×3, first 2 shown]
	v_lshrrev_b16_e32 v58, 4, v22
	v_and_b32_e32 v22, 15, v22
	v_cvt_f32_ubyte0_e32 v58, v58
	v_cvt_f32_ubyte0_e32 v22, v22
	v_add_f32_e32 v58, 0.5, v58
	v_add_f32_e32 v22, 0.5, v22
	v_cmp_le_u32_e32 vcc, s6, v13
	s_or_b64 s[4:5], vcc, s[4:5]
	s_waitcnt vmcnt(2)
	v_dot4_i32_i8 v8, v40, v8, 0
	v_dot4_i32_i8 v8, v41, v9, v8
	;; [unrolled: 1-line block ×3, first 2 shown]
	s_waitcnt vmcnt(1)
	v_cvt_f32_f16_e32 v26, v30
	v_sub_u32_e32 v30, v59, v57
	v_sub_u32_e32 v57, v59, v61
	v_dot4_i32_i8 v25, v25, v31, 0
	v_and_b32_e32 v30, 0xff000000, v30
	v_and_b32_e32 v39, 0xff00, v57
	v_dot4_i32_i8 v9, v34, v32, v25
	v_or3_b32 v6, v37, v30, v39
	v_dot4_i32_i8 v5, v5, v33, v9
	v_dot4_i32_i8 v5, v6, v7, v5
	s_waitcnt vmcnt(0)
	v_dot4_i32_i8 v6, v24, v63, v8
	v_cvt_f32_i32_e32 v6, v6
	v_cvt_f32_i32_e32 v5, v5
	v_mul_f32_e32 v7, v23, v26
	v_mul_f32_e32 v7, 0x3e800000, v7
	;; [unrolled: 1-line block ×3, first 2 shown]
	v_fmac_f32_e32 v6, v22, v5
	v_fmac_f32_e32 v12, v7, v6
	s_andn2_b64 exec, exec, s[4:5]
	s_cbranch_execnz .LBB114_3
; %bb.4:
	s_or_b64 exec, exec, s[4:5]
.LBB114_5:
	s_or_b64 exec, exec, s[10:11]
	v_mbcnt_lo_u32_b32 v1, -1, 0
	v_mbcnt_hi_u32_b32 v2, -1, v1
	v_and_b32_e32 v1, 64, v2
	v_add_u32_e32 v3, 64, v1
	v_xor_b32_e32 v1, 32, v2
	v_cmp_lt_i32_e32 vcc, v1, v3
	v_cndmask_b32_e32 v1, v2, v1, vcc
	v_lshlrev_b32_e32 v1, 2, v1
	ds_bpermute_b32 v1, v1, v12
	v_xor_b32_e32 v4, 16, v2
	v_cmp_lt_i32_e32 vcc, v4, v3
	v_cndmask_b32_e32 v4, v2, v4, vcc
	v_lshlrev_b32_e32 v4, 2, v4
	s_waitcnt lgkmcnt(0)
	v_add_f32_e32 v1, v12, v1
	ds_bpermute_b32 v4, v4, v1
	v_xor_b32_e32 v5, 8, v2
	v_cmp_lt_i32_e32 vcc, v5, v3
	s_waitcnt lgkmcnt(0)
	v_add_f32_e32 v1, v1, v4
	v_cndmask_b32_e32 v4, v2, v5, vcc
	v_lshlrev_b32_e32 v4, 2, v4
	ds_bpermute_b32 v4, v4, v1
	v_xor_b32_e32 v5, 4, v2
	v_cmp_lt_i32_e32 vcc, v5, v3
	s_waitcnt lgkmcnt(0)
	v_add_f32_e32 v1, v1, v4
	v_cndmask_b32_e32 v4, v2, v5, vcc
	v_lshlrev_b32_e32 v4, 2, v4
	;; [unrolled: 7-line block ×3, first 2 shown]
	ds_bpermute_b32 v4, v4, v1
	v_xor_b32_e32 v5, 1, v2
	v_cmp_lt_i32_e32 vcc, v5, v3
	v_cndmask_b32_e32 v2, v2, v5, vcc
	v_lshlrev_b32_e32 v2, 2, v2
	s_waitcnt lgkmcnt(0)
	v_add_f32_e32 v1, v1, v4
	ds_bpermute_b32 v2, v2, v1
	v_cmp_eq_u32_e32 vcc, 0, v0
	s_and_b64 exec, exec, vcc
	s_cbranch_execz .LBB114_7
; %bb.6:
	s_waitcnt lgkmcnt(0)
	v_add_f32_e32 v0, v1, v2
	v_bfe_u32 v1, v0, 16, 1
	s_movk_i32 s0, 0x7fff
	v_add3_u32 v1, v0, v1, s0
	v_cmp_o_f32_e32 vcc, v0, v0
	v_mov_b32_e32 v0, 0x7fc0
	s_mul_i32 s0, s9, s7
	v_cndmask_b32_sdwa v2, v0, v1, vcc dst_sel:DWORD dst_unused:UNUSED_PAD src0_sel:DWORD src1_sel:WORD_1
	v_add_u32_e32 v0, s0, v11
	v_mov_b32_e32 v1, 0
	v_lshlrev_b64 v[0:1], 1, v[0:1]
	v_mov_b32_e32 v3, s3
	v_add_co_u32_e32 v0, vcc, s2, v0
	v_addc_co_u32_e32 v1, vcc, v3, v1, vcc
	global_store_short v[0:1], v2, off
.LBB114_7:
	s_endpgm
	.section	.rodata,"a",@progbits
	.p2align	6, 0x0
	.amdhsa_kernel _ZL13mul_mat_vec_qIN3c108BFloat16ELi256ELi8E11block_iq2_sLi1EXadL_ZL18vec_dot_iq2_s_q8_1PKvPK10block_q8_1RKiEEEvS4_S4_PT_iii
		.amdhsa_group_segment_fixed_size 0
		.amdhsa_private_segment_fixed_size 0
		.amdhsa_kernarg_size 296
		.amdhsa_user_sgpr_count 6
		.amdhsa_user_sgpr_private_segment_buffer 1
		.amdhsa_user_sgpr_dispatch_ptr 0
		.amdhsa_user_sgpr_queue_ptr 0
		.amdhsa_user_sgpr_kernarg_segment_ptr 1
		.amdhsa_user_sgpr_dispatch_id 0
		.amdhsa_user_sgpr_flat_scratch_init 0
		.amdhsa_user_sgpr_private_segment_size 0
		.amdhsa_uses_dynamic_stack 0
		.amdhsa_system_sgpr_private_segment_wavefront_offset 0
		.amdhsa_system_sgpr_workgroup_id_x 1
		.amdhsa_system_sgpr_workgroup_id_y 1
		.amdhsa_system_sgpr_workgroup_id_z 0
		.amdhsa_system_sgpr_workgroup_info 0
		.amdhsa_system_vgpr_workitem_id 1
		.amdhsa_next_free_vgpr 64
		.amdhsa_next_free_sgpr 18
		.amdhsa_reserve_vcc 1
		.amdhsa_reserve_flat_scratch 0
		.amdhsa_float_round_mode_32 0
		.amdhsa_float_round_mode_16_64 0
		.amdhsa_float_denorm_mode_32 3
		.amdhsa_float_denorm_mode_16_64 3
		.amdhsa_dx10_clamp 1
		.amdhsa_ieee_mode 1
		.amdhsa_fp16_overflow 0
		.amdhsa_exception_fp_ieee_invalid_op 0
		.amdhsa_exception_fp_denorm_src 0
		.amdhsa_exception_fp_ieee_div_zero 0
		.amdhsa_exception_fp_ieee_overflow 0
		.amdhsa_exception_fp_ieee_underflow 0
		.amdhsa_exception_fp_ieee_inexact 0
		.amdhsa_exception_int_div_zero 0
	.end_amdhsa_kernel
	.section	.text._ZL13mul_mat_vec_qIN3c108BFloat16ELi256ELi8E11block_iq2_sLi1EXadL_ZL18vec_dot_iq2_s_q8_1PKvPK10block_q8_1RKiEEEvS4_S4_PT_iii,"axG",@progbits,_ZL13mul_mat_vec_qIN3c108BFloat16ELi256ELi8E11block_iq2_sLi1EXadL_ZL18vec_dot_iq2_s_q8_1PKvPK10block_q8_1RKiEEEvS4_S4_PT_iii,comdat
.Lfunc_end114:
	.size	_ZL13mul_mat_vec_qIN3c108BFloat16ELi256ELi8E11block_iq2_sLi1EXadL_ZL18vec_dot_iq2_s_q8_1PKvPK10block_q8_1RKiEEEvS4_S4_PT_iii, .Lfunc_end114-_ZL13mul_mat_vec_qIN3c108BFloat16ELi256ELi8E11block_iq2_sLi1EXadL_ZL18vec_dot_iq2_s_q8_1PKvPK10block_q8_1RKiEEEvS4_S4_PT_iii
                                        ; -- End function
	.set _ZL13mul_mat_vec_qIN3c108BFloat16ELi256ELi8E11block_iq2_sLi1EXadL_ZL18vec_dot_iq2_s_q8_1PKvPK10block_q8_1RKiEEEvS4_S4_PT_iii.num_vgpr, 64
	.set _ZL13mul_mat_vec_qIN3c108BFloat16ELi256ELi8E11block_iq2_sLi1EXadL_ZL18vec_dot_iq2_s_q8_1PKvPK10block_q8_1RKiEEEvS4_S4_PT_iii.num_agpr, 0
	.set _ZL13mul_mat_vec_qIN3c108BFloat16ELi256ELi8E11block_iq2_sLi1EXadL_ZL18vec_dot_iq2_s_q8_1PKvPK10block_q8_1RKiEEEvS4_S4_PT_iii.numbered_sgpr, 18
	.set _ZL13mul_mat_vec_qIN3c108BFloat16ELi256ELi8E11block_iq2_sLi1EXadL_ZL18vec_dot_iq2_s_q8_1PKvPK10block_q8_1RKiEEEvS4_S4_PT_iii.num_named_barrier, 0
	.set _ZL13mul_mat_vec_qIN3c108BFloat16ELi256ELi8E11block_iq2_sLi1EXadL_ZL18vec_dot_iq2_s_q8_1PKvPK10block_q8_1RKiEEEvS4_S4_PT_iii.private_seg_size, 0
	.set _ZL13mul_mat_vec_qIN3c108BFloat16ELi256ELi8E11block_iq2_sLi1EXadL_ZL18vec_dot_iq2_s_q8_1PKvPK10block_q8_1RKiEEEvS4_S4_PT_iii.uses_vcc, 1
	.set _ZL13mul_mat_vec_qIN3c108BFloat16ELi256ELi8E11block_iq2_sLi1EXadL_ZL18vec_dot_iq2_s_q8_1PKvPK10block_q8_1RKiEEEvS4_S4_PT_iii.uses_flat_scratch, 0
	.set _ZL13mul_mat_vec_qIN3c108BFloat16ELi256ELi8E11block_iq2_sLi1EXadL_ZL18vec_dot_iq2_s_q8_1PKvPK10block_q8_1RKiEEEvS4_S4_PT_iii.has_dyn_sized_stack, 0
	.set _ZL13mul_mat_vec_qIN3c108BFloat16ELi256ELi8E11block_iq2_sLi1EXadL_ZL18vec_dot_iq2_s_q8_1PKvPK10block_q8_1RKiEEEvS4_S4_PT_iii.has_recursion, 0
	.set _ZL13mul_mat_vec_qIN3c108BFloat16ELi256ELi8E11block_iq2_sLi1EXadL_ZL18vec_dot_iq2_s_q8_1PKvPK10block_q8_1RKiEEEvS4_S4_PT_iii.has_indirect_call, 0
	.section	.AMDGPU.csdata,"",@progbits
; Kernel info:
; codeLenInByte = 2268
; TotalNumSgprs: 22
; NumVgprs: 64
; ScratchSize: 0
; MemoryBound: 0
; FloatMode: 240
; IeeeMode: 1
; LDSByteSize: 0 bytes/workgroup (compile time only)
; SGPRBlocks: 2
; VGPRBlocks: 15
; NumSGPRsForWavesPerEU: 22
; NumVGPRsForWavesPerEU: 64
; Occupancy: 4
; WaveLimiterHint : 0
; COMPUTE_PGM_RSRC2:SCRATCH_EN: 0
; COMPUTE_PGM_RSRC2:USER_SGPR: 6
; COMPUTE_PGM_RSRC2:TRAP_HANDLER: 0
; COMPUTE_PGM_RSRC2:TGID_X_EN: 1
; COMPUTE_PGM_RSRC2:TGID_Y_EN: 1
; COMPUTE_PGM_RSRC2:TGID_Z_EN: 0
; COMPUTE_PGM_RSRC2:TIDIG_COMP_CNT: 1
	.section	.text._ZL13mul_mat_vec_qIN3c108BFloat16ELi256ELi8E12block_iq4_xsLi1EXadL_ZL19vec_dot_iq4_xs_q8_1PKvPK10block_q8_1RKiEEEvS4_S4_PT_iii,"axG",@progbits,_ZL13mul_mat_vec_qIN3c108BFloat16ELi256ELi8E12block_iq4_xsLi1EXadL_ZL19vec_dot_iq4_xs_q8_1PKvPK10block_q8_1RKiEEEvS4_S4_PT_iii,comdat
	.globl	_ZL13mul_mat_vec_qIN3c108BFloat16ELi256ELi8E12block_iq4_xsLi1EXadL_ZL19vec_dot_iq4_xs_q8_1PKvPK10block_q8_1RKiEEEvS4_S4_PT_iii ; -- Begin function _ZL13mul_mat_vec_qIN3c108BFloat16ELi256ELi8E12block_iq4_xsLi1EXadL_ZL19vec_dot_iq4_xs_q8_1PKvPK10block_q8_1RKiEEEvS4_S4_PT_iii
	.p2align	8
	.type	_ZL13mul_mat_vec_qIN3c108BFloat16ELi256ELi8E12block_iq4_xsLi1EXadL_ZL19vec_dot_iq4_xs_q8_1PKvPK10block_q8_1RKiEEEvS4_S4_PT_iii,@function
_ZL13mul_mat_vec_qIN3c108BFloat16ELi256ELi8E12block_iq4_xsLi1EXadL_ZL19vec_dot_iq4_xs_q8_1PKvPK10block_q8_1RKiEEEvS4_S4_PT_iii: ; @_ZL13mul_mat_vec_qIN3c108BFloat16ELi256ELi8E12block_iq4_xsLi1EXadL_ZL19vec_dot_iq4_xs_q8_1PKvPK10block_q8_1RKiEEEvS4_S4_PT_iii
; %bb.0:
	s_load_dword s8, s[4:5], 0x34
	s_load_dwordx4 s[0:3], s[4:5], 0x18
	s_waitcnt lgkmcnt(0)
	s_lshr_b32 s3, s8, 16
	s_mul_i32 s6, s6, s3
	v_add_u32_e32 v7, s6, v1
	s_cmp_lt_u32 s7, s2
	v_cmp_gt_u32_e32 vcc, s1, v7
	s_cselect_b64 s[2:3], -1, 0
	s_and_b64 s[2:3], s[2:3], vcc
	s_and_saveexec_b64 s[8:9], s[2:3]
	s_cbranch_execz .LBB115_7
; %bb.1:
	s_load_dwordx2 s[2:3], s[4:5], 0x10
	s_ashr_i32 s6, s0, 31
	s_lshr_b32 s6, s6, 24
	s_add_i32 s6, s0, s6
	s_ashr_i32 s6, s6, 8
	v_lshrrev_b32_e32 v9, 3, v0
	v_cmp_gt_u32_e32 vcc, s6, v9
	v_mov_b32_e32 v8, 0
	s_and_saveexec_b64 s[8:9], vcc
	s_cbranch_execz .LBB115_5
; %bb.2:
	s_load_dwordx4 s[12:15], s[4:5], 0x0
	s_addk_i32 s0, 0x1ff
	s_ashr_i32 s4, s0, 31
	s_lshr_b32 s4, s4, 23
	s_add_i32 s0, s0, s4
	v_and_b32_e32 v3, 7, v0
	s_ashr_i32 s0, s0, 9
	v_mul_lo_u32 v10, v7, s6
	s_waitcnt lgkmcnt(0)
	v_mad_u64_u32 v[1:2], s[4:5], v3, 36, s[14:15]
	s_mul_i32 s0, s7, s0
	v_lshlrev_b32_e32 v5, 2, v3
	v_lshlrev_b32_e32 v4, 2, v0
	v_lshlrev_b32_e32 v13, 1, v3
	v_lshlrev_b32_e32 v3, 3, v9
	v_and_b32_e32 v12, 4, v4
	v_lshl_add_u32 v14, s0, 4, v3
	v_mov_b32_e32 v3, s12
	v_mov_b32_e32 v8, 0
	v_bfe_u32 v11, v0, 1, 2
	s_mov_b64 s[4:5], 0
	s_movk_i32 s0, 0x88
	v_mov_b32_e32 v4, s13
	v_lshlrev_b32_e32 v15, 2, v5
	s_getpc_b64 s[10:11]
	s_add_u32 s10, s10, _ZL13kvalues_iq4nl@rel32@lo+4
	s_addc_u32 s11, s11, _ZL13kvalues_iq4nl@rel32@hi+12
.LBB115_3:                              ; =>This Inner Loop Header: Depth=1
	v_add_u32_e32 v5, v10, v9
	v_mad_i64_i32 v[5:6], s[12:13], v5, s0, v[3:4]
	v_mad_i64_i32 v[28:29], s[12:13], v14, 36, v[1:2]
	v_add_co_u32_e32 v16, vcc, v5, v15
	v_addc_co_u32_e32 v17, vcc, 0, v6, vcc
	global_load_dwordx4 v[16:19], v[16:17], off offset:8
	v_add_u32_e32 v9, 8, v9
	v_add_u32_e32 v14, 64, v14
	s_waitcnt vmcnt(0)
	v_and_b32_e32 v21, 15, v16
	v_bfe_u32 v22, v16, 8, 4
	global_load_ubyte v23, v21, s[10:11]
	global_load_ubyte v24, v22, s[10:11]
	v_bfe_u32 v20, v16, 24, 4
	v_bfe_u32 v22, v16, 16, 4
	s_waitcnt vmcnt(0)
	v_lshl_or_b32 v21, v24, 8, v23
	global_load_ubyte v23, v20, s[10:11]
	global_load_ubyte v24, v22, s[10:11]
	s_waitcnt vmcnt(1)
	v_lshlrev_b32_e32 v20, 24, v23
	s_waitcnt vmcnt(0)
	v_lshlrev_b32_e32 v22, 16, v24
	v_or3_b32 v24, v21, v22, v20
	v_bfe_u32 v20, v16, 4, 4
	v_bfe_u32 v21, v16, 12, 4
	global_load_ubyte v22, v20, s[10:11]
	global_load_ubyte v23, v21, s[10:11]
	v_lshrrev_b32_e32 v21, 28, v16
	v_bfe_u32 v16, v16, 20, 4
	global_load_ubyte v21, v21, s[10:11]
	s_waitcnt vmcnt(1)
	v_lshl_or_b32 v20, v23, 8, v22
	v_bfe_u32 v22, v17, 16, 4
	global_load_ubyte v22, v22, s[10:11]
	s_waitcnt vmcnt(0)
	v_lshlrev_b32_e32 v22, 16, v22
	global_load_ubyte v16, v16, s[10:11]
	v_lshlrev_b32_e32 v21, 24, v21
	s_waitcnt vmcnt(0)
	v_lshlrev_b32_e32 v16, 16, v16
	v_or3_b32 v16, v20, v16, v21
	v_and_b32_e32 v20, 15, v17
	v_bfe_u32 v21, v17, 8, 4
	global_load_ubyte v20, v20, s[10:11]
	s_nop 0
	global_load_ubyte v21, v21, s[10:11]
	s_waitcnt vmcnt(0)
	v_lshl_or_b32 v20, v21, 8, v20
	v_bfe_u32 v21, v17, 24, 4
	global_load_ubyte v21, v21, s[10:11]
	s_waitcnt vmcnt(0)
	v_lshlrev_b32_e32 v21, 24, v21
	v_or3_b32 v25, v20, v22, v21
	v_bfe_u32 v20, v17, 4, 4
	v_bfe_u32 v21, v17, 12, 4
	global_load_ubyte v20, v20, s[10:11]
	v_bfe_u32 v22, v18, 16, 4
	global_load_ubyte v21, v21, s[10:11]
	s_nop 0
	global_load_ubyte v22, v22, s[10:11]
	s_waitcnt vmcnt(1)
	v_lshl_or_b32 v20, v21, 8, v20
	v_lshrrev_b32_e32 v21, 28, v17
	v_bfe_u32 v17, v17, 20, 4
	global_load_ubyte v21, v21, s[10:11]
	s_waitcnt vmcnt(1)
	v_lshlrev_b32_e32 v22, 16, v22
	global_load_ubyte v17, v17, s[10:11]
	s_waitcnt vmcnt(1)
	v_lshlrev_b32_e32 v21, 24, v21
	s_waitcnt vmcnt(0)
	v_lshlrev_b32_e32 v17, 16, v17
	v_or3_b32 v17, v20, v17, v21
	v_and_b32_e32 v20, 15, v18
	v_bfe_u32 v21, v18, 8, 4
	global_load_ubyte v20, v20, s[10:11]
	s_nop 0
	global_load_ubyte v21, v21, s[10:11]
	s_waitcnt vmcnt(0)
	v_lshl_or_b32 v20, v21, 8, v20
	v_bfe_u32 v21, v18, 24, 4
	global_load_ubyte v21, v21, s[10:11]
	s_waitcnt vmcnt(0)
	v_lshlrev_b32_e32 v21, 24, v21
	v_or3_b32 v30, v20, v22, v21
	v_bfe_u32 v20, v18, 4, 4
	v_bfe_u32 v21, v18, 12, 4
	global_load_ubyte v20, v20, s[10:11]
	v_bfe_u32 v22, v19, 16, 4
	global_load_ubyte v21, v21, s[10:11]
	s_nop 0
	global_load_ubyte v22, v22, s[10:11]
	s_waitcnt vmcnt(1)
	v_lshl_or_b32 v20, v21, 8, v20
	v_lshrrev_b32_e32 v21, 28, v18
	v_bfe_u32 v18, v18, 20, 4
	global_load_ubyte v21, v21, s[10:11]
	s_waitcnt vmcnt(1)
	v_lshlrev_b32_e32 v22, 16, v22
	global_load_ubyte v18, v18, s[10:11]
	s_waitcnt vmcnt(1)
	v_lshlrev_b32_e32 v21, 24, v21
	s_waitcnt vmcnt(0)
	v_lshlrev_b32_e32 v18, 16, v18
	v_or3_b32 v18, v20, v18, v21
	v_and_b32_e32 v20, 15, v19
	v_bfe_u32 v21, v19, 8, 4
	global_load_ubyte v20, v20, s[10:11]
	s_nop 0
	global_load_ubyte v21, v21, s[10:11]
	s_waitcnt vmcnt(0)
	v_lshl_or_b32 v20, v21, 8, v20
	v_bfe_u32 v21, v19, 24, 4
	global_load_ubyte v21, v21, s[10:11]
	s_waitcnt vmcnt(0)
	v_lshlrev_b32_e32 v21, 24, v21
	v_or3_b32 v31, v20, v22, v21
	global_load_dwordx4 v[20:23], v[28:29], off
	s_waitcnt vmcnt(0)
	v_dot4_i32_i8 v21, v24, v21, 0
	v_dot4_i32_i8 v21, v25, v22, v21
	global_load_dwordx4 v[24:27], v[28:29], off offset:16
	v_dot4_i32_i8 v21, v30, v23, v21
	v_bfe_u32 v22, v19, 4, 4
	v_bfe_u32 v23, v19, 12, 4
	s_waitcnt vmcnt(0)
	v_dot4_i32_i8 v16, v16, v25, 0
	v_dot4_i32_i8 v16, v17, v26, v16
	v_add_co_u32_e32 v25, vcc, v5, v11
	v_dot4_i32_i8 v17, v18, v27, v16
	v_dot4_i32_i8 v18, v31, v24, v21
	v_cvt_f32_f16_e32 v16, v20
	v_bfe_u32 v20, v19, 20, 4
	v_lshrrev_b32_e32 v21, 28, v19
	global_load_dword v19, v[28:29], off offset:32
	v_addc_co_u32_e32 v26, vcc, 0, v6, vcc
	global_load_dword v24, v[5:6], off
	global_load_ubyte v27, v[25:26], off offset:4
	v_cmp_le_u32_e32 vcc, s6, v9
	s_or_b64 s[4:5], vcc, s[4:5]
	s_waitcnt vmcnt(1)
	v_lshrrev_b32_sdwa v5, v13, v24 dst_sel:DWORD dst_unused:UNUSED_PAD src0_sel:DWORD src1_sel:WORD_1
	v_lshlrev_b32_e32 v5, 4, v5
	s_waitcnt vmcnt(0)
	v_bfe_u32 v6, v27, v12, 4
	v_and_or_b32 v5, v5, 48, v6
	global_load_ubyte v6, v22, s[10:11]
	global_load_ubyte v25, v23, s[10:11]
	s_nop 0
	global_load_ubyte v22, v21, s[10:11]
	global_load_ubyte v23, v20, s[10:11]
	v_subrev_u32_e32 v5, 32, v5
	v_cvt_f32_f16_e32 v20, v24
	v_cvt_f32_i32_e32 v5, v5
	v_mul_f32_e32 v5, v20, v5
	v_mul_f32_e32 v5, v5, v16
	s_waitcnt vmcnt(2)
	v_lshl_or_b32 v6, v25, 8, v6
	s_waitcnt vmcnt(1)
	v_lshlrev_b32_e32 v21, 24, v22
	s_waitcnt vmcnt(0)
	v_lshlrev_b32_e32 v22, 16, v23
	v_or3_b32 v6, v6, v22, v21
	v_dot4_i32_i8 v6, v6, v19, v17
	v_add_u32_e32 v6, v6, v18
	v_cvt_f32_i32_e32 v6, v6
	v_fmac_f32_e32 v8, v5, v6
	s_andn2_b64 exec, exec, s[4:5]
	s_cbranch_execnz .LBB115_3
; %bb.4:
	s_or_b64 exec, exec, s[4:5]
.LBB115_5:
	s_or_b64 exec, exec, s[8:9]
	v_mbcnt_lo_u32_b32 v1, -1, 0
	v_mbcnt_hi_u32_b32 v2, -1, v1
	v_and_b32_e32 v1, 64, v2
	v_add_u32_e32 v3, 64, v1
	v_xor_b32_e32 v1, 32, v2
	v_cmp_lt_i32_e32 vcc, v1, v3
	v_cndmask_b32_e32 v1, v2, v1, vcc
	v_lshlrev_b32_e32 v1, 2, v1
	ds_bpermute_b32 v1, v1, v8
	v_xor_b32_e32 v4, 16, v2
	v_cmp_lt_i32_e32 vcc, v4, v3
	v_cndmask_b32_e32 v4, v2, v4, vcc
	v_lshlrev_b32_e32 v4, 2, v4
	s_waitcnt lgkmcnt(0)
	v_add_f32_e32 v1, v8, v1
	ds_bpermute_b32 v4, v4, v1
	v_xor_b32_e32 v5, 8, v2
	v_cmp_lt_i32_e32 vcc, v5, v3
	s_waitcnt lgkmcnt(0)
	v_add_f32_e32 v1, v1, v4
	v_cndmask_b32_e32 v4, v2, v5, vcc
	v_lshlrev_b32_e32 v4, 2, v4
	ds_bpermute_b32 v4, v4, v1
	v_xor_b32_e32 v5, 4, v2
	v_cmp_lt_i32_e32 vcc, v5, v3
	s_waitcnt lgkmcnt(0)
	v_add_f32_e32 v1, v1, v4
	v_cndmask_b32_e32 v4, v2, v5, vcc
	v_lshlrev_b32_e32 v4, 2, v4
	;; [unrolled: 7-line block ×3, first 2 shown]
	ds_bpermute_b32 v4, v4, v1
	v_xor_b32_e32 v5, 1, v2
	v_cmp_lt_i32_e32 vcc, v5, v3
	v_cndmask_b32_e32 v2, v2, v5, vcc
	v_lshlrev_b32_e32 v2, 2, v2
	s_waitcnt lgkmcnt(0)
	v_add_f32_e32 v1, v1, v4
	ds_bpermute_b32 v2, v2, v1
	v_cmp_eq_u32_e32 vcc, 0, v0
	s_and_b64 exec, exec, vcc
	s_cbranch_execz .LBB115_7
; %bb.6:
	s_waitcnt lgkmcnt(0)
	v_add_f32_e32 v0, v1, v2
	v_bfe_u32 v1, v0, 16, 1
	s_movk_i32 s0, 0x7fff
	v_add3_u32 v1, v0, v1, s0
	v_cmp_o_f32_e32 vcc, v0, v0
	v_mov_b32_e32 v0, 0x7fc0
	s_mul_i32 s0, s1, s7
	v_cndmask_b32_sdwa v2, v0, v1, vcc dst_sel:DWORD dst_unused:UNUSED_PAD src0_sel:DWORD src1_sel:WORD_1
	v_add_u32_e32 v0, s0, v7
	v_mov_b32_e32 v1, 0
	v_lshlrev_b64 v[0:1], 1, v[0:1]
	v_mov_b32_e32 v3, s3
	v_add_co_u32_e32 v0, vcc, s2, v0
	v_addc_co_u32_e32 v1, vcc, v3, v1, vcc
	global_store_short v[0:1], v2, off
.LBB115_7:
	s_endpgm
	.section	.rodata,"a",@progbits
	.p2align	6, 0x0
	.amdhsa_kernel _ZL13mul_mat_vec_qIN3c108BFloat16ELi256ELi8E12block_iq4_xsLi1EXadL_ZL19vec_dot_iq4_xs_q8_1PKvPK10block_q8_1RKiEEEvS4_S4_PT_iii
		.amdhsa_group_segment_fixed_size 0
		.amdhsa_private_segment_fixed_size 0
		.amdhsa_kernarg_size 296
		.amdhsa_user_sgpr_count 6
		.amdhsa_user_sgpr_private_segment_buffer 1
		.amdhsa_user_sgpr_dispatch_ptr 0
		.amdhsa_user_sgpr_queue_ptr 0
		.amdhsa_user_sgpr_kernarg_segment_ptr 1
		.amdhsa_user_sgpr_dispatch_id 0
		.amdhsa_user_sgpr_flat_scratch_init 0
		.amdhsa_user_sgpr_private_segment_size 0
		.amdhsa_uses_dynamic_stack 0
		.amdhsa_system_sgpr_private_segment_wavefront_offset 0
		.amdhsa_system_sgpr_workgroup_id_x 1
		.amdhsa_system_sgpr_workgroup_id_y 1
		.amdhsa_system_sgpr_workgroup_id_z 0
		.amdhsa_system_sgpr_workgroup_info 0
		.amdhsa_system_vgpr_workitem_id 1
		.amdhsa_next_free_vgpr 32
		.amdhsa_next_free_sgpr 16
		.amdhsa_reserve_vcc 1
		.amdhsa_reserve_flat_scratch 0
		.amdhsa_float_round_mode_32 0
		.amdhsa_float_round_mode_16_64 0
		.amdhsa_float_denorm_mode_32 3
		.amdhsa_float_denorm_mode_16_64 3
		.amdhsa_dx10_clamp 1
		.amdhsa_ieee_mode 1
		.amdhsa_fp16_overflow 0
		.amdhsa_exception_fp_ieee_invalid_op 0
		.amdhsa_exception_fp_denorm_src 0
		.amdhsa_exception_fp_ieee_div_zero 0
		.amdhsa_exception_fp_ieee_overflow 0
		.amdhsa_exception_fp_ieee_underflow 0
		.amdhsa_exception_fp_ieee_inexact 0
		.amdhsa_exception_int_div_zero 0
	.end_amdhsa_kernel
	.section	.text._ZL13mul_mat_vec_qIN3c108BFloat16ELi256ELi8E12block_iq4_xsLi1EXadL_ZL19vec_dot_iq4_xs_q8_1PKvPK10block_q8_1RKiEEEvS4_S4_PT_iii,"axG",@progbits,_ZL13mul_mat_vec_qIN3c108BFloat16ELi256ELi8E12block_iq4_xsLi1EXadL_ZL19vec_dot_iq4_xs_q8_1PKvPK10block_q8_1RKiEEEvS4_S4_PT_iii,comdat
.Lfunc_end115:
	.size	_ZL13mul_mat_vec_qIN3c108BFloat16ELi256ELi8E12block_iq4_xsLi1EXadL_ZL19vec_dot_iq4_xs_q8_1PKvPK10block_q8_1RKiEEEvS4_S4_PT_iii, .Lfunc_end115-_ZL13mul_mat_vec_qIN3c108BFloat16ELi256ELi8E12block_iq4_xsLi1EXadL_ZL19vec_dot_iq4_xs_q8_1PKvPK10block_q8_1RKiEEEvS4_S4_PT_iii
                                        ; -- End function
	.set _ZL13mul_mat_vec_qIN3c108BFloat16ELi256ELi8E12block_iq4_xsLi1EXadL_ZL19vec_dot_iq4_xs_q8_1PKvPK10block_q8_1RKiEEEvS4_S4_PT_iii.num_vgpr, 32
	.set _ZL13mul_mat_vec_qIN3c108BFloat16ELi256ELi8E12block_iq4_xsLi1EXadL_ZL19vec_dot_iq4_xs_q8_1PKvPK10block_q8_1RKiEEEvS4_S4_PT_iii.num_agpr, 0
	.set _ZL13mul_mat_vec_qIN3c108BFloat16ELi256ELi8E12block_iq4_xsLi1EXadL_ZL19vec_dot_iq4_xs_q8_1PKvPK10block_q8_1RKiEEEvS4_S4_PT_iii.numbered_sgpr, 16
	.set _ZL13mul_mat_vec_qIN3c108BFloat16ELi256ELi8E12block_iq4_xsLi1EXadL_ZL19vec_dot_iq4_xs_q8_1PKvPK10block_q8_1RKiEEEvS4_S4_PT_iii.num_named_barrier, 0
	.set _ZL13mul_mat_vec_qIN3c108BFloat16ELi256ELi8E12block_iq4_xsLi1EXadL_ZL19vec_dot_iq4_xs_q8_1PKvPK10block_q8_1RKiEEEvS4_S4_PT_iii.private_seg_size, 0
	.set _ZL13mul_mat_vec_qIN3c108BFloat16ELi256ELi8E12block_iq4_xsLi1EXadL_ZL19vec_dot_iq4_xs_q8_1PKvPK10block_q8_1RKiEEEvS4_S4_PT_iii.uses_vcc, 1
	.set _ZL13mul_mat_vec_qIN3c108BFloat16ELi256ELi8E12block_iq4_xsLi1EXadL_ZL19vec_dot_iq4_xs_q8_1PKvPK10block_q8_1RKiEEEvS4_S4_PT_iii.uses_flat_scratch, 0
	.set _ZL13mul_mat_vec_qIN3c108BFloat16ELi256ELi8E12block_iq4_xsLi1EXadL_ZL19vec_dot_iq4_xs_q8_1PKvPK10block_q8_1RKiEEEvS4_S4_PT_iii.has_dyn_sized_stack, 0
	.set _ZL13mul_mat_vec_qIN3c108BFloat16ELi256ELi8E12block_iq4_xsLi1EXadL_ZL19vec_dot_iq4_xs_q8_1PKvPK10block_q8_1RKiEEEvS4_S4_PT_iii.has_recursion, 0
	.set _ZL13mul_mat_vec_qIN3c108BFloat16ELi256ELi8E12block_iq4_xsLi1EXadL_ZL19vec_dot_iq4_xs_q8_1PKvPK10block_q8_1RKiEEEvS4_S4_PT_iii.has_indirect_call, 0
	.section	.AMDGPU.csdata,"",@progbits
; Kernel info:
; codeLenInByte = 1600
; TotalNumSgprs: 20
; NumVgprs: 32
; ScratchSize: 0
; MemoryBound: 0
; FloatMode: 240
; IeeeMode: 1
; LDSByteSize: 0 bytes/workgroup (compile time only)
; SGPRBlocks: 2
; VGPRBlocks: 7
; NumSGPRsForWavesPerEU: 20
; NumVGPRsForWavesPerEU: 32
; Occupancy: 8
; WaveLimiterHint : 0
; COMPUTE_PGM_RSRC2:SCRATCH_EN: 0
; COMPUTE_PGM_RSRC2:USER_SGPR: 6
; COMPUTE_PGM_RSRC2:TRAP_HANDLER: 0
; COMPUTE_PGM_RSRC2:TGID_X_EN: 1
; COMPUTE_PGM_RSRC2:TGID_Y_EN: 1
; COMPUTE_PGM_RSRC2:TGID_Z_EN: 0
; COMPUTE_PGM_RSRC2:TIDIG_COMP_CNT: 1
	.section	.text._ZL13mul_mat_vec_qIN3c108BFloat16ELi256ELi8E11block_iq1_mLi1EXadL_ZL18vec_dot_iq1_m_q8_1PKvPK10block_q8_1RKiEEEvS4_S4_PT_iii,"axG",@progbits,_ZL13mul_mat_vec_qIN3c108BFloat16ELi256ELi8E11block_iq1_mLi1EXadL_ZL18vec_dot_iq1_m_q8_1PKvPK10block_q8_1RKiEEEvS4_S4_PT_iii,comdat
	.globl	_ZL13mul_mat_vec_qIN3c108BFloat16ELi256ELi8E11block_iq1_mLi1EXadL_ZL18vec_dot_iq1_m_q8_1PKvPK10block_q8_1RKiEEEvS4_S4_PT_iii ; -- Begin function _ZL13mul_mat_vec_qIN3c108BFloat16ELi256ELi8E11block_iq1_mLi1EXadL_ZL18vec_dot_iq1_m_q8_1PKvPK10block_q8_1RKiEEEvS4_S4_PT_iii
	.p2align	8
	.type	_ZL13mul_mat_vec_qIN3c108BFloat16ELi256ELi8E11block_iq1_mLi1EXadL_ZL18vec_dot_iq1_m_q8_1PKvPK10block_q8_1RKiEEEvS4_S4_PT_iii,@function
_ZL13mul_mat_vec_qIN3c108BFloat16ELi256ELi8E11block_iq1_mLi1EXadL_ZL18vec_dot_iq1_m_q8_1PKvPK10block_q8_1RKiEEEvS4_S4_PT_iii: ; @_ZL13mul_mat_vec_qIN3c108BFloat16ELi256ELi8E11block_iq1_mLi1EXadL_ZL18vec_dot_iq1_m_q8_1PKvPK10block_q8_1RKiEEEvS4_S4_PT_iii
; %bb.0:
	s_load_dword s8, s[4:5], 0x34
	s_load_dwordx4 s[0:3], s[4:5], 0x18
	s_waitcnt lgkmcnt(0)
	s_lshr_b32 s3, s8, 16
	s_mul_i32 s6, s6, s3
	v_add_u32_e32 v13, s6, v1
	s_cmp_lt_u32 s7, s2
	v_cmp_gt_u32_e32 vcc, s1, v13
	s_cselect_b64 s[2:3], -1, 0
	s_and_b64 s[2:3], s[2:3], vcc
	s_and_saveexec_b64 s[8:9], s[2:3]
	s_cbranch_execz .LBB116_7
; %bb.1:
	s_load_dwordx2 s[2:3], s[4:5], 0x10
	s_ashr_i32 s6, s0, 31
	s_lshr_b32 s6, s6, 24
	s_add_i32 s6, s0, s6
	s_ashr_i32 s6, s6, 8
	v_lshrrev_b32_e32 v15, 3, v0
	v_cmp_gt_u32_e32 vcc, s6, v15
	v_mov_b32_e32 v14, 0
	s_and_saveexec_b64 s[12:13], vcc
	s_cbranch_execz .LBB116_5
; %bb.2:
	s_load_dwordx4 s[8:11], s[4:5], 0x0
	s_addk_i32 s0, 0x1ff
	s_ashr_i32 s4, s0, 31
	s_lshr_b32 s4, s4, 23
	v_and_b32_e32 v1, 7, v0
	s_add_i32 s0, s0, s4
	v_mul_lo_u32 v16, v13, s6
	s_waitcnt lgkmcnt(0)
	v_mad_u64_u32 v[9:10], s[4:5], v1, 36, s[10:11]
	s_ashr_i32 s0, s0, 9
	v_and_b32_e32 v3, 1, v0
	s_mul_i32 s0, s7, s0
	v_bfe_u32 v2, v0, 1, 2
	v_cmp_eq_u32_e32 vcc, 1, v3
	v_lshlrev_b32_e32 v3, 3, v15
	v_mov_b32_e32 v14, 0
	v_lshlrev_b32_e32 v17, 1, v1
	v_cndmask_b32_e64 v18, 0, 6, vcc
	v_lshl_add_u32 v19, s0, 4, v3
	s_mov_b64 s[4:5], 0
	v_lshlrev_b32_e32 v20, 2, v1
	s_mov_b32 s0, 0x1010101
	s_mov_b32 s14, 0x8000c
	s_movk_i32 s15, 0xf0
	v_lshlrev_b32_e32 v21, 1, v2
	s_movk_i32 s16, 0x700
	v_mov_b32_e32 v22, 4
	v_mov_b32_e32 v23, 8
.LBB116_3:                              ; =>This Inner Loop Header: Depth=1
	v_add_u32_e32 v1, v16, v15
	v_mad_i64_i32 v[11:12], s[10:11], v1, 56, s[8:9]
	v_mad_i64_i32 v[27:28], s[10:11], v19, 36, v[9:10]
	v_add_co_u32_e32 v1, vcc, v11, v20
	v_addc_co_u32_e32 v2, vcc, 0, v12, vcc
	v_add_co_u32_e32 v3, vcc, v11, v17
	v_addc_co_u32_e32 v4, vcc, 0, v12, vcc
	global_load_dword v26, v[1:2], off
	global_load_ushort v24, v[3:4], off offset:32
	s_nop 0
	global_load_dwordx4 v[1:4], v[27:28], off offset:16
	global_load_dword v25, v[27:28], off offset:32
	global_load_dwordx4 v[5:8], v[27:28], off
	v_add_co_u32_e32 v27, vcc, v11, v21
	v_addc_co_u32_e32 v28, vcc, 0, v12, vcc
	global_load_dwordx2 v[11:12], v[11:12], off offset:48
	s_nop 0
	global_load_ushort v27, v[27:28], off offset:48
	v_mov_b32_e32 v29, 0xbf600000
	s_getpc_b64 s[10:11]
	s_add_u32 s10, s10, _ZL13iq1s_grid_gpu@rel32@lo+4
	s_addc_u32 s11, s11, _ZL13iq1s_grid_gpu@rel32@hi+12
	v_mov_b32_e32 v30, 0xbf600000
	v_add_u32_e32 v15, 8, v15
	v_cmp_le_u32_e32 vcc, s6, v15
	v_add_u32_e32 v19, 64, v19
	s_or_b64 s[4:5], vcc, s[4:5]
	s_waitcnt vmcnt(6)
	v_and_b32_e32 v28, 0xff, v26
	s_waitcnt vmcnt(5)
	v_lshlrev_b32_e32 v31, 8, v24
	v_bfe_u32 v32, v26, 8, 8
	v_lshlrev_b32_e32 v33, 4, v24
	v_and_or_b32 v28, v31, s16, v28
	v_bfe_u32 v31, v26, 16, 8
	v_and_or_b32 v32, v33, s16, v32
	v_lshlrev_b32_sdwa v33, v23, v24 dst_sel:DWORD dst_unused:UNUSED_PAD src0_sel:DWORD src1_sel:BYTE_1
	v_and_or_b32 v31, v33, s16, v31
	v_and_b32_sdwa v33, v24, v23 dst_sel:DWORD dst_unused:UNUSED_PAD src0_sel:BYTE_1 src1_sel:DWORD
	v_cvt_f32_ubyte0_e32 v33, v33
	v_fmac_f32_e32 v29, 0xbd000000, v33
	v_lshrrev_b32_sdwa v33, v22, v24 dst_sel:DWORD dst_unused:UNUSED_PAD src0_sel:DWORD src1_sel:BYTE_1
	v_alignbit_b32 v26, v33, v26, 24
	v_lshlrev_b32_e32 v28, 3, v28
	v_and_b32_e32 v26, 0x7ff, v26
	global_load_dword v28, v28, s[10:11]
	v_lshlrev_b32_e32 v31, 3, v31
	v_lshlrev_b32_e32 v32, 3, v32
	;; [unrolled: 1-line block ×3, first 2 shown]
	global_load_dword v31, v31, s[10:11]
	s_nop 0
	global_load_dword v26, v26, s[10:11]
	s_nop 0
	global_load_dword v32, v32, s[10:11]
	v_and_b32_e32 v33, 8, v33
	v_cvt_f32_ubyte0_e32 v33, v33
	v_fmac_f32_e32 v30, 0xbd000000, v33
	s_waitcnt vmcnt(8)
	v_dot4_i32_i8 v33, v2, s0, 0
	v_dot4_i32_i8 v33, v3, s0, v33
	v_cvt_f32_i32_e32 v33, v33
	s_waitcnt vmcnt(5)
	v_pk_lshrrev_b16 v11, s14, v11
	s_waitcnt vmcnt(4)
	v_lshrrev_b32_e32 v27, v18, v27
	v_pk_lshrrev_b16 v12, 4, v12
	v_fma_f32 v29, v29, v33, 0
	v_dot4_i32_i8 v33, v4, s0, 0
	v_dot4_i32_i8 v33, v25, s0, v33
	v_cvt_f32_i32_e32 v33, v33
	v_and_b32_e32 v12, 0xf0000f00, v12
	v_cvt_f32_f16_e32 v5, v5
	v_fmac_f32_e32 v29, v30, v33
	v_and_b32_e32 v33, 8, v24
	v_bfe_u32 v24, v24, 4, 4
	v_mov_b32_e32 v30, 0xbf600000
	v_cvt_f32_ubyte0_e32 v33, v33
	v_and_b32_e32 v24, 8, v24
	v_fmac_f32_e32 v30, 0xbd000000, v33
	v_mov_b32_e32 v33, 0xbf600000
	v_cvt_f32_ubyte0_e32 v24, v24
	v_fmac_f32_e32 v33, 0xbd000000, v24
	v_dot4_i32_i8 v24, v6, s0, 0
	v_dot4_i32_i8 v24, v7, s0, v24
	v_cvt_f32_i32_e32 v24, v24
	v_fma_f32 v24, v30, v24, 0
	v_dot4_i32_i8 v30, v8, s0, 0
	v_dot4_i32_i8 v30, v1, s0, v30
	v_cvt_f32_i32_e32 v30, v30
	v_fmac_f32_e32 v24, v33, v30
	v_and_b32_sdwa v30, v11, s15 dst_sel:DWORD dst_unused:UNUSED_PAD src0_sel:WORD_1 src1_sel:DWORD
	v_or_b32_e32 v11, v30, v11
	v_lshlrev_b32_e32 v30, 1, v27
	v_and_b32_e32 v30, 14, v30
	v_or_b32_e32 v11, v11, v12
	v_or_b32_e32 v30, 1, v30
	v_or_b32_sdwa v11, v11, v12 dst_sel:DWORD dst_unused:UNUSED_PAD src0_sel:DWORD src1_sel:WORD_1
	v_cvt_f32_ubyte0_e32 v12, v30
	v_lshrrev_b32_e32 v27, 2, v27
	v_and_b32_e32 v27, 14, v27
	v_cvt_f32_f16_e32 v11, v11
	v_or_b32_e32 v27, 1, v27
	v_cvt_f32_ubyte0_e32 v27, v27
	s_waitcnt vmcnt(3)
	v_and_b32_e32 v30, 0xf0f0f0f, v28
	v_lshrrev_b32_e32 v28, 4, v28
	v_and_b32_e32 v28, 0xf0f0f0f, v28
	v_dot4_i32_i8 v6, v30, v6, 0
	v_dot4_i32_i8 v6, v28, v7, v6
	s_waitcnt vmcnt(0)
	v_and_b32_e32 v7, 0xf0f0f0f, v32
	v_dot4_i32_i8 v6, v7, v8, v6
	v_and_b32_e32 v7, 0xf0f0f0f, v31
	v_lshrrev_b32_e32 v8, 4, v31
	v_and_b32_e32 v8, 0xf0f0f0f, v8
	v_dot4_i32_i8 v2, v7, v2, 0
	v_and_b32_e32 v7, 0xf0f0f0f, v26
	v_lshrrev_b32_e32 v26, 4, v26
	v_dot4_i32_i8 v2, v8, v3, v2
	v_lshrrev_b32_e32 v28, 4, v32
	v_and_b32_e32 v8, 0xf0f0f0f, v26
	v_dot4_i32_i8 v2, v7, v4, v2
	v_and_b32_e32 v3, 0xf0f0f0f, v28
	v_dot4_i32_i8 v2, v8, v25, v2
	v_dot4_i32_i8 v1, v3, v1, v6
	v_cvt_f32_i32_e32 v2, v2
	v_cvt_f32_i32_e32 v1, v1
	v_mul_f32_e32 v3, v5, v11
	v_add_f32_e32 v2, v29, v2
	v_add_f32_e32 v1, v24, v1
	v_mul_f32_e32 v2, v2, v27
	v_fmac_f32_e32 v2, v1, v12
	v_fmac_f32_e32 v14, v3, v2
	s_andn2_b64 exec, exec, s[4:5]
	s_cbranch_execnz .LBB116_3
; %bb.4:
	s_or_b64 exec, exec, s[4:5]
.LBB116_5:
	s_or_b64 exec, exec, s[12:13]
	v_mbcnt_lo_u32_b32 v1, -1, 0
	v_mbcnt_hi_u32_b32 v2, -1, v1
	v_and_b32_e32 v1, 64, v2
	v_add_u32_e32 v3, 64, v1
	v_xor_b32_e32 v1, 32, v2
	v_cmp_lt_i32_e32 vcc, v1, v3
	v_cndmask_b32_e32 v1, v2, v1, vcc
	v_lshlrev_b32_e32 v1, 2, v1
	ds_bpermute_b32 v1, v1, v14
	v_xor_b32_e32 v4, 16, v2
	v_cmp_lt_i32_e32 vcc, v4, v3
	v_cndmask_b32_e32 v4, v2, v4, vcc
	v_lshlrev_b32_e32 v4, 2, v4
	s_waitcnt lgkmcnt(0)
	v_add_f32_e32 v1, v14, v1
	ds_bpermute_b32 v4, v4, v1
	v_xor_b32_e32 v5, 8, v2
	v_cmp_lt_i32_e32 vcc, v5, v3
	s_waitcnt lgkmcnt(0)
	v_add_f32_e32 v1, v1, v4
	v_cndmask_b32_e32 v4, v2, v5, vcc
	v_lshlrev_b32_e32 v4, 2, v4
	ds_bpermute_b32 v4, v4, v1
	v_xor_b32_e32 v5, 4, v2
	v_cmp_lt_i32_e32 vcc, v5, v3
	s_waitcnt lgkmcnt(0)
	v_add_f32_e32 v1, v1, v4
	v_cndmask_b32_e32 v4, v2, v5, vcc
	v_lshlrev_b32_e32 v4, 2, v4
	;; [unrolled: 7-line block ×3, first 2 shown]
	ds_bpermute_b32 v4, v4, v1
	v_xor_b32_e32 v5, 1, v2
	v_cmp_lt_i32_e32 vcc, v5, v3
	v_cndmask_b32_e32 v2, v2, v5, vcc
	v_lshlrev_b32_e32 v2, 2, v2
	s_waitcnt lgkmcnt(0)
	v_add_f32_e32 v1, v1, v4
	ds_bpermute_b32 v2, v2, v1
	v_cmp_eq_u32_e32 vcc, 0, v0
	s_and_b64 exec, exec, vcc
	s_cbranch_execz .LBB116_7
; %bb.6:
	s_waitcnt lgkmcnt(0)
	v_add_f32_e32 v0, v1, v2
	v_bfe_u32 v1, v0, 16, 1
	s_movk_i32 s0, 0x7fff
	v_add3_u32 v1, v0, v1, s0
	v_cmp_o_f32_e32 vcc, v0, v0
	v_mov_b32_e32 v0, 0x7fc0
	s_mul_i32 s0, s1, s7
	v_cndmask_b32_sdwa v2, v0, v1, vcc dst_sel:DWORD dst_unused:UNUSED_PAD src0_sel:DWORD src1_sel:WORD_1
	v_add_u32_e32 v0, s0, v13
	v_mov_b32_e32 v1, 0
	v_lshlrev_b64 v[0:1], 1, v[0:1]
	v_mov_b32_e32 v3, s3
	v_add_co_u32_e32 v0, vcc, s2, v0
	v_addc_co_u32_e32 v1, vcc, v3, v1, vcc
	global_store_short v[0:1], v2, off
.LBB116_7:
	s_endpgm
	.section	.rodata,"a",@progbits
	.p2align	6, 0x0
	.amdhsa_kernel _ZL13mul_mat_vec_qIN3c108BFloat16ELi256ELi8E11block_iq1_mLi1EXadL_ZL18vec_dot_iq1_m_q8_1PKvPK10block_q8_1RKiEEEvS4_S4_PT_iii
		.amdhsa_group_segment_fixed_size 0
		.amdhsa_private_segment_fixed_size 0
		.amdhsa_kernarg_size 296
		.amdhsa_user_sgpr_count 6
		.amdhsa_user_sgpr_private_segment_buffer 1
		.amdhsa_user_sgpr_dispatch_ptr 0
		.amdhsa_user_sgpr_queue_ptr 0
		.amdhsa_user_sgpr_kernarg_segment_ptr 1
		.amdhsa_user_sgpr_dispatch_id 0
		.amdhsa_user_sgpr_flat_scratch_init 0
		.amdhsa_user_sgpr_private_segment_size 0
		.amdhsa_uses_dynamic_stack 0
		.amdhsa_system_sgpr_private_segment_wavefront_offset 0
		.amdhsa_system_sgpr_workgroup_id_x 1
		.amdhsa_system_sgpr_workgroup_id_y 1
		.amdhsa_system_sgpr_workgroup_id_z 0
		.amdhsa_system_sgpr_workgroup_info 0
		.amdhsa_system_vgpr_workitem_id 1
		.amdhsa_next_free_vgpr 34
		.amdhsa_next_free_sgpr 17
		.amdhsa_reserve_vcc 1
		.amdhsa_reserve_flat_scratch 0
		.amdhsa_float_round_mode_32 0
		.amdhsa_float_round_mode_16_64 0
		.amdhsa_float_denorm_mode_32 3
		.amdhsa_float_denorm_mode_16_64 3
		.amdhsa_dx10_clamp 1
		.amdhsa_ieee_mode 1
		.amdhsa_fp16_overflow 0
		.amdhsa_exception_fp_ieee_invalid_op 0
		.amdhsa_exception_fp_denorm_src 0
		.amdhsa_exception_fp_ieee_div_zero 0
		.amdhsa_exception_fp_ieee_overflow 0
		.amdhsa_exception_fp_ieee_underflow 0
		.amdhsa_exception_fp_ieee_inexact 0
		.amdhsa_exception_int_div_zero 0
	.end_amdhsa_kernel
	.section	.text._ZL13mul_mat_vec_qIN3c108BFloat16ELi256ELi8E11block_iq1_mLi1EXadL_ZL18vec_dot_iq1_m_q8_1PKvPK10block_q8_1RKiEEEvS4_S4_PT_iii,"axG",@progbits,_ZL13mul_mat_vec_qIN3c108BFloat16ELi256ELi8E11block_iq1_mLi1EXadL_ZL18vec_dot_iq1_m_q8_1PKvPK10block_q8_1RKiEEEvS4_S4_PT_iii,comdat
.Lfunc_end116:
	.size	_ZL13mul_mat_vec_qIN3c108BFloat16ELi256ELi8E11block_iq1_mLi1EXadL_ZL18vec_dot_iq1_m_q8_1PKvPK10block_q8_1RKiEEEvS4_S4_PT_iii, .Lfunc_end116-_ZL13mul_mat_vec_qIN3c108BFloat16ELi256ELi8E11block_iq1_mLi1EXadL_ZL18vec_dot_iq1_m_q8_1PKvPK10block_q8_1RKiEEEvS4_S4_PT_iii
                                        ; -- End function
	.set _ZL13mul_mat_vec_qIN3c108BFloat16ELi256ELi8E11block_iq1_mLi1EXadL_ZL18vec_dot_iq1_m_q8_1PKvPK10block_q8_1RKiEEEvS4_S4_PT_iii.num_vgpr, 34
	.set _ZL13mul_mat_vec_qIN3c108BFloat16ELi256ELi8E11block_iq1_mLi1EXadL_ZL18vec_dot_iq1_m_q8_1PKvPK10block_q8_1RKiEEEvS4_S4_PT_iii.num_agpr, 0
	.set _ZL13mul_mat_vec_qIN3c108BFloat16ELi256ELi8E11block_iq1_mLi1EXadL_ZL18vec_dot_iq1_m_q8_1PKvPK10block_q8_1RKiEEEvS4_S4_PT_iii.numbered_sgpr, 17
	.set _ZL13mul_mat_vec_qIN3c108BFloat16ELi256ELi8E11block_iq1_mLi1EXadL_ZL18vec_dot_iq1_m_q8_1PKvPK10block_q8_1RKiEEEvS4_S4_PT_iii.num_named_barrier, 0
	.set _ZL13mul_mat_vec_qIN3c108BFloat16ELi256ELi8E11block_iq1_mLi1EXadL_ZL18vec_dot_iq1_m_q8_1PKvPK10block_q8_1RKiEEEvS4_S4_PT_iii.private_seg_size, 0
	.set _ZL13mul_mat_vec_qIN3c108BFloat16ELi256ELi8E11block_iq1_mLi1EXadL_ZL18vec_dot_iq1_m_q8_1PKvPK10block_q8_1RKiEEEvS4_S4_PT_iii.uses_vcc, 1
	.set _ZL13mul_mat_vec_qIN3c108BFloat16ELi256ELi8E11block_iq1_mLi1EXadL_ZL18vec_dot_iq1_m_q8_1PKvPK10block_q8_1RKiEEEvS4_S4_PT_iii.uses_flat_scratch, 0
	.set _ZL13mul_mat_vec_qIN3c108BFloat16ELi256ELi8E11block_iq1_mLi1EXadL_ZL18vec_dot_iq1_m_q8_1PKvPK10block_q8_1RKiEEEvS4_S4_PT_iii.has_dyn_sized_stack, 0
	.set _ZL13mul_mat_vec_qIN3c108BFloat16ELi256ELi8E11block_iq1_mLi1EXadL_ZL18vec_dot_iq1_m_q8_1PKvPK10block_q8_1RKiEEEvS4_S4_PT_iii.has_recursion, 0
	.set _ZL13mul_mat_vec_qIN3c108BFloat16ELi256ELi8E11block_iq1_mLi1EXadL_ZL18vec_dot_iq1_m_q8_1PKvPK10block_q8_1RKiEEEvS4_S4_PT_iii.has_indirect_call, 0
	.section	.AMDGPU.csdata,"",@progbits
; Kernel info:
; codeLenInByte = 1368
; TotalNumSgprs: 21
; NumVgprs: 34
; ScratchSize: 0
; MemoryBound: 0
; FloatMode: 240
; IeeeMode: 1
; LDSByteSize: 0 bytes/workgroup (compile time only)
; SGPRBlocks: 2
; VGPRBlocks: 8
; NumSGPRsForWavesPerEU: 21
; NumVGPRsForWavesPerEU: 34
; Occupancy: 7
; WaveLimiterHint : 0
; COMPUTE_PGM_RSRC2:SCRATCH_EN: 0
; COMPUTE_PGM_RSRC2:USER_SGPR: 6
; COMPUTE_PGM_RSRC2:TRAP_HANDLER: 0
; COMPUTE_PGM_RSRC2:TGID_X_EN: 1
; COMPUTE_PGM_RSRC2:TGID_Y_EN: 1
; COMPUTE_PGM_RSRC2:TGID_Z_EN: 0
; COMPUTE_PGM_RSRC2:TIDIG_COMP_CNT: 1
	.section	.text._ZL12mul_mat_q4_0IfLb0EEvPKvS1_PT_iiiii,"axG",@progbits,_ZL12mul_mat_q4_0IfLb0EEvPKvS1_PT_iiiii,comdat
	.globl	_ZL12mul_mat_q4_0IfLb0EEvPKvS1_PT_iiiii ; -- Begin function _ZL12mul_mat_q4_0IfLb0EEvPKvS1_PT_iiiii
	.p2align	8
	.type	_ZL12mul_mat_q4_0IfLb0EEvPKvS1_PT_iiiii,@function
_ZL12mul_mat_q4_0IfLb0EEvPKvS1_PT_iiiii: ; @_ZL12mul_mat_q4_0IfLb0EEvPKvS1_PT_iiiii
; %bb.0:
	s_mov_b64 s[22:23], s[2:3]
	s_mov_b64 s[20:21], s[0:1]
	s_add_u32 s20, s20, s8
	s_load_dword s14, s[4:5], 0x18
	s_load_dwordx4 s[8:11], s[4:5], 0x20
	s_addc_u32 s21, s21, 0
	v_mov_b32_e32 v36, v1
	s_waitcnt lgkmcnt(0)
	s_lshl_b32 s11, s7, 6
	s_cmp_gt_i32 s14, 31
	v_add_u32_e32 v12, s11, v36
	s_cbranch_scc1 .LBB117_2
; %bb.1:
	v_add_u32_e32 v1, s11, v36
	s_mov_b64 s[0:1], 0
	s_branch .LBB117_3
.LBB117_2:
	s_mov_b64 s[0:1], -1
                                        ; implicit-def: $vgpr1
.LBB117_3:
	s_load_dwordx2 s[12:13], s[4:5], 0x10
	s_lshl_b32 s6, s6, 7
	v_mov_b32_e32 v15, 0
	s_andn2_b64 vcc, exec, s[0:1]
	v_mov_b32_e32 v19, 0
	v_mov_b32_e32 v23, 0
	;; [unrolled: 1-line block ×31, first 2 shown]
	s_cbranch_vccnz .LBB117_14
; %bb.4:
	s_load_dwordx4 s[0:3], s[4:5], 0x0
	s_ashr_i32 s4, s14, 31
	s_lshr_b32 s4, s4, 27
	s_ashr_i32 s5, s9, 31
	s_add_i32 s14, s14, s4
	s_lshr_b32 s5, s5, 27
	s_ashr_i32 s4, s14, 5
	s_add_i32 s5, s9, s5
	s_ashr_i32 s16, s5, 5
	s_mul_i32 s5, s4, s6
	v_mul_lo_u32 v46, s4, v36
	s_mul_hi_i32 s7, s5, 18
	s_mul_i32 s5, s5, 18
	s_waitcnt lgkmcnt(0)
	s_add_u32 s5, s0, s5
	s_addc_u32 s7, s1, s7
	s_lshl_b32 s1, s4, 3
	v_add_u32_e32 v48, s1, v46
	v_add_u32_e32 v49, s1, v48
	;; [unrolled: 1-line block ×13, first 2 shown]
	v_lshrrev_b32_e32 v1, 3, v0
	v_add_u32_e32 v63, s1, v61
	v_and_b32_e32 v101, 7, v0
	v_lshl_add_u32 v1, v36, 2, v1
	v_add_u32_e32 v64, s1, v63
	v_and_b32_e32 v2, 0x7fc, v1
	v_lshlrev_b32_e32 v4, 2, v101
	s_movk_i32 s1, 0x6200
	v_add3_u32 v13, v2, v4, s1
	v_add_u32_e32 v2, 32, v1
	v_mul_lo_u32 v67, s4, v1
	v_lshlrev_b32_e32 v14, 5, v1
	v_and_b32_e32 v5, 0xffc, v2
	v_lshlrev_b32_e32 v16, 5, v2
	v_add_u32_e32 v2, 64, v1
	v_add_u32_e32 v1, 0x60, v1
	v_lshlrev_b32_e32 v3, 2, v0
	s_movk_i32 s0, 0x84
	v_add3_u32 v15, v5, v4, s1
	v_and_b32_e32 v5, 0xffc, v2
	v_lshlrev_b32_e32 v18, 5, v2
	v_and_b32_e32 v2, 0xffc, v1
	v_lshrrev_b32_e32 v100, 2, v0
	v_and_b32_e32 v45, 12, v3
	v_mad_u32_u24 v47, v36, s0, v3
	v_add3_u32 v17, v5, v4, s1
	v_add3_u32 v19, v2, v4, s1
	s_add_i32 s1, s8, -1
	v_and_b32_e32 v4, 31, v0
	v_and_b32_e32 v21, 28, v3
	v_mov_b32_e32 v3, 0x4200
	v_lshlrev_b32_e32 v20, 5, v1
	v_cvt_f64_i32_e32 v[1:2], s1
	v_lshl_or_b32 v25, v4, 2, v3
	v_lshl_add_u32 v3, v36, 3, v100
	v_cvt_f64_u32_e32 v[4:5], v12
	v_and_b32_e32 v10, 63, v3
	v_or_b32_e32 v6, s11, v10
	v_min_i32_e32 v11, s1, v6
	v_add_u32_e32 v6, 8, v12
	v_cvt_f64_u32_e32 v[6:7], v6
	v_min_f64 v[4:5], v[4:5], v[1:2]
	v_add_u32_e32 v8, 16, v12
	v_cvt_f64_u32_e32 v[8:9], v8
	v_min_f64 v[6:7], v[6:7], v[1:2]
	s_andn2_b32 s14, s14, 31
	v_add_u32_e32 v68, s14, v67
	v_add_u32_e32 v70, s14, v68
	v_and_b32_e32 v3, 3, v0
	v_add_u32_e32 v71, s14, v70
	v_mad_u64_u32 v[22:23], s[14:15], v11, s16, v[3:4]
	v_min_f64 v[8:9], v[8:9], v[1:2]
	v_cvt_i32_f64_e32 v4, v[4:5]
	v_lshlrev_b32_e32 v3, 2, v3
	v_lshl_or_b32 v3, v10, 4, v3
	v_add_u32_e32 v3, 0x7280, v3
	buffer_store_dword v22, off, s[20:23], 0 offset:52 ; 4-byte Folded Spill
	s_nop 0
	buffer_store_dword v23, off, s[20:23], 0 offset:56 ; 4-byte Folded Spill
	buffer_store_dword v3, off, s[20:23], 0 ; 4-byte Folded Spill
	v_cvt_i32_f64_e32 v3, v[6:7]
	v_mul_lo_u32 v4, s16, v4
	v_add_u32_e32 v7, 40, v12
	v_add_u32_e32 v5, 32, v12
	v_mul_lo_u32 v3, s16, v3
	buffer_store_dword v4, off, s[20:23], 0 offset:4 ; 4-byte Folded Spill
	v_cvt_i32_f64_e32 v4, v[8:9]
	v_cvt_f64_u32_e32 v[7:8], v7
	buffer_store_dword v3, off, s[20:23], 0 offset:8 ; 4-byte Folded Spill
	v_add_u32_e32 v9, 48, v12
	v_mul_lo_u32 v3, s16, v4
	v_min_f64 v[7:8], v[7:8], v[1:2]
	v_cvt_f64_u32_e32 v[9:10], v9
	v_add_u32_e32 v11, 56, v12
	buffer_store_dword v3, off, s[20:23], 0 offset:12 ; 4-byte Folded Spill
	v_add_u32_e32 v3, 24, v12
	v_cvt_f64_u32_e32 v[3:4], v3
	v_cvt_f64_u32_e32 v[5:6], v5
	buffer_store_dword v12, off, s[20:23], 0 offset:108 ; 4-byte Folded Spill
	v_cvt_f64_u32_e32 v[11:12], v11
	v_min_f64 v[3:4], v[3:4], v[1:2]
	v_cvt_i32_f64_e32 v7, v[7:8]
	v_min_f64 v[5:6], v[5:6], v[1:2]
	v_add_u32_e32 v8, 0x60, v0
	v_and_b32_e32 v8, 0x1fc, v8
	v_lshlrev_b32_e32 v26, 7, v36
	v_add_u32_e32 v22, 0x400, v26
	v_add_u32_e32 v23, 0x800, v26
	v_cvt_i32_f64_e32 v24, v[3:4]
	v_min_f64 v[3:4], v[9:10], v[1:2]
	v_min_f64 v[1:2], v[11:12], v[1:2]
	v_add_co_u32_e32 v11, vcc, s2, v21
	v_cvt_i32_f64_e32 v5, v[5:6]
	v_mul_lo_u32 v6, s16, v24
	v_mov_b32_e32 v38, 0
	s_add_i32 s9, s4, 3
	v_cvt_i32_f64_e32 v3, v[3:4]
	v_mul_lo_u32 v4, s16, v7
	v_add_u32_e32 v7, 64, v0
	v_cvt_i32_f64_e32 v1, v[1:2]
	v_and_b32_e32 v7, 0x1fc, v7
	buffer_store_dword v4, off, s[20:23], 0 offset:24 ; 4-byte Folded Spill
	v_add_u32_e32 v4, 32, v0
	v_lshrrev_b32_e32 v9, 3, v4
	buffer_store_dword v9, off, s[20:23], 0 offset:80 ; 4-byte Folded Spill
	v_mov_b32_e32 v9, s3
	v_addc_co_u32_e32 v12, vcc, 0, v9, vcc
	v_lshlrev_b32_e32 v9, 5, v0
	v_add_u32_e32 v8, v9, v8
	v_add_u32_e32 v10, 0x6e00, v8
	;; [unrolled: 1-line block ×3, first 2 shown]
	v_and_b32_e32 v4, 0x1fc, v4
	buffer_store_dword v10, off, s[20:23], 0 offset:64 ; 4-byte Folded Spill
	v_add_u32_e32 v10, 0x6a00, v7
	v_add_u32_e32 v4, v9, v4
	buffer_store_dword v10, off, s[20:23], 0 offset:68 ; 4-byte Folded Spill
	v_add_u32_e32 v10, 0x6600, v4
	v_mul_lo_u32 v5, s16, v5
	v_mul_lo_u32 v3, s16, v3
	;; [unrolled: 1-line block ×3, first 2 shown]
	buffer_store_dword v10, off, s[20:23], 0 offset:72 ; 4-byte Folded Spill
	v_and_b32_e32 v10, 0xfc, v0
	v_add_u32_e32 v9, v9, v10
	v_add_u32_e32 v10, 0x6200, v9
	;; [unrolled: 1-line block ×3, first 2 shown]
	buffer_store_dword v10, off, s[20:23], 0 offset:76 ; 4-byte Folded Spill
	v_mov_b32_e32 v10, 0x7280
	buffer_store_dword v4, off, s[20:23], 0 offset:96 ; 4-byte Folded Spill
	v_add_u32_e32 v4, 0x6210, v9
	buffer_store_dword v6, off, s[20:23], 0 offset:16 ; 4-byte Folded Spill
	v_add_u32_e32 v6, 0xc00, v26
	;; [unrolled: 2-line block ×3, first 2 shown]
	v_add_u32_e32 v2, 0x1400, v26
	buffer_store_dword v3, off, s[20:23], 0 offset:28 ; 4-byte Folded Spill
	v_add_u32_e32 v3, 0x1800, v26
	buffer_store_dword v1, off, s[20:23], 0 offset:32 ; 4-byte Folded Spill
	v_add_u32_e32 v1, 0x1c00, v26
	v_lshl_add_u32 v89, v36, 4, v10
	v_add_u32_e32 v10, 0x4200, v26
	buffer_store_dword v4, off, s[20:23], 0 offset:100 ; 4-byte Folded Spill
	v_add_u32_e32 v4, v25, v22
	buffer_store_dword v26, off, s[20:23], 0 offset:60 ; 4-byte Folded Spill
	buffer_store_dword v10, off, s[20:23], 0 offset:36 ; 4-byte Folded Spill
	v_mad_u32_u24 v10, v0, s0, 64
	v_add_u32_e32 v8, 0x6e10, v8
	v_add_u32_e32 v7, 0x6a10, v7
	s_mov_b32 s14, 0
	v_add_u32_e32 v96, v13, v14
	v_add_u32_e32 v97, v15, v16
	;; [unrolled: 1-line block ×4, first 2 shown]
	buffer_store_dword v4, off, s[20:23], 0 offset:40 ; 4-byte Folded Spill
	v_add_u32_e32 v4, v25, v23
	v_add_u32_e32 v102, v25, v6
	;; [unrolled: 1-line block ×5, first 2 shown]
	buffer_store_dword v25, off, s[20:23], 0 offset:48 ; 4-byte Folded Spill
	v_add_u32_e32 v106, v25, v1
	v_mov_b32_e32 v51, 0
	v_mov_b32_e32 v40, 0
	;; [unrolled: 1-line block ×31, first 2 shown]
	buffer_store_dword v36, off, s[20:23], 0 offset:104 ; 4-byte Folded Spill
	buffer_store_dword v10, off, s[20:23], 0 offset:84 ; 4-byte Folded Spill
	;; [unrolled: 1-line block ×5, first 2 shown]
	s_branch .LBB117_6
.LBB117_5:                              ;   in Loop: Header=BB117_6 Depth=1
	s_add_i32 s14, s14, 8
	s_add_i32 s9, s9, -8
	s_cmp_ge_i32 s14, s4
	s_cbranch_scc1 .LBB117_13
.LBB117_6:                              ; =>This Loop Header: Depth=1
                                        ;     Child Loop BB117_8 Depth 2
                                        ;     Child Loop BB117_11 Depth 2
	s_mul_i32 s0, s14, 18
	s_mul_hi_u32 s1, s14, 18
	s_add_u32 s0, s5, s0
	s_addc_u32 s1, s7, s1
	v_mad_u64_u32 v[2:3], s[16:17], v100, 18, s[0:1]
	v_mad_u64_u32 v[84:85], s[0:1], v101, 18, s[0:1]
	;; [unrolled: 1-line block ×4, first 2 shown]
	v_add_co_u32_e32 v4, vcc, v4, v45
	v_mad_u64_u32 v[8:9], s[16:17], v49, 18, v[2:3]
	v_addc_co_u32_e32 v5, vcc, 0, v5, vcc
	v_add_co_u32_e32 v6, vcc, v6, v45
	v_addc_co_u32_e32 v7, vcc, 0, v7, vcc
	v_mad_u64_u32 v[13:14], s[16:17], v50, 18, v[2:3]
	v_add_co_u32_e32 v65, vcc, v8, v45
	v_addc_co_u32_e32 v66, vcc, 0, v9, vcc
	v_mad_u64_u32 v[8:9], s[16:17], v52, 18, v[2:3]
	;; [unrolled: 3-line block ×4, first 2 shown]
	v_add_co_u32_e32 v74, vcc, v74, v45
	v_mad_u64_u32 v[78:79], s[16:17], v55, 18, v[2:3]
	v_addc_co_u32_e32 v75, vcc, 0, v75, vcc
	v_add_co_u32_e32 v80, vcc, v8, v45
	v_addc_co_u32_e32 v81, vcc, 0, v9, vcc
	v_mad_u64_u32 v[82:83], s[16:17], v56, 18, v[2:3]
	v_add_co_u32_e32 v78, vcc, v78, v45
	v_addc_co_u32_e32 v79, vcc, 0, v79, vcc
	global_load_dword v10, v[4:5], off offset:2
	global_load_dword v9, v[6:7], off offset:2
	;; [unrolled: 1-line block ×3, first 2 shown]
	s_nop 0
	global_load_dword v7, v[13:14], off offset:2
	global_load_dword v6, v[76:77], off offset:2
	;; [unrolled: 1-line block ×5, first 2 shown]
	v_mad_u64_u32 v[65:66], s[16:17], v57, 18, v[2:3]
	v_add_co_u32_e32 v13, vcc, v82, v45
	v_mad_u64_u32 v[74:75], s[16:17], v58, 18, v[2:3]
	v_addc_co_u32_e32 v14, vcc, 0, v83, vcc
	v_add_co_u32_e32 v65, vcc, v65, v45
	v_mad_u64_u32 v[76:77], s[16:17], v59, 18, v[2:3]
	v_addc_co_u32_e32 v66, vcc, 0, v66, vcc
	v_add_co_u32_e32 v74, vcc, v74, v45
	v_mad_u64_u32 v[78:79], s[16:17], v60, 18, v[2:3]
	v_addc_co_u32_e32 v75, vcc, 0, v75, vcc
	v_add_co_u32_e32 v76, vcc, v76, v45
	v_mad_u64_u32 v[80:81], s[16:17], v61, 18, v[2:3]
	v_addc_co_u32_e32 v77, vcc, 0, v77, vcc
	v_add_co_u32_e32 v78, vcc, v78, v45
	v_mad_u64_u32 v[82:83], s[16:17], v63, 18, v[2:3]
	v_addc_co_u32_e32 v79, vcc, 0, v79, vcc
	v_add_co_u32_e32 v80, vcc, v80, v45
	v_mad_u64_u32 v[2:3], s[16:17], v64, 18, v[2:3]
	v_addc_co_u32_e32 v81, vcc, 0, v81, vcc
	v_add_co_u32_e32 v82, vcc, v82, v45
	global_load_dword v13, v[13:14], off offset:2
	v_addc_co_u32_e32 v83, vcc, 0, v83, vcc
	v_add_co_u32_e32 v2, vcc, v2, v45
	v_addc_co_u32_e32 v3, vcc, 0, v3, vcc
	v_mad_u64_u32 v[86:87], s[0:1], v67, 18, v[84:85]
	global_load_dword v14, v[65:66], off offset:2
	global_load_dword v36, v[74:75], off offset:2
	;; [unrolled: 1-line block ×4, first 2 shown]
	s_nop 0
	global_load_dword v76, v[80:81], off offset:2
	global_load_dword v77, v[82:83], off offset:2
	;; [unrolled: 1-line block ×3, first 2 shown]
	global_load_ushort v79, v[86:87], off
	v_mad_u64_u32 v[2:3], s[0:1], v68, 18, v[84:85]
	v_mad_u64_u32 v[65:66], s[0:1], v70, 18, v[84:85]
	;; [unrolled: 1-line block ×3, first 2 shown]
	global_load_ushort v2, v[2:3], off
	s_nop 0
	global_load_ushort v3, v[65:66], off
	s_nop 0
	global_load_ushort v65, v[74:75], off
	s_cmp_gt_u32 s9, 3
	s_waitcnt vmcnt(19)
	ds_write_b32 v47, v10
	v_add_u32_e32 v10, 0x420, v47
	s_waitcnt vmcnt(18)
	ds_write_b32 v10, v9
	v_add_u32_e32 v9, 0x840, v47
	s_waitcnt vmcnt(17)
	ds_write_b32 v9, v8
	v_add_u32_e32 v8, 0xc60, v47
	s_waitcnt vmcnt(16)
	ds_write_b32 v8, v7
	v_add_u32_e32 v7, 0x1080, v47
	s_waitcnt vmcnt(15)
	ds_write_b32 v7, v6
	v_add_u32_e32 v6, 0x14a0, v47
	s_waitcnt vmcnt(14)
	ds_write_b32 v6, v5
	v_add_u32_e32 v5, 0x18c0, v47
	s_waitcnt vmcnt(13)
	ds_write_b32 v5, v4
	v_add_u32_e32 v4, 0x1ce0, v47
	s_waitcnt vmcnt(12)
	ds_write_b32 v4, v1
	v_add_u32_e32 v1, 0x2100, v47
	s_waitcnt vmcnt(11)
	ds_write_b32 v1, v13
	v_add_u32_e32 v1, 0x2520, v47
	s_waitcnt vmcnt(10)
	ds_write_b32 v1, v14
	v_add_u32_e32 v1, 0x2940, v47
	s_waitcnt vmcnt(9)
	ds_write_b32 v1, v36
	v_add_u32_e32 v1, 0x2d60, v47
	s_waitcnt vmcnt(8)
	ds_write_b32 v1, v44
	v_add_u32_e32 v1, 0x3180, v47
	s_waitcnt vmcnt(7)
	ds_write_b32 v1, v72
	v_add_u32_e32 v1, 0x35a0, v47
	s_waitcnt vmcnt(6)
	ds_write_b32 v1, v76
	v_add_u32_e32 v1, 0x39c0, v47
	s_waitcnt vmcnt(5)
	ds_write_b32 v1, v77
	v_add_u32_e32 v1, 0x3de0, v47
	s_waitcnt vmcnt(3)
	v_cvt_f32_f16_e32 v4, v79
	ds_write_b32 v1, v78
	s_waitcnt vmcnt(2)
	v_cvt_f32_f16_e32 v1, v2
	s_waitcnt vmcnt(1)
	v_cvt_f32_f16_e32 v2, v3
	;; [unrolled: 2-line block ×3, first 2 shown]
	ds_write_b32 v96, v4
	ds_write_b32 v97, v1
	;; [unrolled: 1-line block ×4, first 2 shown]
	s_cbranch_scc0 .LBB117_5
; %bb.7:                                ;   in Loop: Header=BB117_6 Depth=1
	buffer_load_dword v1, off, s[20:23], 0 offset:52 ; 4-byte Folded Reload
	buffer_load_dword v2, off, s[20:23], 0 offset:56 ; 4-byte Folded Reload
	v_mov_b32_e32 v110, v89
	v_mul_u32_u24_e32 v115, 0x84, v0
	buffer_load_dword v3, off, s[20:23], 0 offset:8 ; 4-byte Folded Reload
	buffer_load_dword v5, off, s[20:23], 0 offset:12 ; 4-byte Folded Reload
	;; [unrolled: 1-line block ×6, first 2 shown]
	s_waitcnt vmcnt(7)
	v_add_u32_e32 v107, s14, v1
	v_lshrrev_b32_e32 v1, 3, v0
	v_add_u32_e32 v36, s14, v1
	buffer_load_dword v1, off, s[20:23], 0 offset:4 ; 4-byte Folded Reload
	v_mad_u64_u32 v[74:75], s[0:1], v107, 36, s[2:3]
	s_waitcnt vmcnt(6)
	v_add_u32_e32 v3, v36, v3
	s_waitcnt vmcnt(5)
	v_add_u32_e32 v5, v36, v5
	s_waitcnt vmcnt(4)
	v_add_u32_e32 v7, v36, v7
	s_waitcnt vmcnt(1)
	v_add_u32_e32 v44, v36, v44
	v_add_u32_e32 v9, v36, v9
	v_add_u32_e32 v13, v36, v13
	v_mad_i64_i32 v[65:66], s[0:1], v44, 36, v[11:12]
	buffer_load_dword v44, off, s[20:23], 0 offset:32 ; 4-byte Folded Reload
	v_mad_i64_i32 v[3:4], s[0:1], v3, 36, v[11:12]
	v_mad_i64_i32 v[5:6], s[0:1], v5, 36, v[11:12]
	;; [unrolled: 1-line block ×5, first 2 shown]
	s_waitcnt vmcnt(1)
	v_add_u32_e32 v1, v36, v1
	v_mad_i64_i32 v[1:2], s[0:1], v1, 36, v[11:12]
	s_waitcnt vmcnt(0)
	v_add_u32_e32 v36, v36, v44
	v_mad_i64_i32 v[76:77], s[0:1], v36, 36, v[11:12]
	global_load_dword v36, v[74:75], off
	s_nop 0
	global_load_dword v1, v[1:2], off offset:4
	s_nop 0
	global_load_dword v2, v[3:4], off offset:4
	;; [unrolled: 2-line block ×3, first 2 shown]
	global_load_dword v4, v[7:8], off offset:4
	s_nop 0
	global_load_dword v5, v[9:10], off offset:4
	global_load_dword v6, v[13:14], off offset:4
	;; [unrolled: 1-line block ×4, first 2 shown]
	s_nop 0
	buffer_load_dword v9, off, s[20:23], 0 offset:48 ; 4-byte Folded Reload
	buffer_load_dword v10, off, s[20:23], 0 offset:60 ; 4-byte Folded Reload
	;; [unrolled: 1-line block ×7, first 2 shown]
	s_mov_b32 s0, -4
	s_waitcnt vmcnt(5)
	v_add_u32_e32 v108, v9, v10
	buffer_load_dword v9, off, s[20:23], 0  ; 4-byte Folded Reload
	s_waitcnt vmcnt(0)
	ds_write_b32 v9, v36
	ds_write_b32 v108, v1
	buffer_load_dword v1, off, s[20:23], 0 offset:40 ; 4-byte Folded Reload
	s_waitcnt vmcnt(0)
	ds_write_b32 v1, v2
	buffer_load_dword v1, off, s[20:23], 0 offset:44 ; 4-byte Folded Reload
	s_waitcnt vmcnt(0)
	ds_write_b32 v1, v3
	ds_write_b32 v102, v4
	;; [unrolled: 1-line block ×6, first 2 shown]
	s_waitcnt lgkmcnt(0)
	s_barrier
.LBB117_8:                              ;   Parent Loop BB117_6 Depth=1
                                        ; =>  This Inner Loop Header: Depth=2
	ds_read_b128 v[2:5], v109
	ds_read_b128 v[6:9], v109 offset:16
	ds_read2_b32 v[13:14], v110 offset1:32
	ds_read_b32 v116, v111
	ds_read2_b32 v[65:66], v115 offset1:1
	s_add_i32 s0, s0, 4
	v_add_u32_e32 v111, 4, v111
	s_cmp_lt_u32 s0, 12
	s_waitcnt lgkmcnt(2)
	v_cvt_f32_f16_sdwa v1, v13 dst_sel:DWORD dst_unused:UNUSED_PAD src0_sel:WORD_1
	s_waitcnt lgkmcnt(0)
	v_and_b32_e32 v117, 0xf0f0f0f, v65
	v_and_b32_e32 v119, 0xf0f0f0f, v66
	v_lshrrev_b32_e32 v10, 4, v66
	v_mul_f32_e32 v80, 0x41000000, v1
	v_lshrrev_b32_e32 v1, 4, v65
	ds_read2_b32 v[65:66], v115 offset0:2 offset1:3
	v_and_b32_e32 v118, 0xf0f0f0f, v1
	v_dot4_i32_i8 v1, v117, v2, 0
	v_dot4_i32_i8 v1, v118, v6, v1
	v_and_b32_e32 v120, 0xf0f0f0f, v10
	v_dot4_i32_i8 v1, v119, v3, v1
	v_dot4_i32_i8 v1, v120, v7, v1
	s_waitcnt lgkmcnt(0)
	v_and_b32_e32 v121, 0xf0f0f0f, v65
	v_lshrrev_b32_e32 v10, 4, v65
	v_and_b32_e32 v122, 0xf0f0f0f, v10
	v_dot4_i32_i8 v1, v121, v4, v1
	v_dot4_i32_i8 v1, v122, v8, v1
	v_and_b32_e32 v123, 0xf0f0f0f, v66
	v_lshrrev_b32_e32 v10, 4, v66
	v_and_b32_e32 v124, 0xf0f0f0f, v10
	v_dot4_i32_i8 v1, v123, v5, v1
	v_dot4_i32_i8 v1, v124, v9, v1
	v_cvt_f32_i32_e32 v1, v1
	v_fma_mix_f32 v1, v13, v1, -v80 op_sel_hi:[1,0,0]
	v_fmac_f32_e32 v38, v116, v1
	v_add_u32_e32 v1, 0x1080, v115
	ds_read_b32 v125, v112
	ds_read2_b32 v[74:75], v1 offset1:1
	v_add_u32_e32 v112, 4, v112
	s_waitcnt lgkmcnt(0)
	v_lshrrev_b32_e32 v10, 4, v75
	v_and_b32_e32 v84, 0xf0f0f0f, v10
	v_add_u32_e32 v10, 0x1088, v115
	v_and_b32_e32 v126, 0xf0f0f0f, v74
	v_lshrrev_b32_e32 v1, 4, v74
	v_and_b32_e32 v66, 0xf0f0f0f, v75
	ds_read2_b32 v[74:75], v10 offset1:1
	v_and_b32_e32 v127, 0xf0f0f0f, v1
	v_dot4_i32_i8 v1, v126, v2, 0
	v_dot4_i32_i8 v1, v127, v6, v1
	;; [unrolled: 1-line block ×4, first 2 shown]
	s_waitcnt lgkmcnt(0)
	v_and_b32_e32 v91, 0xf0f0f0f, v74
	v_lshrrev_b32_e32 v10, 4, v74
	v_and_b32_e32 v92, 0xf0f0f0f, v10
	v_dot4_i32_i8 v1, v91, v4, v1
	v_dot4_i32_i8 v1, v92, v8, v1
	v_and_b32_e32 v93, 0xf0f0f0f, v75
	v_lshrrev_b32_e32 v10, 4, v75
	v_and_b32_e32 v94, 0xf0f0f0f, v10
	v_dot4_i32_i8 v1, v93, v5, v1
	v_dot4_i32_i8 v1, v94, v9, v1
	v_cvt_f32_i32_e32 v1, v1
	v_fma_mix_f32 v1, v13, v1, -v80 op_sel_hi:[1,0,0]
	v_fmac_f32_e32 v73, v125, v1
	v_add_u32_e32 v1, 0x2100, v115
	ds_read_b32 v95, v113
	ds_read2_b32 v[74:75], v1 offset1:1
	v_add_u32_e32 v113, 4, v113
	s_waitcnt lgkmcnt(0)
	v_and_b32_e32 v36, 0xf0f0f0f, v74
	v_lshrrev_b32_e32 v1, 4, v74
	v_and_b32_e32 v76, 0xf0f0f0f, v1
	v_dot4_i32_i8 v1, v36, v2, 0
	v_dot4_i32_i8 v10, v76, v6, v1
	v_and_b32_e32 v1, 0xf0f0f0f, v75
	v_lshrrev_b32_e32 v44, 4, v75
	v_and_b32_e32 v90, 0xf0f0f0f, v44
	v_dot4_i32_i8 v10, v1, v3, v10
	v_dot4_i32_i8 v44, v90, v7, v10
	v_add_u32_e32 v10, 0x2108, v115
	ds_read2_b32 v[74:75], v10 offset1:1
	s_waitcnt lgkmcnt(0)
	v_and_b32_e32 v65, 0xf0f0f0f, v74
	v_lshrrev_b32_e32 v10, 4, v74
	v_and_b32_e32 v10, 0xf0f0f0f, v10
	v_dot4_i32_i8 v44, v65, v4, v44
	v_dot4_i32_i8 v44, v10, v8, v44
	v_and_b32_e32 v85, 0xf0f0f0f, v75
	v_lshrrev_b32_e32 v72, 4, v75
	v_and_b32_e32 v86, 0xf0f0f0f, v72
	v_dot4_i32_i8 v44, v85, v5, v44
	v_dot4_i32_i8 v44, v86, v9, v44
	v_cvt_f32_i32_e32 v44, v44
	v_add_u32_e32 v72, 0x3180, v115
	v_fma_mix_f32 v44, v13, v44, -v80 op_sel_hi:[1,0,0]
	v_fmac_f32_e32 v69, v95, v44
	ds_read_b32 v44, v114
	ds_read2_b32 v[74:75], v72 offset1:1
	v_add_u32_e32 v114, 4, v114
	s_waitcnt lgkmcnt(0)
	v_and_b32_e32 v77, 0xf0f0f0f, v74
	v_lshrrev_b32_e32 v72, 4, v74
	v_and_b32_e32 v78, 0xf0f0f0f, v72
	v_dot4_i32_i8 v2, v77, v2, 0
	v_dot4_i32_i8 v2, v78, v6, v2
	v_and_b32_e32 v74, 0xf0f0f0f, v75
	v_lshrrev_b32_e32 v6, 4, v75
	v_and_b32_e32 v87, 0xf0f0f0f, v6
	v_dot4_i32_i8 v2, v74, v3, v2
	v_dot4_i32_i8 v6, v87, v7, v2
	v_add_u32_e32 v2, 0x3188, v115
	ds_read2_b32 v[2:3], v2 offset1:1
	v_add_u32_e32 v115, 16, v115
	s_waitcnt lgkmcnt(0)
	v_and_b32_e32 v79, 0xf0f0f0f, v2
	v_lshrrev_b32_e32 v2, 4, v2
	v_and_b32_e32 v75, 0xf0f0f0f, v2
	v_dot4_i32_i8 v2, v79, v4, v6
	v_dot4_i32_i8 v2, v75, v8, v2
	v_and_b32_e32 v88, 0xf0f0f0f, v3
	v_lshrrev_b32_e32 v3, 4, v3
	v_and_b32_e32 v72, 0xf0f0f0f, v3
	v_dot4_i32_i8 v2, v88, v5, v2
	v_dot4_i32_i8 v2, v72, v9, v2
	v_cvt_f32_i32_e32 v2, v2
	v_fma_mix_f32 v2, v13, v2, -v80 op_sel_hi:[1,0,0]
	v_fmac_f32_e32 v62, v44, v2
	ds_read_b128 v[2:5], v109 offset:1024
	ds_read_b128 v[6:9], v109 offset:1040
	v_cvt_f32_f16_sdwa v13, v14 dst_sel:DWORD dst_unused:UNUSED_PAD src0_sel:WORD_1
	s_waitcnt lgkmcnt(1)
	v_dot4_i32_i8 v80, v117, v2, 0
	s_waitcnt lgkmcnt(0)
	v_dot4_i32_i8 v80, v118, v6, v80
	v_dot4_i32_i8 v80, v119, v3, v80
	v_dot4_i32_i8 v80, v120, v7, v80
	v_dot4_i32_i8 v80, v121, v4, v80
	v_dot4_i32_i8 v80, v122, v8, v80
	v_dot4_i32_i8 v80, v123, v5, v80
	v_dot4_i32_i8 v80, v124, v9, v80
	v_cvt_f32_i32_e32 v80, v80
	v_mul_f32_e32 v13, 0x41000000, v13
	v_fma_mix_f32 v80, v80, v14, -v13 op_sel_hi:[0,1,0]
	v_fmac_f32_e32 v51, v116, v80
	v_dot4_i32_i8 v80, v126, v2, 0
	v_dot4_i32_i8 v80, v127, v6, v80
	;; [unrolled: 1-line block ×8, first 2 shown]
	v_cvt_f32_i32_e32 v80, v80
	v_fma_mix_f32 v80, v80, v14, -v13 op_sel_hi:[0,1,0]
	v_fmac_f32_e32 v43, v125, v80
	v_dot4_i32_i8 v80, v36, v2, 0
	v_dot4_i32_i8 v2, v77, v2, 0
	;; [unrolled: 1-line block ×16, first 2 shown]
	v_cvt_f32_i32_e32 v80, v80
	v_cvt_f32_i32_e32 v2, v2
	v_fma_mix_f32 v80, v80, v14, -v13 op_sel_hi:[0,1,0]
	v_fma_mix_f32 v2, v2, v14, -v13 op_sel_hi:[0,1,0]
	v_fmac_f32_e32 v42, v95, v80
	v_fmac_f32_e32 v41, v44, v2
	ds_read_b128 v[4:7], v109 offset:2048
	ds_read_b128 v[80:83], v109 offset:2064
	ds_read2_b32 v[2:3], v110 offset0:64 offset1:96
	s_waitcnt lgkmcnt(2)
	v_dot4_i32_i8 v9, v117, v4, 0
	s_waitcnt lgkmcnt(1)
	v_dot4_i32_i8 v9, v118, v80, v9
	v_dot4_i32_i8 v9, v119, v5, v9
	;; [unrolled: 1-line block ×6, first 2 shown]
	s_waitcnt lgkmcnt(0)
	v_cvt_f32_f16_sdwa v8, v2 dst_sel:DWORD dst_unused:UNUSED_PAD src0_sel:WORD_1
	v_dot4_i32_i8 v9, v124, v83, v9
	v_cvt_f32_i32_e32 v9, v9
	v_mul_f32_e32 v8, 0x41000000, v8
	v_fma_mix_f32 v9, v9, v2, -v8 op_sel_hi:[0,1,0]
	v_fmac_f32_e32 v40, v116, v9
	v_dot4_i32_i8 v9, v126, v4, 0
	v_dot4_i32_i8 v9, v127, v80, v9
	;; [unrolled: 1-line block ×8, first 2 shown]
	v_cvt_f32_i32_e32 v9, v9
	v_fma_mix_f32 v9, v9, v2, -v8 op_sel_hi:[0,1,0]
	v_fmac_f32_e32 v39, v125, v9
	v_dot4_i32_i8 v9, v36, v4, 0
	v_dot4_i32_i8 v4, v77, v4, 0
	;; [unrolled: 1-line block ×16, first 2 shown]
	v_cvt_f32_i32_e32 v9, v9
	v_cvt_f32_i32_e32 v4, v4
	v_fma_mix_f32 v9, v9, v2, -v8 op_sel_hi:[0,1,0]
	v_fma_mix_f32 v2, v4, v2, -v8 op_sel_hi:[0,1,0]
	ds_read_b128 v[4:7], v109 offset:3072
	ds_read_b128 v[80:83], v109 offset:3088
	v_fmac_f32_e32 v35, v44, v2
	v_cvt_f32_f16_sdwa v2, v3 dst_sel:DWORD dst_unused:UNUSED_PAD src0_sel:WORD_1
	v_fmac_f32_e32 v37, v95, v9
	s_waitcnt lgkmcnt(1)
	v_dot4_i32_i8 v8, v117, v4, 0
	s_waitcnt lgkmcnt(0)
	v_dot4_i32_i8 v8, v118, v80, v8
	v_dot4_i32_i8 v8, v119, v5, v8
	;; [unrolled: 1-line block ×7, first 2 shown]
	v_cvt_f32_i32_e32 v8, v8
	v_mul_f32_e32 v2, 0x41000000, v2
	v_fma_mix_f32 v8, v8, v3, -v2 op_sel_hi:[0,1,0]
	v_fmac_f32_e32 v34, v116, v8
	v_dot4_i32_i8 v8, v126, v4, 0
	v_dot4_i32_i8 v8, v127, v80, v8
	;; [unrolled: 1-line block ×8, first 2 shown]
	v_cvt_f32_i32_e32 v8, v8
	v_fma_mix_f32 v8, v8, v3, -v2 op_sel_hi:[0,1,0]
	v_fmac_f32_e32 v33, v125, v8
	v_dot4_i32_i8 v8, v36, v4, 0
	v_dot4_i32_i8 v4, v77, v4, 0
	;; [unrolled: 1-line block ×16, first 2 shown]
	v_cvt_f32_i32_e32 v8, v8
	v_cvt_f32_i32_e32 v4, v4
	v_fma_mix_f32 v8, v8, v3, -v2 op_sel_hi:[0,1,0]
	v_fma_mix_f32 v2, v4, v3, -v2 op_sel_hi:[0,1,0]
	v_fmac_f32_e32 v32, v95, v8
	v_fmac_f32_e32 v31, v44, v2
	ds_read_b128 v[2:5], v109 offset:4096
	ds_read_b128 v[6:9], v109 offset:4112
	ds_read2_b32 v[13:14], v110 offset0:128 offset1:160
	s_waitcnt lgkmcnt(2)
	v_dot4_i32_i8 v81, v117, v2, 0
	s_waitcnt lgkmcnt(1)
	v_dot4_i32_i8 v81, v118, v6, v81
	v_dot4_i32_i8 v81, v119, v3, v81
	;; [unrolled: 1-line block ×6, first 2 shown]
	s_waitcnt lgkmcnt(0)
	v_cvt_f32_f16_sdwa v80, v13 dst_sel:DWORD dst_unused:UNUSED_PAD src0_sel:WORD_1
	v_dot4_i32_i8 v81, v124, v9, v81
	v_cvt_f32_i32_e32 v81, v81
	v_mul_f32_e32 v80, 0x41000000, v80
	v_fma_mix_f32 v81, v81, v13, -v80 op_sel_hi:[0,1,0]
	v_fmac_f32_e32 v30, v116, v81
	v_dot4_i32_i8 v81, v126, v2, 0
	v_dot4_i32_i8 v81, v127, v6, v81
	v_dot4_i32_i8 v81, v66, v3, v81
	v_dot4_i32_i8 v81, v84, v7, v81
	v_dot4_i32_i8 v81, v91, v4, v81
	v_dot4_i32_i8 v81, v92, v8, v81
	v_dot4_i32_i8 v81, v93, v5, v81
	v_dot4_i32_i8 v81, v94, v9, v81
	v_cvt_f32_i32_e32 v81, v81
	v_fma_mix_f32 v81, v81, v13, -v80 op_sel_hi:[0,1,0]
	v_fmac_f32_e32 v29, v125, v81
	v_dot4_i32_i8 v81, v36, v2, 0
	v_dot4_i32_i8 v2, v77, v2, 0
	;; [unrolled: 1-line block ×12, first 2 shown]
	v_cvt_f32_i32_e32 v2, v2
	v_dot4_i32_i8 v81, v65, v4, v81
	v_dot4_i32_i8 v81, v10, v8, v81
	;; [unrolled: 1-line block ×4, first 2 shown]
	v_fma_mix_f32 v2, v2, v13, -v80 op_sel_hi:[0,1,0]
	v_cvt_f32_i32_e32 v81, v81
	v_fmac_f32_e32 v27, v44, v2
	ds_read_b128 v[2:5], v109 offset:5120
	ds_read_b128 v[6:9], v109 offset:5136
	v_fma_mix_f32 v81, v81, v13, -v80 op_sel_hi:[0,1,0]
	v_cvt_f32_f16_sdwa v13, v14 dst_sel:DWORD dst_unused:UNUSED_PAD src0_sel:WORD_1
	s_waitcnt lgkmcnt(1)
	v_dot4_i32_i8 v80, v117, v2, 0
	s_waitcnt lgkmcnt(0)
	v_dot4_i32_i8 v80, v118, v6, v80
	v_dot4_i32_i8 v80, v119, v3, v80
	;; [unrolled: 1-line block ×7, first 2 shown]
	v_cvt_f32_i32_e32 v80, v80
	v_mul_f32_e32 v13, 0x41000000, v13
	v_fmac_f32_e32 v28, v95, v81
	v_fma_mix_f32 v80, v80, v14, -v13 op_sel_hi:[0,1,0]
	v_fmac_f32_e32 v26, v116, v80
	v_dot4_i32_i8 v80, v126, v2, 0
	v_dot4_i32_i8 v80, v127, v6, v80
	;; [unrolled: 1-line block ×8, first 2 shown]
	v_cvt_f32_i32_e32 v80, v80
	v_fma_mix_f32 v80, v80, v14, -v13 op_sel_hi:[0,1,0]
	v_fmac_f32_e32 v25, v125, v80
	v_dot4_i32_i8 v80, v36, v2, 0
	v_dot4_i32_i8 v2, v77, v2, 0
	;; [unrolled: 1-line block ×16, first 2 shown]
	v_cvt_f32_i32_e32 v80, v80
	v_cvt_f32_i32_e32 v2, v2
	v_fma_mix_f32 v80, v80, v14, -v13 op_sel_hi:[0,1,0]
	v_fma_mix_f32 v2, v2, v14, -v13 op_sel_hi:[0,1,0]
	v_fmac_f32_e32 v24, v95, v80
	v_fmac_f32_e32 v23, v44, v2
	ds_read_b128 v[4:7], v109 offset:6144
	ds_read_b128 v[80:83], v109 offset:6160
	ds_read2_b32 v[2:3], v110 offset0:192 offset1:224
	v_add_u32_e32 v110, 4, v110
	s_waitcnt lgkmcnt(2)
	v_dot4_i32_i8 v9, v117, v4, 0
	s_waitcnt lgkmcnt(1)
	v_dot4_i32_i8 v9, v118, v80, v9
	v_dot4_i32_i8 v9, v119, v5, v9
	;; [unrolled: 1-line block ×6, first 2 shown]
	s_waitcnt lgkmcnt(0)
	v_cvt_f32_f16_sdwa v8, v2 dst_sel:DWORD dst_unused:UNUSED_PAD src0_sel:WORD_1
	v_dot4_i32_i8 v9, v124, v83, v9
	v_cvt_f32_i32_e32 v9, v9
	v_mul_f32_e32 v8, 0x41000000, v8
	v_fma_mix_f32 v9, v9, v2, -v8 op_sel_hi:[0,1,0]
	v_fmac_f32_e32 v22, v116, v9
	v_dot4_i32_i8 v9, v126, v4, 0
	v_dot4_i32_i8 v9, v127, v80, v9
	;; [unrolled: 1-line block ×8, first 2 shown]
	v_cvt_f32_i32_e32 v9, v9
	v_fma_mix_f32 v9, v9, v2, -v8 op_sel_hi:[0,1,0]
	v_fmac_f32_e32 v21, v125, v9
	v_dot4_i32_i8 v9, v36, v4, 0
	v_dot4_i32_i8 v4, v77, v4, 0
	v_dot4_i32_i8 v9, v76, v80, v9
	v_dot4_i32_i8 v4, v78, v80, v4
	v_dot4_i32_i8 v9, v1, v5, v9
	v_dot4_i32_i8 v4, v74, v5, v4
	v_dot4_i32_i8 v9, v90, v81, v9
	v_dot4_i32_i8 v4, v87, v81, v4
	v_dot4_i32_i8 v9, v65, v6, v9
	v_dot4_i32_i8 v4, v79, v6, v4
	v_dot4_i32_i8 v9, v10, v82, v9
	v_dot4_i32_i8 v4, v75, v82, v4
	v_dot4_i32_i8 v9, v85, v7, v9
	v_dot4_i32_i8 v4, v88, v7, v4
	v_dot4_i32_i8 v9, v86, v83, v9
	v_dot4_i32_i8 v4, v72, v83, v4
	v_cvt_f32_i32_e32 v9, v9
	v_cvt_f32_i32_e32 v4, v4
	v_fma_mix_f32 v9, v9, v2, -v8 op_sel_hi:[0,1,0]
	v_fma_mix_f32 v2, v4, v2, -v8 op_sel_hi:[0,1,0]
	ds_read_b128 v[4:7], v109 offset:7168
	ds_read_b128 v[80:83], v109 offset:7184
	v_fmac_f32_e32 v19, v44, v2
	v_cvt_f32_f16_sdwa v2, v3 dst_sel:DWORD dst_unused:UNUSED_PAD src0_sel:WORD_1
	v_fmac_f32_e32 v20, v95, v9
	s_waitcnt lgkmcnt(1)
	v_dot4_i32_i8 v8, v117, v4, 0
	s_waitcnt lgkmcnt(0)
	v_dot4_i32_i8 v8, v118, v80, v8
	v_dot4_i32_i8 v8, v119, v5, v8
	;; [unrolled: 1-line block ×7, first 2 shown]
	v_cvt_f32_i32_e32 v8, v8
	v_mul_f32_e32 v2, 0x41000000, v2
	v_add_u32_e32 v109, 32, v109
	v_fma_mix_f32 v8, v8, v3, -v2 op_sel_hi:[0,1,0]
	v_fmac_f32_e32 v18, v116, v8
	v_dot4_i32_i8 v8, v126, v4, 0
	v_dot4_i32_i8 v8, v127, v80, v8
	v_dot4_i32_i8 v8, v66, v5, v8
	v_dot4_i32_i8 v8, v84, v81, v8
	v_dot4_i32_i8 v8, v91, v6, v8
	v_dot4_i32_i8 v8, v92, v82, v8
	v_dot4_i32_i8 v8, v93, v7, v8
	v_dot4_i32_i8 v8, v94, v83, v8
	v_cvt_f32_i32_e32 v8, v8
	v_fma_mix_f32 v8, v8, v3, -v2 op_sel_hi:[0,1,0]
	v_fmac_f32_e32 v17, v125, v8
	v_dot4_i32_i8 v8, v36, v4, 0
	v_dot4_i32_i8 v8, v76, v80, v8
	v_dot4_i32_i8 v1, v1, v5, v8
	v_dot4_i32_i8 v1, v90, v81, v1
	v_dot4_i32_i8 v1, v65, v6, v1
	v_dot4_i32_i8 v1, v10, v82, v1
	v_dot4_i32_i8 v1, v85, v7, v1
	v_dot4_i32_i8 v1, v86, v83, v1
	v_cvt_f32_i32_e32 v1, v1
	;; [unrolled: 11-line block ×3, first 2 shown]
	v_fma_mix_f32 v1, v1, v3, -v2 op_sel_hi:[0,1,0]
	v_fmac_f32_e32 v15, v44, v1
	s_cbranch_scc1 .LBB117_8
; %bb.9:                                ;   in Loop: Header=BB117_6 Depth=1
	s_and_b32 s0, s9, -4
	s_cmp_eq_u32 s0, 4
	s_barrier
	s_cbranch_scc1 .LBB117_5
; %bb.10:                               ;   in Loop: Header=BB117_6 Depth=1
	buffer_load_dword v1, off, s[20:23], 0 offset:80 ; 4-byte Folded Reload
	buffer_load_dword v3, off, s[20:23], 0 offset:8 ; 4-byte Folded Reload
	buffer_load_dword v5, off, s[20:23], 0 offset:12 ; 4-byte Folded Reload
	buffer_load_dword v7, off, s[20:23], 0 offset:16 ; 4-byte Folded Reload
	buffer_load_dword v9, off, s[20:23], 0 offset:20 ; 4-byte Folded Reload
	buffer_load_dword v13, off, s[20:23], 0 offset:24 ; 4-byte Folded Reload
	buffer_load_dword v44, off, s[20:23], 0 offset:28 ; 4-byte Folded Reload
	s_waitcnt vmcnt(6)
	v_add_u32_e32 v36, s14, v1
	buffer_load_dword v1, off, s[20:23], 0 offset:4 ; 4-byte Folded Reload
	s_waitcnt vmcnt(6)
	v_add_u32_e32 v3, v36, v3
	s_waitcnt vmcnt(5)
	v_add_u32_e32 v5, v36, v5
	;; [unrolled: 2-line block ×5, first 2 shown]
	v_add_u32_e32 v13, v36, v13
	v_mad_i64_i32 v[65:66], s[0:1], v44, 36, v[11:12]
	v_add_u32_e32 v44, 4, v107
	v_mad_i64_i32 v[3:4], s[0:1], v3, 36, v[11:12]
	v_mad_i64_i32 v[5:6], s[0:1], v5, 36, v[11:12]
	;; [unrolled: 1-line block ×5, first 2 shown]
	v_mov_b32_e32 v107, v89
	v_mad_u64_u32 v[74:75], s[0:1], v44, 36, s[2:3]
	buffer_load_dword v44, off, s[20:23], 0 offset:32 ; 4-byte Folded Reload
	s_waitcnt vmcnt(1)
	v_add_u32_e32 v1, v36, v1
	v_mad_i64_i32 v[1:2], s[0:1], v1, 36, v[11:12]
	s_waitcnt vmcnt(0)
	v_add_u32_e32 v36, v36, v44
	v_mad_i64_i32 v[76:77], s[0:1], v36, 36, v[11:12]
	global_load_dword v36, v[74:75], off
	s_nop 0
	global_load_dword v1, v[1:2], off offset:4
	s_nop 0
	global_load_dword v2, v[3:4], off offset:4
	;; [unrolled: 2-line block ×3, first 2 shown]
	global_load_dword v4, v[7:8], off offset:4
	s_nop 0
	global_load_dword v5, v[9:10], off offset:4
	global_load_dword v6, v[13:14], off offset:4
	;; [unrolled: 1-line block ×4, first 2 shown]
	buffer_load_dword v109, off, s[20:23], 0 offset:36 ; 4-byte Folded Reload
	buffer_load_dword v110, off, s[20:23], 0 offset:100 ; 4-byte Folded Reload
	;; [unrolled: 1-line block ×5, first 2 shown]
	buffer_load_dword v9, off, s[20:23], 0  ; 4-byte Folded Reload
	s_mov_b32 s0, 12
	s_waitcnt vmcnt(0)
	ds_write_b32 v9, v36
	ds_write_b32 v108, v1
	buffer_load_dword v1, off, s[20:23], 0 offset:40 ; 4-byte Folded Reload
	s_waitcnt vmcnt(0)
	ds_write_b32 v1, v2
	buffer_load_dword v1, off, s[20:23], 0 offset:44 ; 4-byte Folded Reload
	s_waitcnt vmcnt(0)
	ds_write_b32 v1, v3
	ds_write_b32 v102, v4
	;; [unrolled: 1-line block ×6, first 2 shown]
	s_waitcnt lgkmcnt(0)
	s_barrier
	buffer_load_dword v108, off, s[20:23], 0 offset:84 ; 4-byte Folded Reload
.LBB117_11:                             ;   Parent Loop BB117_6 Depth=1
                                        ; =>  This Inner Loop Header: Depth=2
	ds_read_b128 v[2:5], v109
	ds_read_b128 v[6:9], v109 offset:16
	ds_read2_b32 v[13:14], v107 offset1:32
	ds_read_b32 v114, v110
	s_waitcnt vmcnt(0)
	ds_read2_b32 v[65:66], v108 offset1:1
	s_add_i32 s0, s0, 4
	v_add_u32_e32 v110, 4, v110
	s_cmp_lt_u32 s0, 28
	s_waitcnt lgkmcnt(2)
	v_cvt_f32_f16_sdwa v1, v13 dst_sel:DWORD dst_unused:UNUSED_PAD src0_sel:WORD_1
	s_waitcnt lgkmcnt(0)
	v_and_b32_e32 v115, 0xf0f0f0f, v65
	v_and_b32_e32 v117, 0xf0f0f0f, v66
	v_lshrrev_b32_e32 v10, 4, v66
	v_mul_f32_e32 v80, 0x41000000, v1
	v_lshrrev_b32_e32 v1, 4, v65
	ds_read2_b32 v[65:66], v108 offset0:2 offset1:3
	v_and_b32_e32 v116, 0xf0f0f0f, v1
	v_dot4_i32_i8 v1, v115, v2, 0
	v_dot4_i32_i8 v1, v116, v6, v1
	v_and_b32_e32 v118, 0xf0f0f0f, v10
	v_dot4_i32_i8 v1, v117, v3, v1
	v_dot4_i32_i8 v1, v118, v7, v1
	s_waitcnt lgkmcnt(0)
	v_and_b32_e32 v119, 0xf0f0f0f, v65
	v_lshrrev_b32_e32 v10, 4, v65
	v_and_b32_e32 v120, 0xf0f0f0f, v10
	v_dot4_i32_i8 v1, v119, v4, v1
	v_dot4_i32_i8 v1, v120, v8, v1
	v_and_b32_e32 v121, 0xf0f0f0f, v66
	v_lshrrev_b32_e32 v10, 4, v66
	v_and_b32_e32 v122, 0xf0f0f0f, v10
	v_dot4_i32_i8 v1, v121, v5, v1
	v_dot4_i32_i8 v1, v122, v9, v1
	v_cvt_f32_i32_e32 v1, v1
	v_fma_mix_f32 v1, v13, v1, -v80 op_sel_hi:[1,0,0]
	v_fmac_f32_e32 v38, v114, v1
	v_add_u32_e32 v1, 0x1080, v108
	ds_read_b32 v123, v111
	ds_read2_b32 v[74:75], v1 offset1:1
	v_add_u32_e32 v111, 4, v111
	s_waitcnt lgkmcnt(0)
	v_lshrrev_b32_e32 v10, 4, v75
	v_and_b32_e32 v84, 0xf0f0f0f, v10
	v_add_u32_e32 v10, 0x1088, v108
	v_and_b32_e32 v124, 0xf0f0f0f, v74
	v_lshrrev_b32_e32 v1, 4, v74
	v_and_b32_e32 v66, 0xf0f0f0f, v75
	ds_read2_b32 v[74:75], v10 offset1:1
	v_and_b32_e32 v125, 0xf0f0f0f, v1
	v_dot4_i32_i8 v1, v124, v2, 0
	v_dot4_i32_i8 v1, v125, v6, v1
	;; [unrolled: 1-line block ×4, first 2 shown]
	s_waitcnt lgkmcnt(0)
	v_and_b32_e32 v91, 0xf0f0f0f, v74
	v_lshrrev_b32_e32 v10, 4, v74
	v_and_b32_e32 v92, 0xf0f0f0f, v10
	v_dot4_i32_i8 v1, v91, v4, v1
	v_dot4_i32_i8 v1, v92, v8, v1
	v_and_b32_e32 v93, 0xf0f0f0f, v75
	v_lshrrev_b32_e32 v10, 4, v75
	v_and_b32_e32 v94, 0xf0f0f0f, v10
	v_dot4_i32_i8 v1, v93, v5, v1
	v_dot4_i32_i8 v1, v94, v9, v1
	v_cvt_f32_i32_e32 v1, v1
	v_fma_mix_f32 v1, v13, v1, -v80 op_sel_hi:[1,0,0]
	v_fmac_f32_e32 v73, v123, v1
	v_add_u32_e32 v1, 0x2100, v108
	ds_read_b32 v95, v112
	ds_read2_b32 v[74:75], v1 offset1:1
	v_add_u32_e32 v112, 4, v112
	s_waitcnt lgkmcnt(0)
	v_and_b32_e32 v36, 0xf0f0f0f, v74
	v_lshrrev_b32_e32 v1, 4, v74
	v_and_b32_e32 v76, 0xf0f0f0f, v1
	v_dot4_i32_i8 v1, v36, v2, 0
	v_dot4_i32_i8 v10, v76, v6, v1
	v_and_b32_e32 v1, 0xf0f0f0f, v75
	v_lshrrev_b32_e32 v44, 4, v75
	v_and_b32_e32 v44, 0xf0f0f0f, v44
	v_dot4_i32_i8 v10, v1, v3, v10
	v_dot4_i32_i8 v72, v44, v7, v10
	v_add_u32_e32 v10, 0x2108, v108
	ds_read2_b32 v[74:75], v10 offset1:1
	s_waitcnt lgkmcnt(0)
	v_and_b32_e32 v65, 0xf0f0f0f, v74
	v_lshrrev_b32_e32 v10, 4, v74
	v_and_b32_e32 v10, 0xf0f0f0f, v10
	v_dot4_i32_i8 v72, v65, v4, v72
	v_dot4_i32_i8 v72, v10, v8, v72
	v_and_b32_e32 v85, 0xf0f0f0f, v75
	v_lshrrev_b32_e32 v74, 4, v75
	v_and_b32_e32 v86, 0xf0f0f0f, v74
	v_dot4_i32_i8 v72, v85, v5, v72
	v_dot4_i32_i8 v72, v86, v9, v72
	v_cvt_f32_i32_e32 v72, v72
	v_fma_mix_f32 v72, v13, v72, -v80 op_sel_hi:[1,0,0]
	v_fmac_f32_e32 v69, v95, v72
	v_add_u32_e32 v72, 0x3180, v108
	ds_read_b32 v90, v113
	ds_read2_b32 v[74:75], v72 offset1:1
	v_add_u32_e32 v113, 4, v113
	s_waitcnt lgkmcnt(0)
	v_and_b32_e32 v77, 0xf0f0f0f, v74
	v_lshrrev_b32_e32 v72, 4, v74
	v_and_b32_e32 v78, 0xf0f0f0f, v72
	v_dot4_i32_i8 v2, v77, v2, 0
	v_dot4_i32_i8 v2, v78, v6, v2
	v_and_b32_e32 v74, 0xf0f0f0f, v75
	v_lshrrev_b32_e32 v6, 4, v75
	v_and_b32_e32 v87, 0xf0f0f0f, v6
	v_dot4_i32_i8 v2, v74, v3, v2
	v_dot4_i32_i8 v6, v87, v7, v2
	v_add_u32_e32 v2, 0x3188, v108
	ds_read2_b32 v[2:3], v2 offset1:1
	v_add_u32_e32 v108, 16, v108
	s_waitcnt lgkmcnt(0)
	v_and_b32_e32 v79, 0xf0f0f0f, v2
	v_lshrrev_b32_e32 v2, 4, v2
	v_and_b32_e32 v75, 0xf0f0f0f, v2
	v_dot4_i32_i8 v2, v79, v4, v6
	v_dot4_i32_i8 v2, v75, v8, v2
	v_and_b32_e32 v88, 0xf0f0f0f, v3
	v_lshrrev_b32_e32 v3, 4, v3
	v_and_b32_e32 v72, 0xf0f0f0f, v3
	v_dot4_i32_i8 v2, v88, v5, v2
	v_dot4_i32_i8 v2, v72, v9, v2
	v_cvt_f32_i32_e32 v2, v2
	v_fma_mix_f32 v2, v13, v2, -v80 op_sel_hi:[1,0,0]
	v_fmac_f32_e32 v62, v90, v2
	ds_read_b128 v[2:5], v109 offset:1024
	ds_read_b128 v[6:9], v109 offset:1040
	v_cvt_f32_f16_sdwa v13, v14 dst_sel:DWORD dst_unused:UNUSED_PAD src0_sel:WORD_1
	s_waitcnt lgkmcnt(1)
	v_dot4_i32_i8 v80, v115, v2, 0
	s_waitcnt lgkmcnt(0)
	v_dot4_i32_i8 v80, v116, v6, v80
	v_dot4_i32_i8 v80, v117, v3, v80
	;; [unrolled: 1-line block ×7, first 2 shown]
	v_cvt_f32_i32_e32 v80, v80
	v_mul_f32_e32 v13, 0x41000000, v13
	v_fma_mix_f32 v80, v80, v14, -v13 op_sel_hi:[0,1,0]
	v_fmac_f32_e32 v51, v114, v80
	v_dot4_i32_i8 v80, v124, v2, 0
	v_dot4_i32_i8 v80, v125, v6, v80
	;; [unrolled: 1-line block ×8, first 2 shown]
	v_cvt_f32_i32_e32 v80, v80
	v_fma_mix_f32 v80, v80, v14, -v13 op_sel_hi:[0,1,0]
	v_fmac_f32_e32 v43, v123, v80
	v_dot4_i32_i8 v80, v36, v2, 0
	v_dot4_i32_i8 v2, v77, v2, 0
	;; [unrolled: 1-line block ×16, first 2 shown]
	v_cvt_f32_i32_e32 v80, v80
	v_cvt_f32_i32_e32 v2, v2
	v_fma_mix_f32 v80, v80, v14, -v13 op_sel_hi:[0,1,0]
	v_fma_mix_f32 v2, v2, v14, -v13 op_sel_hi:[0,1,0]
	v_fmac_f32_e32 v42, v95, v80
	v_fmac_f32_e32 v41, v90, v2
	ds_read_b128 v[4:7], v109 offset:2048
	ds_read_b128 v[80:83], v109 offset:2064
	ds_read2_b32 v[2:3], v107 offset0:64 offset1:96
	s_waitcnt lgkmcnt(2)
	v_dot4_i32_i8 v9, v115, v4, 0
	s_waitcnt lgkmcnt(1)
	v_dot4_i32_i8 v9, v116, v80, v9
	v_dot4_i32_i8 v9, v117, v5, v9
	;; [unrolled: 1-line block ×6, first 2 shown]
	s_waitcnt lgkmcnt(0)
	v_cvt_f32_f16_sdwa v8, v2 dst_sel:DWORD dst_unused:UNUSED_PAD src0_sel:WORD_1
	v_dot4_i32_i8 v9, v122, v83, v9
	v_cvt_f32_i32_e32 v9, v9
	v_mul_f32_e32 v8, 0x41000000, v8
	v_fma_mix_f32 v9, v9, v2, -v8 op_sel_hi:[0,1,0]
	v_fmac_f32_e32 v40, v114, v9
	v_dot4_i32_i8 v9, v124, v4, 0
	v_dot4_i32_i8 v9, v125, v80, v9
	;; [unrolled: 1-line block ×8, first 2 shown]
	v_cvt_f32_i32_e32 v9, v9
	v_fma_mix_f32 v9, v9, v2, -v8 op_sel_hi:[0,1,0]
	v_fmac_f32_e32 v39, v123, v9
	v_dot4_i32_i8 v9, v36, v4, 0
	v_dot4_i32_i8 v4, v77, v4, 0
	;; [unrolled: 1-line block ×16, first 2 shown]
	v_cvt_f32_i32_e32 v9, v9
	v_cvt_f32_i32_e32 v4, v4
	v_fma_mix_f32 v9, v9, v2, -v8 op_sel_hi:[0,1,0]
	v_fma_mix_f32 v2, v4, v2, -v8 op_sel_hi:[0,1,0]
	ds_read_b128 v[4:7], v109 offset:3072
	ds_read_b128 v[80:83], v109 offset:3088
	v_fmac_f32_e32 v35, v90, v2
	v_cvt_f32_f16_sdwa v2, v3 dst_sel:DWORD dst_unused:UNUSED_PAD src0_sel:WORD_1
	v_fmac_f32_e32 v37, v95, v9
	s_waitcnt lgkmcnt(1)
	v_dot4_i32_i8 v8, v115, v4, 0
	s_waitcnt lgkmcnt(0)
	v_dot4_i32_i8 v8, v116, v80, v8
	v_dot4_i32_i8 v8, v117, v5, v8
	;; [unrolled: 1-line block ×7, first 2 shown]
	v_cvt_f32_i32_e32 v8, v8
	v_mul_f32_e32 v2, 0x41000000, v2
	v_fma_mix_f32 v8, v8, v3, -v2 op_sel_hi:[0,1,0]
	v_fmac_f32_e32 v34, v114, v8
	v_dot4_i32_i8 v8, v124, v4, 0
	v_dot4_i32_i8 v8, v125, v80, v8
	;; [unrolled: 1-line block ×8, first 2 shown]
	v_cvt_f32_i32_e32 v8, v8
	v_fma_mix_f32 v8, v8, v3, -v2 op_sel_hi:[0,1,0]
	v_fmac_f32_e32 v33, v123, v8
	v_dot4_i32_i8 v8, v36, v4, 0
	v_dot4_i32_i8 v4, v77, v4, 0
	;; [unrolled: 1-line block ×16, first 2 shown]
	v_cvt_f32_i32_e32 v8, v8
	v_cvt_f32_i32_e32 v4, v4
	v_fma_mix_f32 v8, v8, v3, -v2 op_sel_hi:[0,1,0]
	v_fma_mix_f32 v2, v4, v3, -v2 op_sel_hi:[0,1,0]
	v_fmac_f32_e32 v32, v95, v8
	v_fmac_f32_e32 v31, v90, v2
	ds_read_b128 v[2:5], v109 offset:4096
	ds_read_b128 v[6:9], v109 offset:4112
	ds_read2_b32 v[13:14], v107 offset0:128 offset1:160
	s_waitcnt lgkmcnt(2)
	v_dot4_i32_i8 v81, v115, v2, 0
	s_waitcnt lgkmcnt(1)
	v_dot4_i32_i8 v81, v116, v6, v81
	v_dot4_i32_i8 v81, v117, v3, v81
	v_dot4_i32_i8 v81, v118, v7, v81
	v_dot4_i32_i8 v81, v119, v4, v81
	v_dot4_i32_i8 v81, v120, v8, v81
	v_dot4_i32_i8 v81, v121, v5, v81
	s_waitcnt lgkmcnt(0)
	v_cvt_f32_f16_sdwa v80, v13 dst_sel:DWORD dst_unused:UNUSED_PAD src0_sel:WORD_1
	v_dot4_i32_i8 v81, v122, v9, v81
	v_cvt_f32_i32_e32 v81, v81
	v_mul_f32_e32 v80, 0x41000000, v80
	v_fma_mix_f32 v81, v81, v13, -v80 op_sel_hi:[0,1,0]
	v_fmac_f32_e32 v30, v114, v81
	v_dot4_i32_i8 v81, v124, v2, 0
	v_dot4_i32_i8 v81, v125, v6, v81
	;; [unrolled: 1-line block ×8, first 2 shown]
	v_cvt_f32_i32_e32 v81, v81
	v_fma_mix_f32 v81, v81, v13, -v80 op_sel_hi:[0,1,0]
	v_fmac_f32_e32 v29, v123, v81
	v_dot4_i32_i8 v81, v36, v2, 0
	v_dot4_i32_i8 v2, v77, v2, 0
	;; [unrolled: 1-line block ×12, first 2 shown]
	v_cvt_f32_i32_e32 v2, v2
	v_dot4_i32_i8 v81, v65, v4, v81
	v_dot4_i32_i8 v81, v10, v8, v81
	;; [unrolled: 1-line block ×4, first 2 shown]
	v_fma_mix_f32 v2, v2, v13, -v80 op_sel_hi:[0,1,0]
	v_cvt_f32_i32_e32 v81, v81
	v_fmac_f32_e32 v27, v90, v2
	ds_read_b128 v[2:5], v109 offset:5120
	ds_read_b128 v[6:9], v109 offset:5136
	v_fma_mix_f32 v81, v81, v13, -v80 op_sel_hi:[0,1,0]
	v_cvt_f32_f16_sdwa v13, v14 dst_sel:DWORD dst_unused:UNUSED_PAD src0_sel:WORD_1
	s_waitcnt lgkmcnt(1)
	v_dot4_i32_i8 v80, v115, v2, 0
	s_waitcnt lgkmcnt(0)
	v_dot4_i32_i8 v80, v116, v6, v80
	v_dot4_i32_i8 v80, v117, v3, v80
	;; [unrolled: 1-line block ×7, first 2 shown]
	v_cvt_f32_i32_e32 v80, v80
	v_mul_f32_e32 v13, 0x41000000, v13
	v_fmac_f32_e32 v28, v95, v81
	v_fma_mix_f32 v80, v80, v14, -v13 op_sel_hi:[0,1,0]
	v_fmac_f32_e32 v26, v114, v80
	v_dot4_i32_i8 v80, v124, v2, 0
	v_dot4_i32_i8 v80, v125, v6, v80
	;; [unrolled: 1-line block ×8, first 2 shown]
	v_cvt_f32_i32_e32 v80, v80
	v_fma_mix_f32 v80, v80, v14, -v13 op_sel_hi:[0,1,0]
	v_fmac_f32_e32 v25, v123, v80
	v_dot4_i32_i8 v80, v36, v2, 0
	v_dot4_i32_i8 v2, v77, v2, 0
	;; [unrolled: 1-line block ×16, first 2 shown]
	v_cvt_f32_i32_e32 v80, v80
	v_cvt_f32_i32_e32 v2, v2
	v_fma_mix_f32 v80, v80, v14, -v13 op_sel_hi:[0,1,0]
	v_fma_mix_f32 v2, v2, v14, -v13 op_sel_hi:[0,1,0]
	v_fmac_f32_e32 v24, v95, v80
	v_fmac_f32_e32 v23, v90, v2
	ds_read_b128 v[4:7], v109 offset:6144
	ds_read_b128 v[80:83], v109 offset:6160
	ds_read2_b32 v[2:3], v107 offset0:192 offset1:224
	v_add_u32_e32 v107, 4, v107
	s_waitcnt lgkmcnt(2)
	v_dot4_i32_i8 v9, v115, v4, 0
	s_waitcnt lgkmcnt(1)
	v_dot4_i32_i8 v9, v116, v80, v9
	v_dot4_i32_i8 v9, v117, v5, v9
	v_dot4_i32_i8 v9, v118, v81, v9
	v_dot4_i32_i8 v9, v119, v6, v9
	v_dot4_i32_i8 v9, v120, v82, v9
	v_dot4_i32_i8 v9, v121, v7, v9
	s_waitcnt lgkmcnt(0)
	v_cvt_f32_f16_sdwa v8, v2 dst_sel:DWORD dst_unused:UNUSED_PAD src0_sel:WORD_1
	v_dot4_i32_i8 v9, v122, v83, v9
	v_cvt_f32_i32_e32 v9, v9
	v_mul_f32_e32 v8, 0x41000000, v8
	v_fma_mix_f32 v9, v9, v2, -v8 op_sel_hi:[0,1,0]
	v_fmac_f32_e32 v22, v114, v9
	v_dot4_i32_i8 v9, v124, v4, 0
	v_dot4_i32_i8 v9, v125, v80, v9
	;; [unrolled: 1-line block ×8, first 2 shown]
	v_cvt_f32_i32_e32 v9, v9
	v_fma_mix_f32 v9, v9, v2, -v8 op_sel_hi:[0,1,0]
	v_fmac_f32_e32 v21, v123, v9
	v_dot4_i32_i8 v9, v36, v4, 0
	v_dot4_i32_i8 v4, v77, v4, 0
	;; [unrolled: 1-line block ×16, first 2 shown]
	v_cvt_f32_i32_e32 v9, v9
	v_cvt_f32_i32_e32 v4, v4
	v_fma_mix_f32 v9, v9, v2, -v8 op_sel_hi:[0,1,0]
	v_fma_mix_f32 v2, v4, v2, -v8 op_sel_hi:[0,1,0]
	ds_read_b128 v[4:7], v109 offset:7168
	ds_read_b128 v[80:83], v109 offset:7184
	v_fmac_f32_e32 v19, v90, v2
	v_cvt_f32_f16_sdwa v2, v3 dst_sel:DWORD dst_unused:UNUSED_PAD src0_sel:WORD_1
	v_fmac_f32_e32 v20, v95, v9
	s_waitcnt lgkmcnt(1)
	v_dot4_i32_i8 v8, v115, v4, 0
	s_waitcnt lgkmcnt(0)
	v_dot4_i32_i8 v8, v116, v80, v8
	v_dot4_i32_i8 v8, v117, v5, v8
	;; [unrolled: 1-line block ×7, first 2 shown]
	v_cvt_f32_i32_e32 v8, v8
	v_mul_f32_e32 v2, 0x41000000, v2
	v_add_u32_e32 v109, 32, v109
	v_fma_mix_f32 v8, v8, v3, -v2 op_sel_hi:[0,1,0]
	v_fmac_f32_e32 v18, v114, v8
	v_dot4_i32_i8 v8, v124, v4, 0
	v_dot4_i32_i8 v8, v125, v80, v8
	v_dot4_i32_i8 v8, v66, v5, v8
	v_dot4_i32_i8 v8, v84, v81, v8
	v_dot4_i32_i8 v8, v91, v6, v8
	v_dot4_i32_i8 v8, v92, v82, v8
	v_dot4_i32_i8 v8, v93, v7, v8
	v_dot4_i32_i8 v8, v94, v83, v8
	v_cvt_f32_i32_e32 v8, v8
	v_fma_mix_f32 v8, v8, v3, -v2 op_sel_hi:[0,1,0]
	v_fmac_f32_e32 v17, v123, v8
	v_dot4_i32_i8 v8, v36, v4, 0
	v_dot4_i32_i8 v8, v76, v80, v8
	v_dot4_i32_i8 v1, v1, v5, v8
	v_dot4_i32_i8 v1, v44, v81, v1
	v_dot4_i32_i8 v1, v65, v6, v1
	v_dot4_i32_i8 v1, v10, v82, v1
	v_dot4_i32_i8 v1, v85, v7, v1
	v_dot4_i32_i8 v1, v86, v83, v1
	v_cvt_f32_i32_e32 v1, v1
	;; [unrolled: 11-line block ×3, first 2 shown]
	v_fma_mix_f32 v1, v1, v3, -v2 op_sel_hi:[0,1,0]
	v_fmac_f32_e32 v15, v90, v1
	s_cbranch_scc1 .LBB117_11
; %bb.12:                               ;   in Loop: Header=BB117_6 Depth=1
	s_barrier
	s_branch .LBB117_5
.LBB117_13:
	buffer_load_dword v1, off, s[20:23], 0 offset:108 ; 4-byte Folded Reload
	buffer_load_dword v36, off, s[20:23], 0 offset:104 ; 4-byte Folded Reload
.LBB117_14:
	s_waitcnt vmcnt(1)
	v_cmp_gt_u32_e32 vcc, s8, v1
	s_and_saveexec_b64 s[0:1], vcc
	s_cbranch_execz .LBB117_65
; %bb.15:
	v_mul_lo_u32 v4, v1, s10
	v_add_u32_e32 v0, s6, v0
	v_cmp_gt_u32_e32 vcc, s10, v0
	s_and_saveexec_b64 s[2:3], vcc
	s_cbranch_execz .LBB117_17
; %bb.16:
	v_add_u32_e32 v1, v0, v4
	v_mov_b32_e32 v2, 0
	v_lshlrev_b64 v[1:2], 2, v[1:2]
	s_waitcnt lgkmcnt(0)
	v_mov_b32_e32 v3, s13
	v_add_co_u32_e64 v1, s[0:1], s12, v1
	v_addc_co_u32_e64 v2, s[0:1], v3, v2, s[0:1]
	global_store_dword v[1:2], v38, off
.LBB117_17:
	s_or_b64 exec, exec, s[2:3]
	v_add_u32_e32 v1, 32, v0
	v_cmp_gt_u32_e64 s[0:1], s10, v1
	s_and_saveexec_b64 s[4:5], s[0:1]
	s_cbranch_execz .LBB117_19
; %bb.18:
	v_add_u32_e32 v2, v1, v4
	v_mov_b32_e32 v3, 0
	v_lshlrev_b64 v[2:3], 2, v[2:3]
	s_waitcnt lgkmcnt(0)
	v_mov_b32_e32 v5, s13
	v_add_co_u32_e64 v2, s[2:3], s12, v2
	v_addc_co_u32_e64 v3, s[2:3], v5, v3, s[2:3]
	global_store_dword v[2:3], v73, off
.LBB117_19:
	s_or_b64 exec, exec, s[4:5]
	v_add_u32_e32 v2, 64, v0
	v_cmp_gt_u32_e64 s[2:3], s10, v2
	s_and_saveexec_b64 s[6:7], s[2:3]
	;; [unrolled: 15-line block ×3, first 2 shown]
	s_cbranch_execz .LBB117_23
; %bb.22:
	v_add_u32_e32 v4, v3, v4
	v_mov_b32_e32 v5, 0
	v_lshlrev_b64 v[4:5], 2, v[4:5]
	s_waitcnt lgkmcnt(0)
	v_mov_b32_e32 v6, s13
	v_add_co_u32_e64 v4, s[6:7], s12, v4
	v_addc_co_u32_e64 v5, s[6:7], v6, v5, s[6:7]
	global_store_dword v[4:5], v62, off
.LBB117_23:
	s_or_b64 exec, exec, s[14:15]
	s_waitcnt vmcnt(0)
	v_add3_u32 v4, v36, s11, 8
	v_cmp_gt_u32_e64 s[6:7], s8, v4
	s_and_b64 exec, exec, s[6:7]
	s_cbranch_execz .LBB117_65
; %bb.24:
	v_mul_lo_u32 v4, v4, s10
	s_and_saveexec_b64 s[14:15], vcc
	s_cbranch_execnz .LBB117_66
; %bb.25:
	s_or_b64 exec, exec, s[14:15]
	s_and_saveexec_b64 s[14:15], s[0:1]
	s_cbranch_execnz .LBB117_67
.LBB117_26:
	s_or_b64 exec, exec, s[14:15]
	s_and_saveexec_b64 s[14:15], s[2:3]
	s_cbranch_execnz .LBB117_68
.LBB117_27:
	s_or_b64 exec, exec, s[14:15]
	s_and_saveexec_b64 s[14:15], s[4:5]
	s_cbranch_execz .LBB117_29
.LBB117_28:
	v_add_u32_e32 v4, v4, v3
	v_mov_b32_e32 v5, 0
	v_lshlrev_b64 v[4:5], 2, v[4:5]
	s_waitcnt lgkmcnt(0)
	v_mov_b32_e32 v6, s13
	v_add_co_u32_e64 v4, s[6:7], s12, v4
	v_addc_co_u32_e64 v5, s[6:7], v6, v5, s[6:7]
	global_store_dword v[4:5], v41, off
.LBB117_29:
	s_or_b64 exec, exec, s[14:15]
	v_add3_u32 v4, v36, s11, 16
	v_cmp_gt_u32_e64 s[6:7], s8, v4
	s_and_b64 exec, exec, s[6:7]
	s_cbranch_execz .LBB117_65
; %bb.30:
	v_mul_lo_u32 v4, v4, s10
	s_and_saveexec_b64 s[14:15], vcc
	s_cbranch_execnz .LBB117_69
; %bb.31:
	s_or_b64 exec, exec, s[14:15]
	s_and_saveexec_b64 s[14:15], s[0:1]
	s_cbranch_execnz .LBB117_70
.LBB117_32:
	s_or_b64 exec, exec, s[14:15]
	s_and_saveexec_b64 s[14:15], s[2:3]
	s_cbranch_execnz .LBB117_71
.LBB117_33:
	s_or_b64 exec, exec, s[14:15]
	s_and_saveexec_b64 s[14:15], s[4:5]
	s_cbranch_execz .LBB117_35
.LBB117_34:
	v_add_u32_e32 v4, v4, v3
	v_mov_b32_e32 v5, 0
	v_lshlrev_b64 v[4:5], 2, v[4:5]
	s_waitcnt lgkmcnt(0)
	v_mov_b32_e32 v6, s13
	v_add_co_u32_e64 v4, s[6:7], s12, v4
	v_addc_co_u32_e64 v5, s[6:7], v6, v5, s[6:7]
	global_store_dword v[4:5], v35, off
.LBB117_35:
	s_or_b64 exec, exec, s[14:15]
	v_add3_u32 v4, v36, s11, 24
	v_cmp_gt_u32_e64 s[6:7], s8, v4
	s_and_b64 exec, exec, s[6:7]
	s_cbranch_execz .LBB117_65
; %bb.36:
	v_mul_lo_u32 v4, v4, s10
	s_and_saveexec_b64 s[14:15], vcc
	s_cbranch_execnz .LBB117_72
; %bb.37:
	s_or_b64 exec, exec, s[14:15]
	s_and_saveexec_b64 s[14:15], s[0:1]
	s_cbranch_execnz .LBB117_73
.LBB117_38:
	s_or_b64 exec, exec, s[14:15]
	s_and_saveexec_b64 s[14:15], s[2:3]
	s_cbranch_execnz .LBB117_74
.LBB117_39:
	s_or_b64 exec, exec, s[14:15]
	s_and_saveexec_b64 s[14:15], s[4:5]
	s_cbranch_execz .LBB117_41
.LBB117_40:
	v_add_u32_e32 v4, v4, v3
	v_mov_b32_e32 v5, 0
	v_lshlrev_b64 v[4:5], 2, v[4:5]
	s_waitcnt lgkmcnt(0)
	v_mov_b32_e32 v6, s13
	v_add_co_u32_e64 v4, s[6:7], s12, v4
	v_addc_co_u32_e64 v5, s[6:7], v6, v5, s[6:7]
	global_store_dword v[4:5], v31, off
.LBB117_41:
	s_or_b64 exec, exec, s[14:15]
	v_add3_u32 v4, v36, s11, 32
	v_cmp_gt_u32_e64 s[6:7], s8, v4
	s_and_b64 exec, exec, s[6:7]
	s_cbranch_execz .LBB117_65
; %bb.42:
	v_mul_lo_u32 v4, v4, s10
	s_and_saveexec_b64 s[14:15], vcc
	s_cbranch_execnz .LBB117_75
; %bb.43:
	s_or_b64 exec, exec, s[14:15]
	s_and_saveexec_b64 s[14:15], s[0:1]
	s_cbranch_execnz .LBB117_76
.LBB117_44:
	s_or_b64 exec, exec, s[14:15]
	s_and_saveexec_b64 s[14:15], s[2:3]
	s_cbranch_execnz .LBB117_77
.LBB117_45:
	s_or_b64 exec, exec, s[14:15]
	s_and_saveexec_b64 s[14:15], s[4:5]
	s_cbranch_execz .LBB117_47
.LBB117_46:
	v_add_u32_e32 v4, v4, v3
	v_mov_b32_e32 v5, 0
	v_lshlrev_b64 v[4:5], 2, v[4:5]
	s_waitcnt lgkmcnt(0)
	v_mov_b32_e32 v6, s13
	v_add_co_u32_e64 v4, s[6:7], s12, v4
	v_addc_co_u32_e64 v5, s[6:7], v6, v5, s[6:7]
	global_store_dword v[4:5], v27, off
.LBB117_47:
	s_or_b64 exec, exec, s[14:15]
	v_add3_u32 v4, v36, s11, 40
	v_cmp_gt_u32_e64 s[6:7], s8, v4
	s_and_b64 exec, exec, s[6:7]
	s_cbranch_execz .LBB117_65
; %bb.48:
	v_mul_lo_u32 v4, v4, s10
	s_and_saveexec_b64 s[14:15], vcc
	s_cbranch_execnz .LBB117_78
; %bb.49:
	s_or_b64 exec, exec, s[14:15]
	s_and_saveexec_b64 s[14:15], s[0:1]
	s_cbranch_execnz .LBB117_79
.LBB117_50:
	s_or_b64 exec, exec, s[14:15]
	s_and_saveexec_b64 s[14:15], s[2:3]
	s_cbranch_execnz .LBB117_80
.LBB117_51:
	s_or_b64 exec, exec, s[14:15]
	s_and_saveexec_b64 s[14:15], s[4:5]
	s_cbranch_execz .LBB117_53
.LBB117_52:
	v_add_u32_e32 v4, v4, v3
	v_mov_b32_e32 v5, 0
	v_lshlrev_b64 v[4:5], 2, v[4:5]
	s_waitcnt lgkmcnt(0)
	v_mov_b32_e32 v6, s13
	v_add_co_u32_e64 v4, s[6:7], s12, v4
	v_addc_co_u32_e64 v5, s[6:7], v6, v5, s[6:7]
	global_store_dword v[4:5], v23, off
.LBB117_53:
	s_or_b64 exec, exec, s[14:15]
	v_add3_u32 v4, v36, s11, 48
	v_cmp_gt_u32_e64 s[6:7], s8, v4
	s_and_b64 exec, exec, s[6:7]
	s_cbranch_execz .LBB117_65
; %bb.54:
	v_mul_lo_u32 v4, v4, s10
	s_and_saveexec_b64 s[14:15], vcc
	s_cbranch_execnz .LBB117_81
; %bb.55:
	s_or_b64 exec, exec, s[14:15]
	s_and_saveexec_b64 s[14:15], s[0:1]
	s_cbranch_execnz .LBB117_82
.LBB117_56:
	s_or_b64 exec, exec, s[14:15]
	s_and_saveexec_b64 s[14:15], s[2:3]
	s_cbranch_execnz .LBB117_83
.LBB117_57:
	s_or_b64 exec, exec, s[14:15]
	s_and_saveexec_b64 s[14:15], s[4:5]
	s_cbranch_execz .LBB117_59
.LBB117_58:
	v_add_u32_e32 v4, v4, v3
	v_mov_b32_e32 v5, 0
	v_lshlrev_b64 v[4:5], 2, v[4:5]
	s_waitcnt lgkmcnt(0)
	v_mov_b32_e32 v6, s13
	v_add_co_u32_e64 v4, s[6:7], s12, v4
	v_addc_co_u32_e64 v5, s[6:7], v6, v5, s[6:7]
	global_store_dword v[4:5], v19, off
.LBB117_59:
	s_or_b64 exec, exec, s[14:15]
	v_add3_u32 v4, v36, s11, 56
	v_cmp_gt_u32_e64 s[6:7], s8, v4
	s_and_b64 exec, exec, s[6:7]
	s_cbranch_execz .LBB117_65
; %bb.60:
	v_mul_lo_u32 v4, v4, s10
	s_and_saveexec_b64 s[6:7], vcc
	s_cbranch_execnz .LBB117_84
; %bb.61:
	s_or_b64 exec, exec, s[6:7]
	s_and_saveexec_b64 s[6:7], s[0:1]
	s_cbranch_execnz .LBB117_85
.LBB117_62:
	s_or_b64 exec, exec, s[6:7]
	s_and_saveexec_b64 s[0:1], s[2:3]
	s_cbranch_execnz .LBB117_86
.LBB117_63:
	s_or_b64 exec, exec, s[0:1]
	s_and_b64 exec, exec, s[4:5]
	s_cbranch_execz .LBB117_65
.LBB117_64:
	v_add_u32_e32 v0, v4, v3
	v_mov_b32_e32 v1, 0
	v_lshlrev_b64 v[0:1], 2, v[0:1]
	s_waitcnt lgkmcnt(0)
	v_mov_b32_e32 v2, s13
	v_add_co_u32_e32 v0, vcc, s12, v0
	v_addc_co_u32_e32 v1, vcc, v2, v1, vcc
	global_store_dword v[0:1], v15, off
.LBB117_65:
	s_endpgm
.LBB117_66:
	v_add_u32_e32 v5, v4, v0
	v_mov_b32_e32 v6, 0
	v_lshlrev_b64 v[5:6], 2, v[5:6]
	s_waitcnt lgkmcnt(0)
	v_mov_b32_e32 v7, s13
	v_add_co_u32_e64 v5, s[6:7], s12, v5
	v_addc_co_u32_e64 v6, s[6:7], v7, v6, s[6:7]
	global_store_dword v[5:6], v51, off
	s_or_b64 exec, exec, s[14:15]
	s_and_saveexec_b64 s[14:15], s[0:1]
	s_cbranch_execz .LBB117_26
.LBB117_67:
	v_add_u32_e32 v5, v4, v1
	v_mov_b32_e32 v6, 0
	v_lshlrev_b64 v[5:6], 2, v[5:6]
	s_waitcnt lgkmcnt(0)
	v_mov_b32_e32 v7, s13
	v_add_co_u32_e64 v5, s[6:7], s12, v5
	v_addc_co_u32_e64 v6, s[6:7], v7, v6, s[6:7]
	global_store_dword v[5:6], v43, off
	s_or_b64 exec, exec, s[14:15]
	s_and_saveexec_b64 s[14:15], s[2:3]
	s_cbranch_execz .LBB117_27
.LBB117_68:
	v_add_u32_e32 v5, v4, v2
	v_mov_b32_e32 v6, 0
	v_lshlrev_b64 v[5:6], 2, v[5:6]
	s_waitcnt lgkmcnt(0)
	v_mov_b32_e32 v7, s13
	v_add_co_u32_e64 v5, s[6:7], s12, v5
	v_addc_co_u32_e64 v6, s[6:7], v7, v6, s[6:7]
	global_store_dword v[5:6], v42, off
	s_or_b64 exec, exec, s[14:15]
	s_and_saveexec_b64 s[14:15], s[4:5]
	s_cbranch_execnz .LBB117_28
	s_branch .LBB117_29
.LBB117_69:
	v_add_u32_e32 v5, v4, v0
	v_mov_b32_e32 v6, 0
	v_lshlrev_b64 v[5:6], 2, v[5:6]
	s_waitcnt lgkmcnt(0)
	v_mov_b32_e32 v7, s13
	v_add_co_u32_e64 v5, s[6:7], s12, v5
	v_addc_co_u32_e64 v6, s[6:7], v7, v6, s[6:7]
	global_store_dword v[5:6], v40, off
	s_or_b64 exec, exec, s[14:15]
	s_and_saveexec_b64 s[14:15], s[0:1]
	s_cbranch_execz .LBB117_32
.LBB117_70:
	v_add_u32_e32 v5, v4, v1
	v_mov_b32_e32 v6, 0
	v_lshlrev_b64 v[5:6], 2, v[5:6]
	s_waitcnt lgkmcnt(0)
	v_mov_b32_e32 v7, s13
	v_add_co_u32_e64 v5, s[6:7], s12, v5
	v_addc_co_u32_e64 v6, s[6:7], v7, v6, s[6:7]
	global_store_dword v[5:6], v39, off
	s_or_b64 exec, exec, s[14:15]
	s_and_saveexec_b64 s[14:15], s[2:3]
	s_cbranch_execz .LBB117_33
.LBB117_71:
	v_add_u32_e32 v5, v4, v2
	v_mov_b32_e32 v6, 0
	v_lshlrev_b64 v[5:6], 2, v[5:6]
	s_waitcnt lgkmcnt(0)
	v_mov_b32_e32 v7, s13
	v_add_co_u32_e64 v5, s[6:7], s12, v5
	v_addc_co_u32_e64 v6, s[6:7], v7, v6, s[6:7]
	global_store_dword v[5:6], v37, off
	s_or_b64 exec, exec, s[14:15]
	s_and_saveexec_b64 s[14:15], s[4:5]
	s_cbranch_execnz .LBB117_34
	s_branch .LBB117_35
.LBB117_72:
	v_add_u32_e32 v5, v4, v0
	v_mov_b32_e32 v6, 0
	v_lshlrev_b64 v[5:6], 2, v[5:6]
	s_waitcnt lgkmcnt(0)
	v_mov_b32_e32 v7, s13
	v_add_co_u32_e64 v5, s[6:7], s12, v5
	v_addc_co_u32_e64 v6, s[6:7], v7, v6, s[6:7]
	global_store_dword v[5:6], v34, off
	s_or_b64 exec, exec, s[14:15]
	s_and_saveexec_b64 s[14:15], s[0:1]
	s_cbranch_execz .LBB117_38
.LBB117_73:
	v_add_u32_e32 v5, v4, v1
	v_mov_b32_e32 v6, 0
	v_lshlrev_b64 v[5:6], 2, v[5:6]
	s_waitcnt lgkmcnt(0)
	v_mov_b32_e32 v7, s13
	v_add_co_u32_e64 v5, s[6:7], s12, v5
	v_addc_co_u32_e64 v6, s[6:7], v7, v6, s[6:7]
	global_store_dword v[5:6], v33, off
	s_or_b64 exec, exec, s[14:15]
	s_and_saveexec_b64 s[14:15], s[2:3]
	s_cbranch_execz .LBB117_39
.LBB117_74:
	v_add_u32_e32 v5, v4, v2
	v_mov_b32_e32 v6, 0
	v_lshlrev_b64 v[5:6], 2, v[5:6]
	s_waitcnt lgkmcnt(0)
	v_mov_b32_e32 v7, s13
	v_add_co_u32_e64 v5, s[6:7], s12, v5
	v_addc_co_u32_e64 v6, s[6:7], v7, v6, s[6:7]
	global_store_dword v[5:6], v32, off
	s_or_b64 exec, exec, s[14:15]
	s_and_saveexec_b64 s[14:15], s[4:5]
	s_cbranch_execnz .LBB117_40
	s_branch .LBB117_41
.LBB117_75:
	v_add_u32_e32 v5, v4, v0
	v_mov_b32_e32 v6, 0
	v_lshlrev_b64 v[5:6], 2, v[5:6]
	s_waitcnt lgkmcnt(0)
	v_mov_b32_e32 v7, s13
	v_add_co_u32_e64 v5, s[6:7], s12, v5
	v_addc_co_u32_e64 v6, s[6:7], v7, v6, s[6:7]
	global_store_dword v[5:6], v30, off
	s_or_b64 exec, exec, s[14:15]
	s_and_saveexec_b64 s[14:15], s[0:1]
	s_cbranch_execz .LBB117_44
.LBB117_76:
	v_add_u32_e32 v5, v4, v1
	v_mov_b32_e32 v6, 0
	v_lshlrev_b64 v[5:6], 2, v[5:6]
	s_waitcnt lgkmcnt(0)
	v_mov_b32_e32 v7, s13
	v_add_co_u32_e64 v5, s[6:7], s12, v5
	v_addc_co_u32_e64 v6, s[6:7], v7, v6, s[6:7]
	global_store_dword v[5:6], v29, off
	s_or_b64 exec, exec, s[14:15]
	s_and_saveexec_b64 s[14:15], s[2:3]
	s_cbranch_execz .LBB117_45
.LBB117_77:
	v_add_u32_e32 v5, v4, v2
	v_mov_b32_e32 v6, 0
	v_lshlrev_b64 v[5:6], 2, v[5:6]
	s_waitcnt lgkmcnt(0)
	v_mov_b32_e32 v7, s13
	v_add_co_u32_e64 v5, s[6:7], s12, v5
	v_addc_co_u32_e64 v6, s[6:7], v7, v6, s[6:7]
	global_store_dword v[5:6], v28, off
	s_or_b64 exec, exec, s[14:15]
	s_and_saveexec_b64 s[14:15], s[4:5]
	s_cbranch_execnz .LBB117_46
	s_branch .LBB117_47
.LBB117_78:
	v_add_u32_e32 v5, v4, v0
	v_mov_b32_e32 v6, 0
	v_lshlrev_b64 v[5:6], 2, v[5:6]
	s_waitcnt lgkmcnt(0)
	v_mov_b32_e32 v7, s13
	v_add_co_u32_e64 v5, s[6:7], s12, v5
	v_addc_co_u32_e64 v6, s[6:7], v7, v6, s[6:7]
	global_store_dword v[5:6], v26, off
	s_or_b64 exec, exec, s[14:15]
	s_and_saveexec_b64 s[14:15], s[0:1]
	s_cbranch_execz .LBB117_50
.LBB117_79:
	v_add_u32_e32 v5, v4, v1
	v_mov_b32_e32 v6, 0
	v_lshlrev_b64 v[5:6], 2, v[5:6]
	s_waitcnt lgkmcnt(0)
	v_mov_b32_e32 v7, s13
	v_add_co_u32_e64 v5, s[6:7], s12, v5
	v_addc_co_u32_e64 v6, s[6:7], v7, v6, s[6:7]
	global_store_dword v[5:6], v25, off
	s_or_b64 exec, exec, s[14:15]
	s_and_saveexec_b64 s[14:15], s[2:3]
	s_cbranch_execz .LBB117_51
.LBB117_80:
	v_add_u32_e32 v5, v4, v2
	v_mov_b32_e32 v6, 0
	v_lshlrev_b64 v[5:6], 2, v[5:6]
	s_waitcnt lgkmcnt(0)
	v_mov_b32_e32 v7, s13
	v_add_co_u32_e64 v5, s[6:7], s12, v5
	v_addc_co_u32_e64 v6, s[6:7], v7, v6, s[6:7]
	global_store_dword v[5:6], v24, off
	s_or_b64 exec, exec, s[14:15]
	s_and_saveexec_b64 s[14:15], s[4:5]
	s_cbranch_execnz .LBB117_52
	s_branch .LBB117_53
.LBB117_81:
	v_add_u32_e32 v5, v4, v0
	v_mov_b32_e32 v6, 0
	v_lshlrev_b64 v[5:6], 2, v[5:6]
	s_waitcnt lgkmcnt(0)
	v_mov_b32_e32 v7, s13
	v_add_co_u32_e64 v5, s[6:7], s12, v5
	v_addc_co_u32_e64 v6, s[6:7], v7, v6, s[6:7]
	global_store_dword v[5:6], v22, off
	s_or_b64 exec, exec, s[14:15]
	s_and_saveexec_b64 s[14:15], s[0:1]
	s_cbranch_execz .LBB117_56
.LBB117_82:
	v_add_u32_e32 v5, v4, v1
	v_mov_b32_e32 v6, 0
	v_lshlrev_b64 v[5:6], 2, v[5:6]
	s_waitcnt lgkmcnt(0)
	v_mov_b32_e32 v7, s13
	v_add_co_u32_e64 v5, s[6:7], s12, v5
	v_addc_co_u32_e64 v6, s[6:7], v7, v6, s[6:7]
	global_store_dword v[5:6], v21, off
	s_or_b64 exec, exec, s[14:15]
	s_and_saveexec_b64 s[14:15], s[2:3]
	s_cbranch_execz .LBB117_57
.LBB117_83:
	v_add_u32_e32 v5, v4, v2
	v_mov_b32_e32 v6, 0
	v_lshlrev_b64 v[5:6], 2, v[5:6]
	s_waitcnt lgkmcnt(0)
	v_mov_b32_e32 v7, s13
	v_add_co_u32_e64 v5, s[6:7], s12, v5
	v_addc_co_u32_e64 v6, s[6:7], v7, v6, s[6:7]
	global_store_dword v[5:6], v20, off
	s_or_b64 exec, exec, s[14:15]
	s_and_saveexec_b64 s[14:15], s[4:5]
	s_cbranch_execnz .LBB117_58
	s_branch .LBB117_59
.LBB117_84:
	v_add_u32_e32 v5, v4, v0
	v_mov_b32_e32 v6, 0
	v_lshlrev_b64 v[5:6], 2, v[5:6]
	s_waitcnt lgkmcnt(0)
	v_mov_b32_e32 v0, s13
	v_add_co_u32_e32 v5, vcc, s12, v5
	v_addc_co_u32_e32 v6, vcc, v0, v6, vcc
	global_store_dword v[5:6], v18, off
	s_or_b64 exec, exec, s[6:7]
	s_and_saveexec_b64 s[6:7], s[0:1]
	s_cbranch_execz .LBB117_62
.LBB117_85:
	v_add_u32_e32 v0, v4, v1
	v_mov_b32_e32 v1, 0
	v_lshlrev_b64 v[0:1], 2, v[0:1]
	s_waitcnt lgkmcnt(0)
	v_mov_b32_e32 v5, s13
	v_add_co_u32_e32 v0, vcc, s12, v0
	v_addc_co_u32_e32 v1, vcc, v5, v1, vcc
	global_store_dword v[0:1], v17, off
	s_or_b64 exec, exec, s[6:7]
	s_and_saveexec_b64 s[0:1], s[2:3]
	s_cbranch_execz .LBB117_63
.LBB117_86:
	v_add_u32_e32 v0, v4, v2
	v_mov_b32_e32 v1, 0
	v_lshlrev_b64 v[0:1], 2, v[0:1]
	s_waitcnt lgkmcnt(0)
	v_mov_b32_e32 v2, s13
	v_add_co_u32_e32 v0, vcc, s12, v0
	v_addc_co_u32_e32 v1, vcc, v2, v1, vcc
	global_store_dword v[0:1], v16, off
	s_or_b64 exec, exec, s[0:1]
	s_and_b64 exec, exec, s[4:5]
	s_cbranch_execnz .LBB117_64
	s_branch .LBB117_65
	.section	.rodata,"a",@progbits
	.p2align	6, 0x0
	.amdhsa_kernel _ZL12mul_mat_q4_0IfLb0EEvPKvS1_PT_iiiii
		.amdhsa_group_segment_fixed_size 30336
		.amdhsa_private_segment_fixed_size 116
		.amdhsa_kernarg_size 44
		.amdhsa_user_sgpr_count 6
		.amdhsa_user_sgpr_private_segment_buffer 1
		.amdhsa_user_sgpr_dispatch_ptr 0
		.amdhsa_user_sgpr_queue_ptr 0
		.amdhsa_user_sgpr_kernarg_segment_ptr 1
		.amdhsa_user_sgpr_dispatch_id 0
		.amdhsa_user_sgpr_flat_scratch_init 0
		.amdhsa_user_sgpr_private_segment_size 0
		.amdhsa_uses_dynamic_stack 0
		.amdhsa_system_sgpr_private_segment_wavefront_offset 1
		.amdhsa_system_sgpr_workgroup_id_x 1
		.amdhsa_system_sgpr_workgroup_id_y 1
		.amdhsa_system_sgpr_workgroup_id_z 0
		.amdhsa_system_sgpr_workgroup_info 0
		.amdhsa_system_vgpr_workitem_id 1
		.amdhsa_next_free_vgpr 128
		.amdhsa_next_free_sgpr 98
		.amdhsa_reserve_vcc 1
		.amdhsa_reserve_flat_scratch 0
		.amdhsa_float_round_mode_32 0
		.amdhsa_float_round_mode_16_64 0
		.amdhsa_float_denorm_mode_32 3
		.amdhsa_float_denorm_mode_16_64 3
		.amdhsa_dx10_clamp 1
		.amdhsa_ieee_mode 1
		.amdhsa_fp16_overflow 0
		.amdhsa_exception_fp_ieee_invalid_op 0
		.amdhsa_exception_fp_denorm_src 0
		.amdhsa_exception_fp_ieee_div_zero 0
		.amdhsa_exception_fp_ieee_overflow 0
		.amdhsa_exception_fp_ieee_underflow 0
		.amdhsa_exception_fp_ieee_inexact 0
		.amdhsa_exception_int_div_zero 0
	.end_amdhsa_kernel
	.section	.text._ZL12mul_mat_q4_0IfLb0EEvPKvS1_PT_iiiii,"axG",@progbits,_ZL12mul_mat_q4_0IfLb0EEvPKvS1_PT_iiiii,comdat
.Lfunc_end117:
	.size	_ZL12mul_mat_q4_0IfLb0EEvPKvS1_PT_iiiii, .Lfunc_end117-_ZL12mul_mat_q4_0IfLb0EEvPKvS1_PT_iiiii
                                        ; -- End function
	.set _ZL12mul_mat_q4_0IfLb0EEvPKvS1_PT_iiiii.num_vgpr, 128
	.set _ZL12mul_mat_q4_0IfLb0EEvPKvS1_PT_iiiii.num_agpr, 0
	.set _ZL12mul_mat_q4_0IfLb0EEvPKvS1_PT_iiiii.numbered_sgpr, 24
	.set _ZL12mul_mat_q4_0IfLb0EEvPKvS1_PT_iiiii.num_named_barrier, 0
	.set _ZL12mul_mat_q4_0IfLb0EEvPKvS1_PT_iiiii.private_seg_size, 116
	.set _ZL12mul_mat_q4_0IfLb0EEvPKvS1_PT_iiiii.uses_vcc, 1
	.set _ZL12mul_mat_q4_0IfLb0EEvPKvS1_PT_iiiii.uses_flat_scratch, 0
	.set _ZL12mul_mat_q4_0IfLb0EEvPKvS1_PT_iiiii.has_dyn_sized_stack, 0
	.set _ZL12mul_mat_q4_0IfLb0EEvPKvS1_PT_iiiii.has_recursion, 0
	.set _ZL12mul_mat_q4_0IfLb0EEvPKvS1_PT_iiiii.has_indirect_call, 0
	.section	.AMDGPU.csdata,"",@progbits
; Kernel info:
; codeLenInByte = 12784
; TotalNumSgprs: 28
; NumVgprs: 128
; ScratchSize: 116
; MemoryBound: 0
; FloatMode: 240
; IeeeMode: 1
; LDSByteSize: 30336 bytes/workgroup (compile time only)
; SGPRBlocks: 12
; VGPRBlocks: 31
; NumSGPRsForWavesPerEU: 102
; NumVGPRsForWavesPerEU: 128
; Occupancy: 2
; WaveLimiterHint : 0
; COMPUTE_PGM_RSRC2:SCRATCH_EN: 1
; COMPUTE_PGM_RSRC2:USER_SGPR: 6
; COMPUTE_PGM_RSRC2:TRAP_HANDLER: 0
; COMPUTE_PGM_RSRC2:TGID_X_EN: 1
; COMPUTE_PGM_RSRC2:TGID_Y_EN: 1
; COMPUTE_PGM_RSRC2:TGID_Z_EN: 0
; COMPUTE_PGM_RSRC2:TIDIG_COMP_CNT: 1
	.section	.text._ZL12mul_mat_q4_0IfLb1EEvPKvS1_PT_iiiii,"axG",@progbits,_ZL12mul_mat_q4_0IfLb1EEvPKvS1_PT_iiiii,comdat
	.globl	_ZL12mul_mat_q4_0IfLb1EEvPKvS1_PT_iiiii ; -- Begin function _ZL12mul_mat_q4_0IfLb1EEvPKvS1_PT_iiiii
	.p2align	8
	.type	_ZL12mul_mat_q4_0IfLb1EEvPKvS1_PT_iiiii,@function
_ZL12mul_mat_q4_0IfLb1EEvPKvS1_PT_iiiii: ; @_ZL12mul_mat_q4_0IfLb1EEvPKvS1_PT_iiiii
; %bb.0:
	s_mov_b64 s[22:23], s[2:3]
	s_mov_b64 s[20:21], s[0:1]
	s_add_u32 s20, s20, s8
	s_addc_u32 s21, s21, 0
	buffer_store_dword v0, off, s[20:23], 0 offset:72 ; 4-byte Folded Spill
	s_load_dwordx4 s[8:11], s[4:5], 0x18
	s_load_dword s14, s[4:5], 0x28
	s_lshl_b32 s15, s7, 6
	v_add_u32_e32 v50, s15, v1
	buffer_store_dword v1, off, s[20:23], 0 offset:180 ; 4-byte Folded Spill
	s_waitcnt lgkmcnt(0)
	s_cmp_gt_i32 s8, 31
	s_cbranch_scc1 .LBB118_2
; %bb.1:
	buffer_load_dword v0, off, s[20:23], 0 offset:180 ; 4-byte Folded Reload
	s_mov_b64 s[0:1], 0
	s_waitcnt vmcnt(0)
	v_add_u32_e32 v0, s15, v0
	s_branch .LBB118_3
.LBB118_2:
	s_mov_b64 s[0:1], -1
                                        ; implicit-def: $vgpr0
.LBB118_3:
	s_load_dwordx2 s[12:13], s[4:5], 0x10
	s_lshl_b32 s6, s6, 7
	v_mov_b32_e32 v31, 0
	s_andn2_b64 vcc, exec, s[0:1]
	v_mov_b32_e32 v35, 0
	v_mov_b32_e32 v39, 0
	;; [unrolled: 1-line block ×31, first 2 shown]
	s_cbranch_vccnz .LBB118_15
; %bb.4:
	buffer_load_dword v41, off, s[20:23], 0 offset:72 ; 4-byte Folded Reload
	buffer_load_dword v2, off, s[20:23], 0 offset:180 ; 4-byte Folded Reload
	s_load_dwordx4 s[0:3], s[4:5], 0x0
	s_ashr_i32 s4, s8, 31
	s_lshr_b32 s4, s4, 27
	s_ashr_i32 s5, s11, 31
	s_add_i32 s4, s8, s4
	s_lshr_b32 s5, s5, 27
	s_ashr_i32 s4, s4, 5
	s_add_i32 s5, s11, s5
	s_ashr_i32 s11, s5, 5
	s_mul_i32 s5, s4, s6
	s_mul_hi_i32 s7, s5, 18
	s_mul_i32 s5, s5, 18
	s_waitcnt lgkmcnt(0)
	s_add_u32 s5, s0, s5
	s_addc_u32 s7, s1, s7
	s_not_b32 s0, s6
	s_add_i32 s1, s9, s0
	s_movk_i32 s0, 0x84
	v_add_u32_e32 v7, 16, v50
	v_cvt_f64_u32_e32 v[7:8], v7
	v_mov_b32_e32 v52, 0
	v_mov_b32_e32 v74, 0
	;; [unrolled: 1-line block ×18, first 2 shown]
	s_waitcnt vmcnt(1)
	v_lshlrev_b32_e32 v0, 2, v41
	s_waitcnt vmcnt(0)
	v_min_i32_e32 v1, s1, v2
	v_add_u32_e32 v9, 8, v2
	v_mul_lo_u32 v62, v1, s4
	v_mad_u64_u32 v[66:67], s[8:9], v1, s0, v[0:1]
	v_min_i32_e32 v1, s1, v9
	v_add_u32_e32 v10, 16, v2
	v_mul_lo_u32 v67, v1, s4
	v_mad_u64_u32 v[15:16], s[8:9], v1, s0, v[0:1]
	;; [unrolled: 4-line block ×3, first 2 shown]
	v_min_i32_e32 v1, s1, v13
	v_add_u32_e32 v14, 32, v2
	v_mov_b32_e32 v42, v2
	v_mul_lo_u32 v70, v1, s4
	v_mad_u64_u32 v[17:18], s[8:9], v1, s0, v[0:1]
	v_min_i32_e32 v1, s1, v14
	v_add_u32_e32 v27, 40, v42
	v_mul_lo_u32 v18, v1, s4
	v_mad_u64_u32 v[71:72], s[8:9], v1, s0, v[0:1]
	v_min_i32_e32 v1, s1, v27
	v_add_u32_e32 v28, 48, v42
	;; [unrolled: 4-line block ×3, first 2 shown]
	v_mul_lo_u32 v20, v1, s4
	v_mad_u64_u32 v[21:22], s[8:9], v1, s0, v[0:1]
	v_min_i32_e32 v1, s1, v29
	v_mul_lo_u32 v64, v1, s4
	v_mad_u64_u32 v[75:76], s[8:9], v1, s0, v[0:1]
	v_add_u32_e32 v1, 64, v42
	v_min_i32_e32 v1, s1, v1
	v_mul_lo_u32 v22, v1, s4
	v_mad_u64_u32 v[76:77], s[8:9], v1, s0, v[0:1]
	v_add_u32_e32 v1, 0x48, v42
	;; [unrolled: 4-line block ×8, first 2 shown]
	v_min_i32_e32 v1, s1, v1
	v_mul_lo_u32 v25, v1, s4
	v_mad_u64_u32 v[79:80], s[8:9], v1, s0, v[0:1]
	v_lshrrev_b32_e32 v1, 3, v41
	buffer_store_dword v1, off, s[20:23], 0 offset:92 ; 4-byte Folded Spill
	v_lshl_add_u32 v1, v42, 2, v1
	v_min_i32_e32 v2, s1, v1
	v_ashrrev_i32_e32 v3, 31, v2
	v_lshrrev_b32_e32 v3, 30, v3
	v_and_b32_e32 v86, 7, v41
	v_mul_lo_u32 v84, v2, s4
	v_add_u32_e32 v3, v2, v3
	v_lshlrev_b32_e32 v30, 5, v2
	v_add_u32_e32 v2, 32, v1
	v_and_b32_e32 v3, -4, v3
	v_lshlrev_b32_e32 v4, 2, v86
	s_movk_i32 s8, 0x6200
	v_min_i32_e32 v2, s1, v2
	v_add3_u32 v26, v3, v4, s8
	v_ashrrev_i32_e32 v3, 31, v2
	v_lshrrev_b32_e32 v3, 30, v3
	v_mul_lo_u32 v61, v2, s4
	v_add_u32_e32 v3, v2, v3
	v_lshlrev_b32_e32 v32, 5, v2
	v_add_u32_e32 v2, 64, v1
	v_and_b32_e32 v3, -4, v3
	v_min_i32_e32 v2, s1, v2
	v_add3_u32 v31, v3, v4, s8
	v_ashrrev_i32_e32 v3, 31, v2
	v_add_u32_e32 v1, 0x60, v1
	v_lshrrev_b32_e32 v3, 30, v3
	v_min_i32_e32 v1, s1, v1
	v_mul_lo_u32 v65, v2, s4
	v_add_u32_e32 v3, v2, v3
	v_lshlrev_b32_e32 v34, 5, v2
	v_ashrrev_i32_e32 v2, 31, v1
	v_lshrrev_b32_e32 v2, 30, v2
	v_and_b32_e32 v3, -4, v3
	v_add_u32_e32 v2, v1, v2
	v_lshrrev_b32_e32 v57, 2, v41
	v_and_b32_e32 v59, 12, v0
	v_add3_u32 v33, v3, v4, s8
	v_and_b32_e32 v2, -4, v2
	s_add_i32 s1, s10, -1
	v_and_b32_e32 v3, 31, v41
	v_and_b32_e32 v37, 28, v0
	v_mov_b32_e32 v0, 0x4200
	v_mul_lo_u32 v80, v1, s4
	v_add3_u32 v35, v2, v4, s8
	v_lshlrev_b32_e32 v36, 5, v1
	v_cvt_f64_i32_e32 v[1:2], s1
	v_lshl_or_b32 v43, v3, 2, v0
	v_lshl_add_u32 v0, v42, 3, v57
	v_cvt_f64_u32_e32 v[3:4], v50
	v_and_b32_e32 v11, 63, v0
	v_or_b32_e32 v5, s15, v11
	v_min_i32_e32 v12, s1, v5
	v_add_u32_e32 v5, 8, v50
	v_cvt_f64_u32_e32 v[5:6], v5
	v_min_f64 v[3:4], v[3:4], v[1:2]
	v_and_b32_e32 v0, 3, v41
	v_mad_u64_u32 v[38:39], s[8:9], v12, s11, v[0:1]
	v_min_f64 v[5:6], v[5:6], v[1:2]
	v_min_f64 v[7:8], v[7:8], v[1:2]
	v_lshlrev_b32_e32 v0, 2, v0
	v_lshl_or_b32 v0, v11, 4, v0
	v_cvt_i32_f64_e32 v3, v[3:4]
	v_add_u32_e32 v0, 0x7280, v0
	buffer_store_dword v38, off, s[20:23], 0 offset:112 ; 4-byte Folded Spill
	s_nop 0
	buffer_store_dword v39, off, s[20:23], 0 offset:116 ; 4-byte Folded Spill
	buffer_store_dword v0, off, s[20:23], 0 ; 4-byte Folded Spill
	v_cvt_i32_f64_e32 v0, v[5:6]
	v_mul_lo_u32 v3, s11, v3
	v_lshlrev_b32_e32 v38, 7, v9
	v_lshlrev_b32_e32 v39, 7, v10
	v_mul_lo_u32 v0, s11, v0
	buffer_store_dword v3, off, s[20:23], 0 offset:4 ; 4-byte Folded Spill
	v_cvt_i32_f64_e32 v3, v[7:8]
	v_lshlrev_b32_e32 v44, 7, v42
	buffer_store_dword v0, off, s[20:23], 0 offset:8 ; 4-byte Folded Spill
	buffer_store_dword v50, off, s[20:23], 0 offset:184 ; 4-byte Folded Spill
	v_mul_lo_u32 v0, s11, v3
	s_add_i32 s8, s4, 3
	s_mov_b32 s9, 0
	buffer_store_dword v0, off, s[20:23], 0 offset:12 ; 4-byte Folded Spill
	v_add_u32_e32 v0, 24, v50
	v_cvt_f64_u32_e32 v[3:4], v0
	v_add_u32_e32 v0, 32, v50
	v_cvt_f64_u32_e32 v[5:6], v0
	v_add_u32_e32 v0, 40, v50
	v_min_f64 v[3:4], v[3:4], v[1:2]
	v_cvt_f64_u32_e32 v[7:8], v0
	v_add_u32_e32 v0, 48, v50
	v_cvt_f64_u32_e32 v[9:10], v0
	v_min_f64 v[5:6], v[5:6], v[1:2]
	v_min_f64 v[7:8], v[7:8], v[1:2]
	v_add_u32_e32 v0, 56, v50
	v_cvt_f64_u32_e32 v[11:12], v0
	v_cvt_i32_f64_e32 v40, v[3:4]
	v_min_f64 v[3:4], v[9:10], v[1:2]
	v_min_f64 v[0:1], v[11:12], v[1:2]
	v_cvt_i32_f64_e32 v5, v[5:6]
	v_cvt_i32_f64_e32 v6, v[7:8]
	v_add_u32_e32 v7, 0x60, v41
	v_and_b32_e32 v7, 0x1fc, v7
	v_mul_lo_u32 v2, s11, v40
	v_cvt_i32_f64_e32 v3, v[3:4]
	v_mul_lo_u32 v4, s11, v6
	v_cvt_i32_f64_e32 v0, v[0:1]
	v_lshlrev_b32_e32 v1, 7, v27
	v_mul_lo_u32 v3, s11, v3
	buffer_store_dword v4, off, s[20:23], 0 offset:24 ; 4-byte Folded Spill
	v_add_u32_e32 v4, 32, v41
	v_lshrrev_b32_e32 v8, 3, v4
	buffer_store_dword v8, off, s[20:23], 0 offset:156 ; 4-byte Folded Spill
	v_mov_b32_e32 v8, s3
	v_add_co_u32_e32 v27, vcc, s2, v37
	buffer_store_dword v3, off, s[20:23], 0 offset:28 ; 4-byte Folded Spill
	v_lshlrev_b32_e32 v3, 7, v28
	v_add_u32_e32 v6, 64, v41
	v_addc_co_u32_e32 v28, vcc, 0, v8, vcc
	v_lshlrev_b32_e32 v8, 5, v41
	v_add_u32_e32 v7, v8, v7
	v_and_b32_e32 v6, 0x1fc, v6
	v_add_u32_e32 v9, 0x6e00, v7
	v_add_u32_e32 v6, v8, v6
	v_and_b32_e32 v4, 0x1fc, v4
	buffer_store_dword v9, off, s[20:23], 0 offset:124 ; 4-byte Folded Spill
	v_add_u32_e32 v9, 0x6a00, v6
	v_add_u32_e32 v4, v8, v4
	buffer_store_dword v9, off, s[20:23], 0 offset:128 ; 4-byte Folded Spill
	v_add_u32_e32 v9, 0x6600, v4
	buffer_store_dword v9, off, s[20:23], 0 offset:132 ; 4-byte Folded Spill
	v_and_b32_e32 v9, 0xfc, v41
	v_mul_lo_u32 v5, s11, v5
	v_mul_lo_u32 v0, s11, v0
	v_add_u32_e32 v8, v8, v9
	v_add_u32_e32 v9, 0x6200, v8
	buffer_store_dword v9, off, s[20:23], 0 offset:136 ; 4-byte Folded Spill
	v_mov_b32_e32 v9, 0x7280
	v_lshl_add_u32 v9, v42, 4, v9
	buffer_store_dword v2, off, s[20:23], 0 offset:16 ; 4-byte Folded Spill
	buffer_store_dword v5, off, s[20:23], 0 offset:20 ; 4-byte Folded Spill
	buffer_store_dword v0, off, s[20:23], 0 offset:32 ; 4-byte Folded Spill
	buffer_store_dword v9, off, s[20:23], 0 offset:36 ; 4-byte Folded Spill
	buffer_store_dword v44, off, s[20:23], 0 offset:120 ; 4-byte Folded Spill
	v_add_u32_e32 v9, 0x4200, v44
	v_lshlrev_b32_e32 v2, 7, v13
	buffer_store_dword v9, off, s[20:23], 0 offset:40 ; 4-byte Folded Spill
	v_mad_u32_u24 v9, v41, s0, 64
	v_lshlrev_b32_e32 v5, 7, v14
	buffer_store_dword v9, off, s[20:23], 0 offset:160 ; 4-byte Folded Spill
	v_add_u32_e32 v4, 0x6610, v4
	v_add_u32_e32 v9, v43, v38
	;; [unrolled: 1-line block ×4, first 2 shown]
	v_lshlrev_b32_e32 v0, 7, v29
	v_add_u32_e32 v7, 0x6e10, v7
	v_add_u32_e32 v6, 0x6a10, v6
	buffer_store_dword v4, off, s[20:23], 0 offset:172 ; 4-byte Folded Spill
	v_add_u32_e32 v4, 0x6210, v8
	buffer_store_dword v9, off, s[20:23], 0 offset:44 ; 4-byte Folded Spill
	;; [unrolled: 2-line block ×5, first 2 shown]
	buffer_store_dword v6, off, s[20:23], 0 offset:168 ; 4-byte Folded Spill
	buffer_store_dword v4, off, s[20:23], 0 offset:176 ; 4-byte Folded Spill
	v_add_u32_e32 v4, v26, v30
	v_add_u32_e32 v6, v31, v32
	;; [unrolled: 1-line block ×4, first 2 shown]
	buffer_store_dword v9, off, s[20:23], 0 offset:48 ; 4-byte Folded Spill
	buffer_store_dword v2, off, s[20:23], 0 offset:56 ; 4-byte Folded Spill
	;; [unrolled: 1-line block ×4, first 2 shown]
	v_add_u32_e32 v0, v43, v0
	v_mov_b32_e32 v42, 0
	v_mov_b32_e32 v38, 0
	;; [unrolled: 1-line block ×14, first 2 shown]
	buffer_store_dword v0, off, s[20:23], 0 offset:68 ; 4-byte Folded Spill
	buffer_store_dword v60, off, s[20:23], 0 offset:76 ; 4-byte Folded Spill
	s_nop 0
	buffer_store_dword v61, off, s[20:23], 0 offset:80 ; 4-byte Folded Spill
	buffer_store_dword v79, off, s[20:23], 0 offset:84 ; 4-byte Folded Spill
	s_nop 0
	buffer_store_dword v80, off, s[20:23], 0 offset:88 ; 4-byte Folded Spill
	buffer_store_dword v61, off, s[20:23], 0 offset:96 ; 4-byte Folded Spill
	;; [unrolled: 1-line block ×8, first 2 shown]
	s_branch .LBB118_7
.LBB118_5:                              ;   in Loop: Header=BB118_7 Depth=1
	buffer_load_dword v60, off, s[20:23], 0 offset:76 ; 4-byte Folded Reload
	buffer_load_dword v61, off, s[20:23], 0 offset:80 ; 4-byte Folded Reload
	;; [unrolled: 1-line block ×8, first 2 shown]
	v_mov_b32_e32 v57, v65
	buffer_load_dword v61, off, s[20:23], 0 offset:96 ; 4-byte Folded Reload
	buffer_load_dword v65, off, s[20:23], 0 offset:100 ; 4-byte Folded Reload
	;; [unrolled: 1-line block ×3, first 2 shown]
.LBB118_6:                              ;   in Loop: Header=BB118_7 Depth=1
	s_add_i32 s9, s9, 8
	s_add_i32 s8, s8, -8
	s_cmp_ge_i32 s9, s4
	s_cbranch_scc1 .LBB118_14
.LBB118_7:                              ; =>This Loop Header: Depth=1
                                        ;     Child Loop BB118_9 Depth 2
                                        ;     Child Loop BB118_12 Depth 2
	s_mul_i32 s0, s9, 18
	s_mul_hi_u32 s1, s9, 18
	s_add_u32 s0, s5, s0
	s_addc_u32 s1, s7, s1
	v_mad_u64_u32 v[2:3], s[16:17], v57, 18, s[0:1]
	s_cmp_gt_u32 s8, 3
	v_mad_i64_i32 v[0:1], s[16:17], v62, 18, v[2:3]
	v_add_co_u32_e32 v0, vcc, v0, v59
	v_addc_co_u32_e32 v1, vcc, 0, v1, vcc
	global_load_dword v0, v[0:1], off offset:2
	s_waitcnt vmcnt(0)
	ds_write_b32 v66, v0
	v_mad_i64_i32 v[0:1], s[16:17], v67, 18, v[2:3]
	v_add_co_u32_e32 v0, vcc, v0, v59
	v_addc_co_u32_e32 v1, vcc, 0, v1, vcc
	global_load_dword v0, v[0:1], off offset:2
	s_waitcnt vmcnt(0)
	ds_write_b32 v15, v0
	;; [unrolled: 6-line block ×16, first 2 shown]
	v_mad_u64_u32 v[0:1], s[0:1], v86, 18, s[0:1]
	v_mad_i64_i32 v[2:3], s[0:1], v84, 18, v[0:1]
	global_load_ushort v2, v[2:3], off
	s_waitcnt vmcnt(0)
	v_cvt_f32_f16_e32 v2, v2
	ds_write_b32 v4, v2
	v_mad_i64_i32 v[2:3], s[0:1], v61, 18, v[0:1]
	global_load_ushort v2, v[2:3], off
	s_waitcnt vmcnt(0)
	v_cvt_f32_f16_e32 v2, v2
	ds_write_b32 v6, v2
	v_mad_i64_i32 v[2:3], s[0:1], v65, 18, v[0:1]
	v_mad_i64_i32 v[0:1], s[0:1], v80, 18, v[0:1]
	global_load_ushort v2, v[2:3], off
	s_nop 0
	global_load_ushort v0, v[0:1], off
	s_waitcnt vmcnt(1)
	v_cvt_f32_f16_e32 v2, v2
	s_waitcnt vmcnt(0)
	v_cvt_f32_f16_e32 v0, v0
	ds_write_b32 v7, v2
	ds_write_b32 v8, v0
	s_cbranch_scc0 .LBB118_6
; %bb.8:                                ;   in Loop: Header=BB118_7 Depth=1
	buffer_load_dword v0, off, s[20:23], 0 offset:112 ; 4-byte Folded Reload
	buffer_load_dword v1, off, s[20:23], 0 offset:116 ; 4-byte Folded Reload
	v_mov_b32_e32 v65, v57
	s_waitcnt vmcnt(1)
	v_add_u32_e32 v122, s9, v0
	buffer_load_dword v0, off, s[20:23], 0 offset:92 ; 4-byte Folded Reload
	s_waitcnt vmcnt(0)
	v_add_u32_e32 v2, s9, v0
	buffer_load_dword v0, off, s[20:23], 0 offset:4 ; 4-byte Folded Reload
	s_waitcnt vmcnt(0)
	v_add_u32_e32 v0, v2, v0
	v_mad_i64_i32 v[0:1], s[0:1], v0, 36, v[27:28]
	global_load_dword v0, v[0:1], off offset:4
	s_nop 0
	buffer_load_dword v1, off, s[20:23], 0 offset:108 ; 4-byte Folded Reload
	buffer_load_dword v3, off, s[20:23], 0 offset:120 ; 4-byte Folded Reload
	s_waitcnt vmcnt(0)
	v_add_u32_e32 v123, v1, v3
	ds_write_b32 v123, v0
	buffer_load_dword v0, off, s[20:23], 0 offset:8 ; 4-byte Folded Reload
	s_waitcnt vmcnt(0)
	v_add_u32_e32 v0, v2, v0
	v_mad_i64_i32 v[0:1], s[0:1], v0, 36, v[27:28]
	global_load_dword v0, v[0:1], off offset:4
	s_nop 0
	buffer_load_dword v1, off, s[20:23], 0 offset:44 ; 4-byte Folded Reload
	s_waitcnt vmcnt(0)
	ds_write_b32 v1, v0
	buffer_load_dword v0, off, s[20:23], 0 offset:12 ; 4-byte Folded Reload
	s_waitcnt vmcnt(0)
	v_add_u32_e32 v0, v2, v0
	v_mad_i64_i32 v[0:1], s[0:1], v0, 36, v[27:28]
	global_load_dword v0, v[0:1], off offset:4
	s_nop 0
	buffer_load_dword v1, off, s[20:23], 0 offset:48 ; 4-byte Folded Reload
	s_waitcnt vmcnt(0)
	;; [unrolled: 9-line block ×7, first 2 shown]
	ds_write_b32 v1, v0
	v_mad_u64_u32 v[0:1], s[0:1], v122, 36, s[2:3]
	s_mov_b32 s0, -4
	global_load_dword v0, v[0:1], off
	s_nop 0
	buffer_load_dword v1, off, s[20:23], 0  ; 4-byte Folded Reload
	s_waitcnt vmcnt(0)
	ds_write_b32 v1, v0
	s_waitcnt lgkmcnt(0)
	s_barrier
	buffer_load_dword v124, off, s[20:23], 0 offset:40 ; 4-byte Folded Reload
	buffer_load_dword v125, off, s[20:23], 0 offset:36 ; 4-byte Folded Reload
	;; [unrolled: 1-line block ×7, first 2 shown]
	s_waitcnt vmcnt(0)
	v_mul_u32_u24_e32 v99, 0x84, v0
.LBB118_9:                              ;   Parent Loop BB118_7 Depth=1
                                        ; =>  This Inner Loop Header: Depth=2
	ds_read_b128 v[2:5], v124
	ds_read_b128 v[6:9], v124 offset:16
	ds_read2_b32 v[29:30], v125 offset1:32
	s_add_i32 s0, s0, 4
	s_cmp_lt_u32 s0, 12
	s_waitcnt lgkmcnt(0)
	v_cvt_f32_f16_sdwa v0, v29 dst_sel:DWORD dst_unused:UNUSED_PAD src0_sel:WORD_1
	v_mul_f32_e32 v61, 0x41000000, v0
	ds_read_b32 v106, v126
	ds_read2_b32 v[0:1], v99 offset1:1
	v_add_u32_e32 v126, 4, v126
	s_waitcnt lgkmcnt(0)
	v_and_b32_e32 v107, 0xf0f0f0f, v0
	v_lshrrev_b32_e32 v0, 4, v0
	v_and_b32_e32 v108, 0xf0f0f0f, v0
	v_dot4_i32_i8 v0, v107, v2, 0
	v_dot4_i32_i8 v0, v108, v6, v0
	v_and_b32_e32 v109, 0xf0f0f0f, v1
	v_lshrrev_b32_e32 v1, 4, v1
	v_and_b32_e32 v110, 0xf0f0f0f, v1
	v_dot4_i32_i8 v0, v109, v3, v0
	v_dot4_i32_i8 v10, v110, v7, v0
	ds_read2_b32 v[0:1], v99 offset0:2 offset1:3
	s_waitcnt lgkmcnt(0)
	v_and_b32_e32 v50, 0xf0f0f0f, v0
	v_lshrrev_b32_e32 v0, 4, v0
	v_and_b32_e32 v105, 0xf0f0f0f, v0
	v_dot4_i32_i8 v0, v50, v4, v10
	v_dot4_i32_i8 v0, v105, v8, v0
	v_and_b32_e32 v57, 0xf0f0f0f, v1
	v_lshrrev_b32_e32 v1, 4, v1
	v_and_b32_e32 v79, 0xf0f0f0f, v1
	v_dot4_i32_i8 v0, v57, v5, v0
	v_dot4_i32_i8 v0, v79, v9, v0
	v_cvt_f32_i32_e32 v0, v0
	v_fma_mix_f32 v0, v29, v0, -v61 op_sel_hi:[1,0,0]
	v_fmac_f32_e32 v52, v106, v0
	v_add_u32_e32 v0, 0x1080, v99
	ds_read_b32 v26, v127
	ds_read2_b32 v[0:1], v0 offset1:1
	v_add_u32_e32 v127, 4, v127
	s_waitcnt lgkmcnt(0)
	v_and_b32_e32 v102, 0xf0f0f0f, v1
	v_lshrrev_b32_e32 v1, 4, v1
	v_and_b32_e32 v103, 0xf0f0f0f, v1
	v_add_u32_e32 v1, 0x1088, v99
	ds_read2_b32 v[10:11], v1 offset1:1
	v_and_b32_e32 v91, 0xf0f0f0f, v0
	v_lshrrev_b32_e32 v0, 4, v0
	v_and_b32_e32 v80, 0xf0f0f0f, v0
	v_dot4_i32_i8 v0, v91, v2, 0
	v_dot4_i32_i8 v0, v80, v6, v0
	;; [unrolled: 1-line block ×4, first 2 shown]
	s_waitcnt lgkmcnt(0)
	v_and_b32_e32 v87, 0xf0f0f0f, v10
	v_lshrrev_b32_e32 v1, 4, v10
	v_and_b32_e32 v89, 0xf0f0f0f, v1
	v_dot4_i32_i8 v0, v87, v4, v0
	v_dot4_i32_i8 v0, v89, v8, v0
	v_and_b32_e32 v1, 0xf0f0f0f, v11
	v_lshrrev_b32_e32 v10, 4, v11
	v_and_b32_e32 v90, 0xf0f0f0f, v10
	v_dot4_i32_i8 v0, v1, v5, v0
	v_dot4_i32_i8 v0, v90, v9, v0
	v_cvt_f32_i32_e32 v0, v0
	v_fma_mix_f32 v0, v29, v0, -v61 op_sel_hi:[1,0,0]
	v_fmac_f32_e32 v88, v26, v0
	v_add_u32_e32 v0, 0x2100, v99
	ds_read_b32 v92, v101
	ds_read2_b32 v[10:11], v0 offset1:1
	v_add_u32_e32 v101, 4, v101
	s_waitcnt lgkmcnt(0)
	v_and_b32_e32 v93, 0xf0f0f0f, v10
	v_lshrrev_b32_e32 v0, 4, v10
	v_lshrrev_b32_e32 v10, 4, v11
	v_and_b32_e32 v96, 0xf0f0f0f, v10
	v_add_u32_e32 v10, 0x2108, v99
	v_and_b32_e32 v95, 0xf0f0f0f, v11
	ds_read2_b32 v[10:11], v10 offset1:1
	v_and_b32_e32 v94, 0xf0f0f0f, v0
	v_dot4_i32_i8 v0, v93, v2, 0
	v_dot4_i32_i8 v0, v94, v6, v0
	v_dot4_i32_i8 v0, v95, v3, v0
	v_dot4_i32_i8 v0, v96, v7, v0
	s_waitcnt lgkmcnt(0)
	v_and_b32_e32 v98, 0xf0f0f0f, v10
	v_lshrrev_b32_e32 v10, 4, v10
	v_and_b32_e32 v115, 0xf0f0f0f, v10
	v_dot4_i32_i8 v0, v98, v4, v0
	v_dot4_i32_i8 v0, v115, v8, v0
	v_and_b32_e32 v116, 0xf0f0f0f, v11
	v_lshrrev_b32_e32 v10, 4, v11
	v_and_b32_e32 v117, 0xf0f0f0f, v10
	v_dot4_i32_i8 v0, v116, v5, v0
	v_dot4_i32_i8 v0, v117, v9, v0
	v_cvt_f32_i32_e32 v0, v0
	v_fma_mix_f32 v0, v29, v0, -v61 op_sel_hi:[1,0,0]
	v_fmac_f32_e32 v85, v92, v0
	v_add_u32_e32 v0, 0x3180, v99
	ds_read_b32 v97, v100
	ds_read2_b32 v[10:11], v0 offset1:1
	v_add_u32_e32 v100, 4, v100
	s_waitcnt lgkmcnt(0)
	v_and_b32_e32 v60, 0xf0f0f0f, v10
	v_lshrrev_b32_e32 v0, 4, v10
	v_and_b32_e32 v0, 0xf0f0f0f, v0
	v_dot4_i32_i8 v2, v60, v2, 0
	v_dot4_i32_i8 v2, v0, v6, v2
	v_and_b32_e32 v121, 0xf0f0f0f, v11
	v_lshrrev_b32_e32 v6, 4, v11
	v_and_b32_e32 v118, 0xf0f0f0f, v6
	v_dot4_i32_i8 v2, v121, v3, v2
	v_dot4_i32_i8 v6, v118, v7, v2
	v_add_u32_e32 v2, 0x3188, v99
	ds_read2_b32 v[2:3], v2 offset1:1
	v_cvt_f32_f16_sdwa v11, v30 dst_sel:DWORD dst_unused:UNUSED_PAD src0_sel:WORD_1
	v_add_u32_e32 v99, 16, v99
	s_waitcnt lgkmcnt(0)
	v_and_b32_e32 v10, 0xf0f0f0f, v2
	v_lshrrev_b32_e32 v2, 4, v2
	v_and_b32_e32 v104, 0xf0f0f0f, v2
	v_dot4_i32_i8 v2, v10, v4, v6
	v_dot4_i32_i8 v2, v104, v8, v2
	v_and_b32_e32 v119, 0xf0f0f0f, v3
	v_lshrrev_b32_e32 v3, 4, v3
	v_and_b32_e32 v120, 0xf0f0f0f, v3
	v_dot4_i32_i8 v2, v119, v5, v2
	v_dot4_i32_i8 v2, v120, v9, v2
	v_cvt_f32_i32_e32 v2, v2
	v_mul_f32_e32 v11, 0x41000000, v11
	v_fma_mix_f32 v2, v29, v2, -v61 op_sel_hi:[1,0,0]
	v_fmac_f32_e32 v82, v97, v2
	ds_read_b128 v[2:5], v124 offset:1024
	ds_read_b128 v[6:9], v124 offset:1040
	s_waitcnt lgkmcnt(1)
	v_dot4_i32_i8 v12, v107, v2, 0
	s_waitcnt lgkmcnt(0)
	v_dot4_i32_i8 v12, v108, v6, v12
	v_dot4_i32_i8 v12, v109, v3, v12
	;; [unrolled: 1-line block ×7, first 2 shown]
	v_cvt_f32_i32_e32 v12, v12
	v_fma_mix_f32 v12, v12, v30, -v11 op_sel_hi:[0,1,0]
	v_fmac_f32_e32 v74, v106, v12
	v_dot4_i32_i8 v12, v91, v2, 0
	v_dot4_i32_i8 v12, v80, v6, v12
	;; [unrolled: 1-line block ×8, first 2 shown]
	v_cvt_f32_i32_e32 v12, v12
	v_fma_mix_f32 v12, v12, v30, -v11 op_sel_hi:[0,1,0]
	v_fmac_f32_e32 v68, v26, v12
	v_dot4_i32_i8 v12, v93, v2, 0
	v_dot4_i32_i8 v2, v60, v2, 0
	;; [unrolled: 1-line block ×16, first 2 shown]
	v_cvt_f32_i32_e32 v12, v12
	v_cvt_f32_i32_e32 v2, v2
	v_fma_mix_f32 v12, v12, v30, -v11 op_sel_hi:[0,1,0]
	v_fma_mix_f32 v2, v2, v30, -v11 op_sel_hi:[0,1,0]
	v_fmac_f32_e32 v63, v92, v12
	v_fmac_f32_e32 v58, v97, v2
	ds_read_b128 v[4:7], v124 offset:2048
	ds_read_b128 v[11:14], v124 offset:2064
	ds_read2_b32 v[2:3], v125 offset0:64 offset1:96
	s_waitcnt lgkmcnt(2)
	v_dot4_i32_i8 v9, v107, v4, 0
	s_waitcnt lgkmcnt(1)
	v_dot4_i32_i8 v9, v108, v11, v9
	v_dot4_i32_i8 v9, v109, v5, v9
	;; [unrolled: 1-line block ×6, first 2 shown]
	s_waitcnt lgkmcnt(0)
	v_cvt_f32_f16_sdwa v8, v2 dst_sel:DWORD dst_unused:UNUSED_PAD src0_sel:WORD_1
	v_dot4_i32_i8 v9, v79, v14, v9
	v_cvt_f32_i32_e32 v9, v9
	v_mul_f32_e32 v8, 0x41000000, v8
	v_fma_mix_f32 v9, v9, v2, -v8 op_sel_hi:[0,1,0]
	v_fmac_f32_e32 v56, v106, v9
	v_dot4_i32_i8 v9, v91, v4, 0
	v_dot4_i32_i8 v9, v80, v11, v9
	;; [unrolled: 1-line block ×8, first 2 shown]
	v_cvt_f32_i32_e32 v9, v9
	v_fma_mix_f32 v9, v9, v2, -v8 op_sel_hi:[0,1,0]
	v_fmac_f32_e32 v55, v26, v9
	v_dot4_i32_i8 v9, v93, v4, 0
	v_dot4_i32_i8 v4, v60, v4, 0
	;; [unrolled: 1-line block ×16, first 2 shown]
	v_cvt_f32_i32_e32 v9, v9
	v_cvt_f32_i32_e32 v4, v4
	v_fma_mix_f32 v9, v9, v2, -v8 op_sel_hi:[0,1,0]
	v_fma_mix_f32 v2, v4, v2, -v8 op_sel_hi:[0,1,0]
	ds_read_b128 v[4:7], v124 offset:3072
	ds_read_b128 v[11:14], v124 offset:3088
	v_fmac_f32_e32 v53, v97, v2
	v_cvt_f32_f16_sdwa v2, v3 dst_sel:DWORD dst_unused:UNUSED_PAD src0_sel:WORD_1
	v_fmac_f32_e32 v54, v92, v9
	s_waitcnt lgkmcnt(1)
	v_dot4_i32_i8 v8, v107, v4, 0
	s_waitcnt lgkmcnt(0)
	v_dot4_i32_i8 v8, v108, v11, v8
	v_dot4_i32_i8 v8, v109, v5, v8
	;; [unrolled: 1-line block ×7, first 2 shown]
	v_cvt_f32_i32_e32 v8, v8
	v_mul_f32_e32 v2, 0x41000000, v2
	v_fma_mix_f32 v8, v8, v3, -v2 op_sel_hi:[0,1,0]
	v_fmac_f32_e32 v51, v106, v8
	v_dot4_i32_i8 v8, v91, v4, 0
	v_dot4_i32_i8 v8, v80, v11, v8
	;; [unrolled: 1-line block ×8, first 2 shown]
	v_cvt_f32_i32_e32 v8, v8
	v_fma_mix_f32 v8, v8, v3, -v2 op_sel_hi:[0,1,0]
	v_fmac_f32_e32 v49, v26, v8
	v_dot4_i32_i8 v8, v93, v4, 0
	v_dot4_i32_i8 v4, v60, v4, 0
	;; [unrolled: 1-line block ×16, first 2 shown]
	v_cvt_f32_i32_e32 v8, v8
	v_cvt_f32_i32_e32 v4, v4
	v_fma_mix_f32 v8, v8, v3, -v2 op_sel_hi:[0,1,0]
	v_fma_mix_f32 v2, v4, v3, -v2 op_sel_hi:[0,1,0]
	v_fmac_f32_e32 v48, v92, v8
	v_fmac_f32_e32 v47, v97, v2
	ds_read_b128 v[2:5], v124 offset:4096
	ds_read_b128 v[6:9], v124 offset:4112
	ds_read2_b32 v[29:30], v125 offset0:128 offset1:160
	s_waitcnt lgkmcnt(2)
	v_dot4_i32_i8 v12, v107, v2, 0
	s_waitcnt lgkmcnt(1)
	v_dot4_i32_i8 v12, v108, v6, v12
	v_dot4_i32_i8 v12, v109, v3, v12
	;; [unrolled: 1-line block ×6, first 2 shown]
	s_waitcnt lgkmcnt(0)
	v_cvt_f32_f16_sdwa v11, v29 dst_sel:DWORD dst_unused:UNUSED_PAD src0_sel:WORD_1
	v_dot4_i32_i8 v12, v79, v9, v12
	v_cvt_f32_i32_e32 v12, v12
	v_mul_f32_e32 v11, 0x41000000, v11
	v_fma_mix_f32 v12, v12, v29, -v11 op_sel_hi:[0,1,0]
	v_fmac_f32_e32 v46, v106, v12
	v_dot4_i32_i8 v12, v91, v2, 0
	v_dot4_i32_i8 v12, v80, v6, v12
	;; [unrolled: 1-line block ×8, first 2 shown]
	v_cvt_f32_i32_e32 v12, v12
	v_fma_mix_f32 v12, v12, v29, -v11 op_sel_hi:[0,1,0]
	v_fmac_f32_e32 v45, v26, v12
	v_dot4_i32_i8 v12, v93, v2, 0
	v_dot4_i32_i8 v2, v60, v2, 0
	;; [unrolled: 1-line block ×16, first 2 shown]
	v_cvt_f32_i32_e32 v2, v2
	v_cvt_f32_i32_e32 v12, v12
	v_fma_mix_f32 v2, v2, v29, -v11 op_sel_hi:[0,1,0]
	v_fma_mix_f32 v12, v12, v29, -v11 op_sel_hi:[0,1,0]
	v_fmac_f32_e32 v43, v97, v2
	ds_read_b128 v[2:5], v124 offset:5120
	ds_read_b128 v[6:9], v124 offset:5136
	v_cvt_f32_f16_sdwa v11, v30 dst_sel:DWORD dst_unused:UNUSED_PAD src0_sel:WORD_1
	v_fmac_f32_e32 v44, v92, v12
	v_mul_f32_e32 v29, 0x41000000, v11
	s_waitcnt lgkmcnt(1)
	v_dot4_i32_i8 v11, v107, v2, 0
	s_waitcnt lgkmcnt(0)
	v_dot4_i32_i8 v11, v108, v6, v11
	v_dot4_i32_i8 v11, v109, v3, v11
	;; [unrolled: 1-line block ×7, first 2 shown]
	v_cvt_f32_i32_e32 v11, v11
	v_fma_mix_f32 v11, v11, v30, -v29 op_sel_hi:[0,1,0]
	v_fmac_f32_e32 v42, v106, v11
	v_dot4_i32_i8 v11, v91, v2, 0
	v_dot4_i32_i8 v11, v80, v6, v11
	;; [unrolled: 1-line block ×8, first 2 shown]
	v_cvt_f32_i32_e32 v11, v11
	v_fma_mix_f32 v11, v11, v30, -v29 op_sel_hi:[0,1,0]
	v_fmac_f32_e32 v41, v26, v11
	v_dot4_i32_i8 v11, v93, v2, 0
	v_dot4_i32_i8 v2, v60, v2, 0
	;; [unrolled: 1-line block ×16, first 2 shown]
	v_cvt_f32_i32_e32 v11, v11
	v_cvt_f32_i32_e32 v2, v2
	v_fma_mix_f32 v11, v11, v30, -v29 op_sel_hi:[0,1,0]
	v_fma_mix_f32 v2, v2, v30, -v29 op_sel_hi:[0,1,0]
	v_fmac_f32_e32 v40, v92, v11
	v_fmac_f32_e32 v39, v97, v2
	ds_read_b128 v[4:7], v124 offset:6144
	ds_read_b128 v[11:14], v124 offset:6160
	ds_read2_b32 v[2:3], v125 offset0:192 offset1:224
	v_add_u32_e32 v125, 4, v125
	s_waitcnt lgkmcnt(2)
	v_dot4_i32_i8 v9, v107, v4, 0
	s_waitcnt lgkmcnt(1)
	v_dot4_i32_i8 v9, v108, v11, v9
	v_dot4_i32_i8 v9, v109, v5, v9
	v_dot4_i32_i8 v9, v110, v12, v9
	v_dot4_i32_i8 v9, v50, v6, v9
	v_dot4_i32_i8 v9, v105, v13, v9
	v_dot4_i32_i8 v9, v57, v7, v9
	s_waitcnt lgkmcnt(0)
	v_cvt_f32_f16_sdwa v8, v2 dst_sel:DWORD dst_unused:UNUSED_PAD src0_sel:WORD_1
	v_dot4_i32_i8 v9, v79, v14, v9
	v_cvt_f32_i32_e32 v9, v9
	v_mul_f32_e32 v8, 0x41000000, v8
	v_fma_mix_f32 v9, v9, v2, -v8 op_sel_hi:[0,1,0]
	v_fmac_f32_e32 v38, v106, v9
	v_dot4_i32_i8 v9, v91, v4, 0
	v_dot4_i32_i8 v9, v80, v11, v9
	;; [unrolled: 1-line block ×8, first 2 shown]
	v_cvt_f32_i32_e32 v9, v9
	v_fma_mix_f32 v9, v9, v2, -v8 op_sel_hi:[0,1,0]
	v_fmac_f32_e32 v37, v26, v9
	v_dot4_i32_i8 v9, v93, v4, 0
	v_dot4_i32_i8 v4, v60, v4, 0
	;; [unrolled: 1-line block ×16, first 2 shown]
	v_cvt_f32_i32_e32 v9, v9
	v_cvt_f32_i32_e32 v4, v4
	v_fma_mix_f32 v9, v9, v2, -v8 op_sel_hi:[0,1,0]
	v_fma_mix_f32 v2, v4, v2, -v8 op_sel_hi:[0,1,0]
	ds_read_b128 v[4:7], v124 offset:7168
	ds_read_b128 v[11:14], v124 offset:7184
	v_fmac_f32_e32 v35, v97, v2
	v_cvt_f32_f16_sdwa v2, v3 dst_sel:DWORD dst_unused:UNUSED_PAD src0_sel:WORD_1
	v_fmac_f32_e32 v36, v92, v9
	s_waitcnt lgkmcnt(1)
	v_dot4_i32_i8 v8, v107, v4, 0
	s_waitcnt lgkmcnt(0)
	v_dot4_i32_i8 v8, v108, v11, v8
	v_dot4_i32_i8 v8, v109, v5, v8
	;; [unrolled: 1-line block ×7, first 2 shown]
	v_cvt_f32_i32_e32 v8, v8
	v_mul_f32_e32 v2, 0x41000000, v2
	v_add_u32_e32 v124, 32, v124
	v_fma_mix_f32 v8, v8, v3, -v2 op_sel_hi:[0,1,0]
	v_fmac_f32_e32 v34, v106, v8
	v_dot4_i32_i8 v8, v91, v4, 0
	v_dot4_i32_i8 v8, v80, v11, v8
	v_dot4_i32_i8 v8, v102, v5, v8
	v_dot4_i32_i8 v8, v103, v12, v8
	v_dot4_i32_i8 v8, v87, v6, v8
	v_dot4_i32_i8 v8, v89, v13, v8
	v_dot4_i32_i8 v1, v1, v7, v8
	v_dot4_i32_i8 v1, v90, v14, v1
	v_cvt_f32_i32_e32 v1, v1
	v_fma_mix_f32 v1, v1, v3, -v2 op_sel_hi:[0,1,0]
	v_fmac_f32_e32 v33, v26, v1
	v_dot4_i32_i8 v1, v93, v4, 0
	v_dot4_i32_i8 v1, v94, v11, v1
	v_dot4_i32_i8 v1, v95, v5, v1
	v_dot4_i32_i8 v1, v96, v12, v1
	v_dot4_i32_i8 v1, v98, v6, v1
	v_dot4_i32_i8 v1, v115, v13, v1
	v_dot4_i32_i8 v1, v116, v7, v1
	v_dot4_i32_i8 v1, v117, v14, v1
	v_cvt_f32_i32_e32 v1, v1
	;; [unrolled: 11-line block ×3, first 2 shown]
	v_fma_mix_f32 v0, v0, v3, -v2 op_sel_hi:[0,1,0]
	v_fmac_f32_e32 v31, v97, v0
	s_cbranch_scc1 .LBB118_9
; %bb.10:                               ;   in Loop: Header=BB118_7 Depth=1
	s_and_b32 s0, s8, -4
	s_cmp_eq_u32 s0, 4
	s_barrier
	s_cbranch_scc1 .LBB118_5
; %bb.11:                               ;   in Loop: Header=BB118_7 Depth=1
	buffer_load_dword v0, off, s[20:23], 0 offset:156 ; 4-byte Folded Reload
	s_waitcnt vmcnt(0)
	v_add_u32_e32 v2, s9, v0
	buffer_load_dword v0, off, s[20:23], 0 offset:4 ; 4-byte Folded Reload
	s_waitcnt vmcnt(0)
	v_add_u32_e32 v0, v2, v0
	v_mad_i64_i32 v[0:1], s[0:1], v0, 36, v[27:28]
	global_load_dword v0, v[0:1], off offset:4
	s_waitcnt vmcnt(0)
	ds_write_b32 v123, v0
	buffer_load_dword v0, off, s[20:23], 0 offset:8 ; 4-byte Folded Reload
	s_waitcnt vmcnt(0)
	v_add_u32_e32 v0, v2, v0
	v_mad_i64_i32 v[0:1], s[0:1], v0, 36, v[27:28]
	global_load_dword v0, v[0:1], off offset:4
	s_nop 0
	buffer_load_dword v1, off, s[20:23], 0 offset:44 ; 4-byte Folded Reload
	s_waitcnt vmcnt(0)
	ds_write_b32 v1, v0
	buffer_load_dword v0, off, s[20:23], 0 offset:12 ; 4-byte Folded Reload
	s_waitcnt vmcnt(0)
	v_add_u32_e32 v0, v2, v0
	v_mad_i64_i32 v[0:1], s[0:1], v0, 36, v[27:28]
	global_load_dword v0, v[0:1], off offset:4
	s_nop 0
	buffer_load_dword v1, off, s[20:23], 0 offset:48 ; 4-byte Folded Reload
	;; [unrolled: 9-line block ×7, first 2 shown]
	s_waitcnt vmcnt(0)
	ds_write_b32 v1, v0
	v_add_u32_e32 v0, 4, v122
	v_mad_u64_u32 v[0:1], s[0:1], v0, 36, s[2:3]
	s_mov_b32 s0, 12
	global_load_dword v0, v[0:1], off
	s_nop 0
	buffer_load_dword v1, off, s[20:23], 0  ; 4-byte Folded Reload
	s_waitcnt vmcnt(0)
	ds_write_b32 v1, v0
	s_waitcnt lgkmcnt(0)
	s_barrier
	buffer_load_dword v122, off, s[20:23], 0 offset:36 ; 4-byte Folded Reload
	buffer_load_dword v123, off, s[20:23], 0 offset:40 ; 4-byte Folded Reload
	;; [unrolled: 1-line block ×7, first 2 shown]
.LBB118_12:                             ;   Parent Loop BB118_7 Depth=1
                                        ; =>  This Inner Loop Header: Depth=2
	s_waitcnt vmcnt(5)
	ds_read_b128 v[2:5], v123
	ds_read_b128 v[6:9], v123 offset:16
	ds_read2_b32 v[29:30], v122 offset1:32
	s_add_i32 s0, s0, 4
	s_cmp_lt_u32 s0, 28
	s_waitcnt lgkmcnt(0)
	v_cvt_f32_f16_sdwa v0, v29 dst_sel:DWORD dst_unused:UNUSED_PAD src0_sel:WORD_1
	v_mul_f32_e32 v61, 0x41000000, v0
	s_waitcnt vmcnt(4)
	ds_read_b32 v106, v124
	s_waitcnt vmcnt(0)
	ds_read2_b32 v[0:1], v99 offset1:1
	v_add_u32_e32 v124, 4, v124
	s_waitcnt lgkmcnt(0)
	v_and_b32_e32 v107, 0xf0f0f0f, v0
	v_lshrrev_b32_e32 v0, 4, v0
	v_and_b32_e32 v108, 0xf0f0f0f, v0
	v_dot4_i32_i8 v0, v107, v2, 0
	v_dot4_i32_i8 v0, v108, v6, v0
	v_and_b32_e32 v109, 0xf0f0f0f, v1
	v_lshrrev_b32_e32 v1, 4, v1
	v_and_b32_e32 v110, 0xf0f0f0f, v1
	v_dot4_i32_i8 v0, v109, v3, v0
	v_dot4_i32_i8 v10, v110, v7, v0
	ds_read2_b32 v[0:1], v99 offset0:2 offset1:3
	s_waitcnt lgkmcnt(0)
	v_and_b32_e32 v50, 0xf0f0f0f, v0
	v_lshrrev_b32_e32 v0, 4, v0
	v_and_b32_e32 v105, 0xf0f0f0f, v0
	v_dot4_i32_i8 v0, v50, v4, v10
	v_dot4_i32_i8 v0, v105, v8, v0
	v_and_b32_e32 v57, 0xf0f0f0f, v1
	v_lshrrev_b32_e32 v1, 4, v1
	v_and_b32_e32 v79, 0xf0f0f0f, v1
	v_dot4_i32_i8 v0, v57, v5, v0
	v_dot4_i32_i8 v0, v79, v9, v0
	v_cvt_f32_i32_e32 v0, v0
	v_fma_mix_f32 v0, v29, v0, -v61 op_sel_hi:[1,0,0]
	v_fmac_f32_e32 v52, v106, v0
	v_add_u32_e32 v0, 0x1080, v99
	ds_read_b32 v26, v101
	ds_read2_b32 v[0:1], v0 offset1:1
	v_add_u32_e32 v101, 4, v101
	s_waitcnt lgkmcnt(0)
	v_and_b32_e32 v102, 0xf0f0f0f, v1
	v_lshrrev_b32_e32 v1, 4, v1
	v_and_b32_e32 v103, 0xf0f0f0f, v1
	v_add_u32_e32 v1, 0x1088, v99
	ds_read2_b32 v[10:11], v1 offset1:1
	v_and_b32_e32 v91, 0xf0f0f0f, v0
	v_lshrrev_b32_e32 v0, 4, v0
	v_and_b32_e32 v80, 0xf0f0f0f, v0
	v_dot4_i32_i8 v0, v91, v2, 0
	v_dot4_i32_i8 v0, v80, v6, v0
	;; [unrolled: 1-line block ×4, first 2 shown]
	s_waitcnt lgkmcnt(0)
	v_and_b32_e32 v87, 0xf0f0f0f, v10
	v_lshrrev_b32_e32 v1, 4, v10
	v_and_b32_e32 v89, 0xf0f0f0f, v1
	v_dot4_i32_i8 v0, v87, v4, v0
	v_dot4_i32_i8 v0, v89, v8, v0
	v_and_b32_e32 v1, 0xf0f0f0f, v11
	v_lshrrev_b32_e32 v10, 4, v11
	v_and_b32_e32 v90, 0xf0f0f0f, v10
	v_dot4_i32_i8 v0, v1, v5, v0
	v_dot4_i32_i8 v0, v90, v9, v0
	v_cvt_f32_i32_e32 v0, v0
	v_fma_mix_f32 v0, v29, v0, -v61 op_sel_hi:[1,0,0]
	v_fmac_f32_e32 v88, v26, v0
	v_add_u32_e32 v0, 0x2100, v99
	ds_read_b32 v92, v100
	ds_read2_b32 v[10:11], v0 offset1:1
	v_add_u32_e32 v100, 4, v100
	s_waitcnt lgkmcnt(0)
	v_and_b32_e32 v93, 0xf0f0f0f, v10
	v_lshrrev_b32_e32 v0, 4, v10
	v_lshrrev_b32_e32 v10, 4, v11
	v_and_b32_e32 v96, 0xf0f0f0f, v10
	v_add_u32_e32 v10, 0x2108, v99
	v_and_b32_e32 v95, 0xf0f0f0f, v11
	ds_read2_b32 v[10:11], v10 offset1:1
	v_and_b32_e32 v94, 0xf0f0f0f, v0
	v_dot4_i32_i8 v0, v93, v2, 0
	v_dot4_i32_i8 v0, v94, v6, v0
	v_dot4_i32_i8 v0, v95, v3, v0
	v_dot4_i32_i8 v0, v96, v7, v0
	s_waitcnt lgkmcnt(0)
	v_and_b32_e32 v98, 0xf0f0f0f, v10
	v_lshrrev_b32_e32 v10, 4, v10
	v_and_b32_e32 v115, 0xf0f0f0f, v10
	v_dot4_i32_i8 v0, v98, v4, v0
	v_dot4_i32_i8 v0, v115, v8, v0
	v_and_b32_e32 v116, 0xf0f0f0f, v11
	v_lshrrev_b32_e32 v10, 4, v11
	v_and_b32_e32 v117, 0xf0f0f0f, v10
	v_dot4_i32_i8 v0, v116, v5, v0
	v_dot4_i32_i8 v0, v117, v9, v0
	v_cvt_f32_i32_e32 v0, v0
	v_fma_mix_f32 v0, v29, v0, -v61 op_sel_hi:[1,0,0]
	v_fmac_f32_e32 v85, v92, v0
	v_add_u32_e32 v0, 0x3180, v99
	ds_read_b32 v97, v125
	ds_read2_b32 v[10:11], v0 offset1:1
	v_add_u32_e32 v125, 4, v125
	s_waitcnt lgkmcnt(0)
	v_and_b32_e32 v60, 0xf0f0f0f, v10
	v_lshrrev_b32_e32 v0, 4, v10
	v_and_b32_e32 v0, 0xf0f0f0f, v0
	v_dot4_i32_i8 v2, v60, v2, 0
	v_dot4_i32_i8 v2, v0, v6, v2
	v_and_b32_e32 v121, 0xf0f0f0f, v11
	v_lshrrev_b32_e32 v6, 4, v11
	v_and_b32_e32 v118, 0xf0f0f0f, v6
	v_dot4_i32_i8 v2, v121, v3, v2
	v_dot4_i32_i8 v6, v118, v7, v2
	v_add_u32_e32 v2, 0x3188, v99
	ds_read2_b32 v[2:3], v2 offset1:1
	v_cvt_f32_f16_sdwa v11, v30 dst_sel:DWORD dst_unused:UNUSED_PAD src0_sel:WORD_1
	v_add_u32_e32 v99, 16, v99
	s_waitcnt lgkmcnt(0)
	v_and_b32_e32 v10, 0xf0f0f0f, v2
	v_lshrrev_b32_e32 v2, 4, v2
	v_and_b32_e32 v104, 0xf0f0f0f, v2
	v_dot4_i32_i8 v2, v10, v4, v6
	v_dot4_i32_i8 v2, v104, v8, v2
	v_and_b32_e32 v119, 0xf0f0f0f, v3
	v_lshrrev_b32_e32 v3, 4, v3
	v_and_b32_e32 v120, 0xf0f0f0f, v3
	v_dot4_i32_i8 v2, v119, v5, v2
	v_dot4_i32_i8 v2, v120, v9, v2
	v_cvt_f32_i32_e32 v2, v2
	v_mul_f32_e32 v11, 0x41000000, v11
	v_fma_mix_f32 v2, v29, v2, -v61 op_sel_hi:[1,0,0]
	v_fmac_f32_e32 v82, v97, v2
	ds_read_b128 v[2:5], v123 offset:1024
	ds_read_b128 v[6:9], v123 offset:1040
	s_waitcnt lgkmcnt(1)
	v_dot4_i32_i8 v12, v107, v2, 0
	s_waitcnt lgkmcnt(0)
	v_dot4_i32_i8 v12, v108, v6, v12
	v_dot4_i32_i8 v12, v109, v3, v12
	;; [unrolled: 1-line block ×7, first 2 shown]
	v_cvt_f32_i32_e32 v12, v12
	v_fma_mix_f32 v12, v12, v30, -v11 op_sel_hi:[0,1,0]
	v_fmac_f32_e32 v74, v106, v12
	v_dot4_i32_i8 v12, v91, v2, 0
	v_dot4_i32_i8 v12, v80, v6, v12
	;; [unrolled: 1-line block ×8, first 2 shown]
	v_cvt_f32_i32_e32 v12, v12
	v_fma_mix_f32 v12, v12, v30, -v11 op_sel_hi:[0,1,0]
	v_fmac_f32_e32 v68, v26, v12
	v_dot4_i32_i8 v12, v93, v2, 0
	v_dot4_i32_i8 v2, v60, v2, 0
	;; [unrolled: 1-line block ×16, first 2 shown]
	v_cvt_f32_i32_e32 v12, v12
	v_cvt_f32_i32_e32 v2, v2
	v_fma_mix_f32 v12, v12, v30, -v11 op_sel_hi:[0,1,0]
	v_fma_mix_f32 v2, v2, v30, -v11 op_sel_hi:[0,1,0]
	v_fmac_f32_e32 v63, v92, v12
	v_fmac_f32_e32 v58, v97, v2
	ds_read_b128 v[4:7], v123 offset:2048
	ds_read_b128 v[11:14], v123 offset:2064
	ds_read2_b32 v[2:3], v122 offset0:64 offset1:96
	s_waitcnt lgkmcnt(2)
	v_dot4_i32_i8 v9, v107, v4, 0
	s_waitcnt lgkmcnt(1)
	v_dot4_i32_i8 v9, v108, v11, v9
	v_dot4_i32_i8 v9, v109, v5, v9
	;; [unrolled: 1-line block ×6, first 2 shown]
	s_waitcnt lgkmcnt(0)
	v_cvt_f32_f16_sdwa v8, v2 dst_sel:DWORD dst_unused:UNUSED_PAD src0_sel:WORD_1
	v_dot4_i32_i8 v9, v79, v14, v9
	v_cvt_f32_i32_e32 v9, v9
	v_mul_f32_e32 v8, 0x41000000, v8
	v_fma_mix_f32 v9, v9, v2, -v8 op_sel_hi:[0,1,0]
	v_fmac_f32_e32 v56, v106, v9
	v_dot4_i32_i8 v9, v91, v4, 0
	v_dot4_i32_i8 v9, v80, v11, v9
	;; [unrolled: 1-line block ×8, first 2 shown]
	v_cvt_f32_i32_e32 v9, v9
	v_fma_mix_f32 v9, v9, v2, -v8 op_sel_hi:[0,1,0]
	v_fmac_f32_e32 v55, v26, v9
	v_dot4_i32_i8 v9, v93, v4, 0
	v_dot4_i32_i8 v4, v60, v4, 0
	;; [unrolled: 1-line block ×16, first 2 shown]
	v_cvt_f32_i32_e32 v9, v9
	v_cvt_f32_i32_e32 v4, v4
	v_fma_mix_f32 v9, v9, v2, -v8 op_sel_hi:[0,1,0]
	v_fma_mix_f32 v2, v4, v2, -v8 op_sel_hi:[0,1,0]
	ds_read_b128 v[4:7], v123 offset:3072
	ds_read_b128 v[11:14], v123 offset:3088
	v_fmac_f32_e32 v53, v97, v2
	v_cvt_f32_f16_sdwa v2, v3 dst_sel:DWORD dst_unused:UNUSED_PAD src0_sel:WORD_1
	v_fmac_f32_e32 v54, v92, v9
	s_waitcnt lgkmcnt(1)
	v_dot4_i32_i8 v8, v107, v4, 0
	s_waitcnt lgkmcnt(0)
	v_dot4_i32_i8 v8, v108, v11, v8
	v_dot4_i32_i8 v8, v109, v5, v8
	v_dot4_i32_i8 v8, v110, v12, v8
	v_dot4_i32_i8 v8, v50, v6, v8
	v_dot4_i32_i8 v8, v105, v13, v8
	v_dot4_i32_i8 v8, v57, v7, v8
	v_dot4_i32_i8 v8, v79, v14, v8
	v_cvt_f32_i32_e32 v8, v8
	v_mul_f32_e32 v2, 0x41000000, v2
	v_fma_mix_f32 v8, v8, v3, -v2 op_sel_hi:[0,1,0]
	v_fmac_f32_e32 v51, v106, v8
	v_dot4_i32_i8 v8, v91, v4, 0
	v_dot4_i32_i8 v8, v80, v11, v8
	;; [unrolled: 1-line block ×8, first 2 shown]
	v_cvt_f32_i32_e32 v8, v8
	v_fma_mix_f32 v8, v8, v3, -v2 op_sel_hi:[0,1,0]
	v_fmac_f32_e32 v49, v26, v8
	v_dot4_i32_i8 v8, v93, v4, 0
	v_dot4_i32_i8 v4, v60, v4, 0
	;; [unrolled: 1-line block ×16, first 2 shown]
	v_cvt_f32_i32_e32 v8, v8
	v_cvt_f32_i32_e32 v4, v4
	v_fma_mix_f32 v8, v8, v3, -v2 op_sel_hi:[0,1,0]
	v_fma_mix_f32 v2, v4, v3, -v2 op_sel_hi:[0,1,0]
	v_fmac_f32_e32 v48, v92, v8
	v_fmac_f32_e32 v47, v97, v2
	ds_read_b128 v[2:5], v123 offset:4096
	ds_read_b128 v[6:9], v123 offset:4112
	ds_read2_b32 v[29:30], v122 offset0:128 offset1:160
	s_waitcnt lgkmcnt(2)
	v_dot4_i32_i8 v12, v107, v2, 0
	s_waitcnt lgkmcnt(1)
	v_dot4_i32_i8 v12, v108, v6, v12
	v_dot4_i32_i8 v12, v109, v3, v12
	;; [unrolled: 1-line block ×6, first 2 shown]
	s_waitcnt lgkmcnt(0)
	v_cvt_f32_f16_sdwa v11, v29 dst_sel:DWORD dst_unused:UNUSED_PAD src0_sel:WORD_1
	v_dot4_i32_i8 v12, v79, v9, v12
	v_cvt_f32_i32_e32 v12, v12
	v_mul_f32_e32 v11, 0x41000000, v11
	v_fma_mix_f32 v12, v12, v29, -v11 op_sel_hi:[0,1,0]
	v_fmac_f32_e32 v46, v106, v12
	v_dot4_i32_i8 v12, v91, v2, 0
	v_dot4_i32_i8 v12, v80, v6, v12
	;; [unrolled: 1-line block ×8, first 2 shown]
	v_cvt_f32_i32_e32 v12, v12
	v_fma_mix_f32 v12, v12, v29, -v11 op_sel_hi:[0,1,0]
	v_fmac_f32_e32 v45, v26, v12
	v_dot4_i32_i8 v12, v93, v2, 0
	v_dot4_i32_i8 v2, v60, v2, 0
	;; [unrolled: 1-line block ×16, first 2 shown]
	v_cvt_f32_i32_e32 v2, v2
	v_cvt_f32_i32_e32 v12, v12
	v_fma_mix_f32 v2, v2, v29, -v11 op_sel_hi:[0,1,0]
	v_fma_mix_f32 v12, v12, v29, -v11 op_sel_hi:[0,1,0]
	v_fmac_f32_e32 v43, v97, v2
	ds_read_b128 v[2:5], v123 offset:5120
	ds_read_b128 v[6:9], v123 offset:5136
	v_cvt_f32_f16_sdwa v11, v30 dst_sel:DWORD dst_unused:UNUSED_PAD src0_sel:WORD_1
	v_fmac_f32_e32 v44, v92, v12
	v_mul_f32_e32 v29, 0x41000000, v11
	s_waitcnt lgkmcnt(1)
	v_dot4_i32_i8 v11, v107, v2, 0
	s_waitcnt lgkmcnt(0)
	v_dot4_i32_i8 v11, v108, v6, v11
	v_dot4_i32_i8 v11, v109, v3, v11
	;; [unrolled: 1-line block ×7, first 2 shown]
	v_cvt_f32_i32_e32 v11, v11
	v_fma_mix_f32 v11, v11, v30, -v29 op_sel_hi:[0,1,0]
	v_fmac_f32_e32 v42, v106, v11
	v_dot4_i32_i8 v11, v91, v2, 0
	v_dot4_i32_i8 v11, v80, v6, v11
	;; [unrolled: 1-line block ×8, first 2 shown]
	v_cvt_f32_i32_e32 v11, v11
	v_fma_mix_f32 v11, v11, v30, -v29 op_sel_hi:[0,1,0]
	v_fmac_f32_e32 v41, v26, v11
	v_dot4_i32_i8 v11, v93, v2, 0
	v_dot4_i32_i8 v2, v60, v2, 0
	;; [unrolled: 1-line block ×16, first 2 shown]
	v_cvt_f32_i32_e32 v11, v11
	v_cvt_f32_i32_e32 v2, v2
	v_fma_mix_f32 v11, v11, v30, -v29 op_sel_hi:[0,1,0]
	v_fma_mix_f32 v2, v2, v30, -v29 op_sel_hi:[0,1,0]
	v_fmac_f32_e32 v40, v92, v11
	v_fmac_f32_e32 v39, v97, v2
	ds_read_b128 v[4:7], v123 offset:6144
	ds_read_b128 v[11:14], v123 offset:6160
	ds_read2_b32 v[2:3], v122 offset0:192 offset1:224
	v_add_u32_e32 v122, 4, v122
	s_waitcnt lgkmcnt(2)
	v_dot4_i32_i8 v9, v107, v4, 0
	s_waitcnt lgkmcnt(1)
	v_dot4_i32_i8 v9, v108, v11, v9
	v_dot4_i32_i8 v9, v109, v5, v9
	;; [unrolled: 1-line block ×6, first 2 shown]
	s_waitcnt lgkmcnt(0)
	v_cvt_f32_f16_sdwa v8, v2 dst_sel:DWORD dst_unused:UNUSED_PAD src0_sel:WORD_1
	v_dot4_i32_i8 v9, v79, v14, v9
	v_cvt_f32_i32_e32 v9, v9
	v_mul_f32_e32 v8, 0x41000000, v8
	v_fma_mix_f32 v9, v9, v2, -v8 op_sel_hi:[0,1,0]
	v_fmac_f32_e32 v38, v106, v9
	v_dot4_i32_i8 v9, v91, v4, 0
	v_dot4_i32_i8 v9, v80, v11, v9
	;; [unrolled: 1-line block ×8, first 2 shown]
	v_cvt_f32_i32_e32 v9, v9
	v_fma_mix_f32 v9, v9, v2, -v8 op_sel_hi:[0,1,0]
	v_fmac_f32_e32 v37, v26, v9
	v_dot4_i32_i8 v9, v93, v4, 0
	v_dot4_i32_i8 v4, v60, v4, 0
	;; [unrolled: 1-line block ×16, first 2 shown]
	v_cvt_f32_i32_e32 v9, v9
	v_cvt_f32_i32_e32 v4, v4
	v_fma_mix_f32 v9, v9, v2, -v8 op_sel_hi:[0,1,0]
	v_fma_mix_f32 v2, v4, v2, -v8 op_sel_hi:[0,1,0]
	ds_read_b128 v[4:7], v123 offset:7168
	ds_read_b128 v[11:14], v123 offset:7184
	v_fmac_f32_e32 v35, v97, v2
	v_cvt_f32_f16_sdwa v2, v3 dst_sel:DWORD dst_unused:UNUSED_PAD src0_sel:WORD_1
	v_fmac_f32_e32 v36, v92, v9
	s_waitcnt lgkmcnt(1)
	v_dot4_i32_i8 v8, v107, v4, 0
	s_waitcnt lgkmcnt(0)
	v_dot4_i32_i8 v8, v108, v11, v8
	v_dot4_i32_i8 v8, v109, v5, v8
	v_dot4_i32_i8 v8, v110, v12, v8
	v_dot4_i32_i8 v8, v50, v6, v8
	v_dot4_i32_i8 v8, v105, v13, v8
	v_dot4_i32_i8 v8, v57, v7, v8
	v_dot4_i32_i8 v8, v79, v14, v8
	v_cvt_f32_i32_e32 v8, v8
	v_mul_f32_e32 v2, 0x41000000, v2
	v_add_u32_e32 v123, 32, v123
	v_fma_mix_f32 v8, v8, v3, -v2 op_sel_hi:[0,1,0]
	v_fmac_f32_e32 v34, v106, v8
	v_dot4_i32_i8 v8, v91, v4, 0
	v_dot4_i32_i8 v8, v80, v11, v8
	v_dot4_i32_i8 v8, v102, v5, v8
	v_dot4_i32_i8 v8, v103, v12, v8
	v_dot4_i32_i8 v8, v87, v6, v8
	v_dot4_i32_i8 v8, v89, v13, v8
	v_dot4_i32_i8 v1, v1, v7, v8
	v_dot4_i32_i8 v1, v90, v14, v1
	v_cvt_f32_i32_e32 v1, v1
	v_fma_mix_f32 v1, v1, v3, -v2 op_sel_hi:[0,1,0]
	v_fmac_f32_e32 v33, v26, v1
	v_dot4_i32_i8 v1, v93, v4, 0
	v_dot4_i32_i8 v1, v94, v11, v1
	v_dot4_i32_i8 v1, v95, v5, v1
	v_dot4_i32_i8 v1, v96, v12, v1
	v_dot4_i32_i8 v1, v98, v6, v1
	v_dot4_i32_i8 v1, v115, v13, v1
	v_dot4_i32_i8 v1, v116, v7, v1
	v_dot4_i32_i8 v1, v117, v14, v1
	v_cvt_f32_i32_e32 v1, v1
	v_fma_mix_f32 v1, v1, v3, -v2 op_sel_hi:[0,1,0]
	v_fmac_f32_e32 v32, v92, v1
	v_dot4_i32_i8 v1, v60, v4, 0
	v_dot4_i32_i8 v0, v0, v11, v1
	v_dot4_i32_i8 v0, v121, v5, v0
	v_dot4_i32_i8 v0, v118, v12, v0
	v_dot4_i32_i8 v0, v10, v6, v0
	v_dot4_i32_i8 v0, v104, v13, v0
	v_dot4_i32_i8 v0, v119, v7, v0
	v_dot4_i32_i8 v0, v120, v14, v0
	v_cvt_f32_i32_e32 v0, v0
	v_fma_mix_f32 v0, v0, v3, -v2 op_sel_hi:[0,1,0]
	v_fmac_f32_e32 v31, v97, v0
	s_cbranch_scc1 .LBB118_12
; %bb.13:                               ;   in Loop: Header=BB118_7 Depth=1
	s_barrier
	s_branch .LBB118_5
.LBB118_14:
	buffer_load_dword v0, off, s[20:23], 0 offset:184 ; 4-byte Folded Reload
.LBB118_15:
	s_waitcnt vmcnt(0)
	v_cmp_gt_u32_e32 vcc, s10, v0
	s_and_saveexec_b64 s[0:1], vcc
	s_cbranch_execz .LBB118_66
; %bb.16:
	v_mul_lo_u32 v4, v0, s14
	buffer_load_dword v0, off, s[20:23], 0 offset:72 ; 4-byte Folded Reload
	s_waitcnt vmcnt(0)
	v_add_u32_e32 v0, s6, v0
	v_cmp_gt_u32_e32 vcc, s14, v0
	s_and_saveexec_b64 s[2:3], vcc
	s_cbranch_execz .LBB118_18
; %bb.17:
	v_add_u32_e32 v1, v0, v4
	v_mov_b32_e32 v2, 0
	v_lshlrev_b64 v[1:2], 2, v[1:2]
	s_waitcnt lgkmcnt(0)
	v_mov_b32_e32 v3, s13
	v_add_co_u32_e64 v1, s[0:1], s12, v1
	v_addc_co_u32_e64 v2, s[0:1], v3, v2, s[0:1]
	global_store_dword v[1:2], v52, off
.LBB118_18:
	s_or_b64 exec, exec, s[2:3]
	v_add_u32_e32 v1, 32, v0
	v_cmp_gt_u32_e64 s[0:1], s14, v1
	s_and_saveexec_b64 s[4:5], s[0:1]
	s_cbranch_execz .LBB118_20
; %bb.19:
	v_add_u32_e32 v2, v1, v4
	v_mov_b32_e32 v3, 0
	v_lshlrev_b64 v[2:3], 2, v[2:3]
	s_waitcnt lgkmcnt(0)
	v_mov_b32_e32 v5, s13
	v_add_co_u32_e64 v2, s[2:3], s12, v2
	v_addc_co_u32_e64 v3, s[2:3], v5, v3, s[2:3]
	global_store_dword v[2:3], v88, off
.LBB118_20:
	s_or_b64 exec, exec, s[4:5]
	v_add_u32_e32 v2, 64, v0
	v_cmp_gt_u32_e64 s[2:3], s14, v2
	s_and_saveexec_b64 s[6:7], s[2:3]
	;; [unrolled: 15-line block ×3, first 2 shown]
	s_cbranch_execz .LBB118_24
; %bb.23:
	v_add_u32_e32 v4, v3, v4
	v_mov_b32_e32 v5, 0
	v_lshlrev_b64 v[4:5], 2, v[4:5]
	s_waitcnt lgkmcnt(0)
	v_mov_b32_e32 v6, s13
	v_add_co_u32_e64 v4, s[6:7], s12, v4
	v_addc_co_u32_e64 v5, s[6:7], v6, v5, s[6:7]
	global_store_dword v[4:5], v82, off
.LBB118_24:
	s_or_b64 exec, exec, s[8:9]
	buffer_load_dword v4, off, s[20:23], 0 offset:180 ; 4-byte Folded Reload
	s_waitcnt vmcnt(0)
	v_add3_u32 v4, v4, s15, 8
	v_cmp_gt_u32_e64 s[6:7], s10, v4
	s_and_b64 exec, exec, s[6:7]
	s_cbranch_execz .LBB118_66
; %bb.25:
	v_mul_lo_u32 v4, v4, s14
	s_and_saveexec_b64 s[8:9], vcc
	s_cbranch_execnz .LBB118_67
; %bb.26:
	s_or_b64 exec, exec, s[8:9]
	s_and_saveexec_b64 s[8:9], s[0:1]
	s_cbranch_execnz .LBB118_68
.LBB118_27:
	s_or_b64 exec, exec, s[8:9]
	s_and_saveexec_b64 s[8:9], s[2:3]
	s_cbranch_execnz .LBB118_69
.LBB118_28:
	s_or_b64 exec, exec, s[8:9]
	s_and_saveexec_b64 s[8:9], s[4:5]
	s_cbranch_execz .LBB118_30
.LBB118_29:
	v_add_u32_e32 v4, v4, v3
	v_mov_b32_e32 v5, 0
	v_lshlrev_b64 v[4:5], 2, v[4:5]
	s_waitcnt lgkmcnt(0)
	v_mov_b32_e32 v6, s13
	v_add_co_u32_e64 v4, s[6:7], s12, v4
	v_addc_co_u32_e64 v5, s[6:7], v6, v5, s[6:7]
	global_store_dword v[4:5], v58, off
.LBB118_30:
	s_or_b64 exec, exec, s[8:9]
	buffer_load_dword v4, off, s[20:23], 0 offset:180 ; 4-byte Folded Reload
	s_waitcnt vmcnt(0)
	v_add3_u32 v4, v4, s15, 16
	v_cmp_gt_u32_e64 s[6:7], s10, v4
	s_and_b64 exec, exec, s[6:7]
	s_cbranch_execz .LBB118_66
; %bb.31:
	v_mul_lo_u32 v4, v4, s14
	s_and_saveexec_b64 s[8:9], vcc
	s_cbranch_execnz .LBB118_70
; %bb.32:
	s_or_b64 exec, exec, s[8:9]
	s_and_saveexec_b64 s[8:9], s[0:1]
	s_cbranch_execnz .LBB118_71
.LBB118_33:
	s_or_b64 exec, exec, s[8:9]
	s_and_saveexec_b64 s[8:9], s[2:3]
	s_cbranch_execnz .LBB118_72
.LBB118_34:
	s_or_b64 exec, exec, s[8:9]
	s_and_saveexec_b64 s[8:9], s[4:5]
	s_cbranch_execz .LBB118_36
.LBB118_35:
	v_add_u32_e32 v4, v4, v3
	v_mov_b32_e32 v5, 0
	v_lshlrev_b64 v[4:5], 2, v[4:5]
	s_waitcnt lgkmcnt(0)
	v_mov_b32_e32 v6, s13
	v_add_co_u32_e64 v4, s[6:7], s12, v4
	v_addc_co_u32_e64 v5, s[6:7], v6, v5, s[6:7]
	global_store_dword v[4:5], v53, off
.LBB118_36:
	s_or_b64 exec, exec, s[8:9]
	buffer_load_dword v4, off, s[20:23], 0 offset:180 ; 4-byte Folded Reload
	s_waitcnt vmcnt(0)
	v_add3_u32 v4, v4, s15, 24
	v_cmp_gt_u32_e64 s[6:7], s10, v4
	s_and_b64 exec, exec, s[6:7]
	s_cbranch_execz .LBB118_66
; %bb.37:
	v_mul_lo_u32 v4, v4, s14
	s_and_saveexec_b64 s[8:9], vcc
	s_cbranch_execnz .LBB118_73
; %bb.38:
	s_or_b64 exec, exec, s[8:9]
	s_and_saveexec_b64 s[8:9], s[0:1]
	s_cbranch_execnz .LBB118_74
.LBB118_39:
	s_or_b64 exec, exec, s[8:9]
	s_and_saveexec_b64 s[8:9], s[2:3]
	s_cbranch_execnz .LBB118_75
.LBB118_40:
	s_or_b64 exec, exec, s[8:9]
	s_and_saveexec_b64 s[8:9], s[4:5]
	s_cbranch_execz .LBB118_42
.LBB118_41:
	v_add_u32_e32 v4, v4, v3
	v_mov_b32_e32 v5, 0
	v_lshlrev_b64 v[4:5], 2, v[4:5]
	s_waitcnt lgkmcnt(0)
	v_mov_b32_e32 v6, s13
	v_add_co_u32_e64 v4, s[6:7], s12, v4
	v_addc_co_u32_e64 v5, s[6:7], v6, v5, s[6:7]
	global_store_dword v[4:5], v47, off
.LBB118_42:
	s_or_b64 exec, exec, s[8:9]
	buffer_load_dword v4, off, s[20:23], 0 offset:180 ; 4-byte Folded Reload
	s_waitcnt vmcnt(0)
	v_add3_u32 v4, v4, s15, 32
	v_cmp_gt_u32_e64 s[6:7], s10, v4
	s_and_b64 exec, exec, s[6:7]
	s_cbranch_execz .LBB118_66
; %bb.43:
	v_mul_lo_u32 v4, v4, s14
	s_and_saveexec_b64 s[8:9], vcc
	s_cbranch_execnz .LBB118_76
; %bb.44:
	s_or_b64 exec, exec, s[8:9]
	s_and_saveexec_b64 s[8:9], s[0:1]
	s_cbranch_execnz .LBB118_77
.LBB118_45:
	s_or_b64 exec, exec, s[8:9]
	s_and_saveexec_b64 s[8:9], s[2:3]
	s_cbranch_execnz .LBB118_78
.LBB118_46:
	s_or_b64 exec, exec, s[8:9]
	s_and_saveexec_b64 s[8:9], s[4:5]
	s_cbranch_execz .LBB118_48
.LBB118_47:
	v_add_u32_e32 v4, v4, v3
	v_mov_b32_e32 v5, 0
	v_lshlrev_b64 v[4:5], 2, v[4:5]
	s_waitcnt lgkmcnt(0)
	v_mov_b32_e32 v6, s13
	v_add_co_u32_e64 v4, s[6:7], s12, v4
	v_addc_co_u32_e64 v5, s[6:7], v6, v5, s[6:7]
	global_store_dword v[4:5], v43, off
.LBB118_48:
	s_or_b64 exec, exec, s[8:9]
	buffer_load_dword v4, off, s[20:23], 0 offset:180 ; 4-byte Folded Reload
	s_waitcnt vmcnt(0)
	v_add3_u32 v4, v4, s15, 40
	v_cmp_gt_u32_e64 s[6:7], s10, v4
	s_and_b64 exec, exec, s[6:7]
	s_cbranch_execz .LBB118_66
; %bb.49:
	v_mul_lo_u32 v4, v4, s14
	s_and_saveexec_b64 s[8:9], vcc
	s_cbranch_execnz .LBB118_79
; %bb.50:
	s_or_b64 exec, exec, s[8:9]
	s_and_saveexec_b64 s[8:9], s[0:1]
	s_cbranch_execnz .LBB118_80
.LBB118_51:
	s_or_b64 exec, exec, s[8:9]
	s_and_saveexec_b64 s[8:9], s[2:3]
	s_cbranch_execnz .LBB118_81
.LBB118_52:
	s_or_b64 exec, exec, s[8:9]
	s_and_saveexec_b64 s[8:9], s[4:5]
	s_cbranch_execz .LBB118_54
.LBB118_53:
	v_add_u32_e32 v4, v4, v3
	v_mov_b32_e32 v5, 0
	v_lshlrev_b64 v[4:5], 2, v[4:5]
	s_waitcnt lgkmcnt(0)
	v_mov_b32_e32 v6, s13
	v_add_co_u32_e64 v4, s[6:7], s12, v4
	v_addc_co_u32_e64 v5, s[6:7], v6, v5, s[6:7]
	global_store_dword v[4:5], v39, off
.LBB118_54:
	s_or_b64 exec, exec, s[8:9]
	buffer_load_dword v4, off, s[20:23], 0 offset:180 ; 4-byte Folded Reload
	s_waitcnt vmcnt(0)
	v_add3_u32 v4, v4, s15, 48
	v_cmp_gt_u32_e64 s[6:7], s10, v4
	s_and_b64 exec, exec, s[6:7]
	s_cbranch_execz .LBB118_66
; %bb.55:
	v_mul_lo_u32 v4, v4, s14
	s_and_saveexec_b64 s[8:9], vcc
	s_cbranch_execnz .LBB118_82
; %bb.56:
	s_or_b64 exec, exec, s[8:9]
	s_and_saveexec_b64 s[8:9], s[0:1]
	s_cbranch_execnz .LBB118_83
.LBB118_57:
	s_or_b64 exec, exec, s[8:9]
	s_and_saveexec_b64 s[8:9], s[2:3]
	s_cbranch_execnz .LBB118_84
.LBB118_58:
	s_or_b64 exec, exec, s[8:9]
	s_and_saveexec_b64 s[8:9], s[4:5]
	s_cbranch_execz .LBB118_60
.LBB118_59:
	v_add_u32_e32 v4, v4, v3
	v_mov_b32_e32 v5, 0
	v_lshlrev_b64 v[4:5], 2, v[4:5]
	s_waitcnt lgkmcnt(0)
	v_mov_b32_e32 v6, s13
	v_add_co_u32_e64 v4, s[6:7], s12, v4
	v_addc_co_u32_e64 v5, s[6:7], v6, v5, s[6:7]
	global_store_dword v[4:5], v35, off
.LBB118_60:
	s_or_b64 exec, exec, s[8:9]
	buffer_load_dword v4, off, s[20:23], 0 offset:180 ; 4-byte Folded Reload
	s_waitcnt vmcnt(0)
	v_add3_u32 v4, v4, s15, 56
	v_cmp_gt_u32_e64 s[6:7], s10, v4
	s_and_b64 exec, exec, s[6:7]
	s_cbranch_execz .LBB118_66
; %bb.61:
	v_mul_lo_u32 v4, v4, s14
	s_and_saveexec_b64 s[6:7], vcc
	s_cbranch_execnz .LBB118_85
; %bb.62:
	s_or_b64 exec, exec, s[6:7]
	s_and_saveexec_b64 s[6:7], s[0:1]
	s_cbranch_execnz .LBB118_86
.LBB118_63:
	s_or_b64 exec, exec, s[6:7]
	s_and_saveexec_b64 s[0:1], s[2:3]
	s_cbranch_execnz .LBB118_87
.LBB118_64:
	s_or_b64 exec, exec, s[0:1]
	s_and_b64 exec, exec, s[4:5]
	s_cbranch_execz .LBB118_66
.LBB118_65:
	v_add_u32_e32 v0, v4, v3
	v_mov_b32_e32 v1, 0
	v_lshlrev_b64 v[0:1], 2, v[0:1]
	s_waitcnt lgkmcnt(0)
	v_mov_b32_e32 v2, s13
	v_add_co_u32_e32 v0, vcc, s12, v0
	v_addc_co_u32_e32 v1, vcc, v2, v1, vcc
	global_store_dword v[0:1], v31, off
.LBB118_66:
	s_endpgm
.LBB118_67:
	v_add_u32_e32 v5, v4, v0
	v_mov_b32_e32 v6, 0
	v_lshlrev_b64 v[5:6], 2, v[5:6]
	s_waitcnt lgkmcnt(0)
	v_mov_b32_e32 v7, s13
	v_add_co_u32_e64 v5, s[6:7], s12, v5
	v_addc_co_u32_e64 v6, s[6:7], v7, v6, s[6:7]
	global_store_dword v[5:6], v74, off
	s_or_b64 exec, exec, s[8:9]
	s_and_saveexec_b64 s[8:9], s[0:1]
	s_cbranch_execz .LBB118_27
.LBB118_68:
	v_add_u32_e32 v5, v4, v1
	v_mov_b32_e32 v6, 0
	v_lshlrev_b64 v[5:6], 2, v[5:6]
	s_waitcnt lgkmcnt(0)
	v_mov_b32_e32 v7, s13
	v_add_co_u32_e64 v5, s[6:7], s12, v5
	v_addc_co_u32_e64 v6, s[6:7], v7, v6, s[6:7]
	global_store_dword v[5:6], v68, off
	s_or_b64 exec, exec, s[8:9]
	s_and_saveexec_b64 s[8:9], s[2:3]
	s_cbranch_execz .LBB118_28
.LBB118_69:
	v_add_u32_e32 v5, v4, v2
	v_mov_b32_e32 v6, 0
	v_lshlrev_b64 v[5:6], 2, v[5:6]
	s_waitcnt lgkmcnt(0)
	v_mov_b32_e32 v7, s13
	v_add_co_u32_e64 v5, s[6:7], s12, v5
	v_addc_co_u32_e64 v6, s[6:7], v7, v6, s[6:7]
	global_store_dword v[5:6], v63, off
	s_or_b64 exec, exec, s[8:9]
	s_and_saveexec_b64 s[8:9], s[4:5]
	s_cbranch_execnz .LBB118_29
	s_branch .LBB118_30
.LBB118_70:
	v_add_u32_e32 v5, v4, v0
	v_mov_b32_e32 v6, 0
	v_lshlrev_b64 v[5:6], 2, v[5:6]
	s_waitcnt lgkmcnt(0)
	v_mov_b32_e32 v7, s13
	v_add_co_u32_e64 v5, s[6:7], s12, v5
	v_addc_co_u32_e64 v6, s[6:7], v7, v6, s[6:7]
	global_store_dword v[5:6], v56, off
	s_or_b64 exec, exec, s[8:9]
	s_and_saveexec_b64 s[8:9], s[0:1]
	s_cbranch_execz .LBB118_33
.LBB118_71:
	v_add_u32_e32 v5, v4, v1
	v_mov_b32_e32 v6, 0
	v_lshlrev_b64 v[5:6], 2, v[5:6]
	s_waitcnt lgkmcnt(0)
	v_mov_b32_e32 v7, s13
	v_add_co_u32_e64 v5, s[6:7], s12, v5
	v_addc_co_u32_e64 v6, s[6:7], v7, v6, s[6:7]
	global_store_dword v[5:6], v55, off
	s_or_b64 exec, exec, s[8:9]
	s_and_saveexec_b64 s[8:9], s[2:3]
	s_cbranch_execz .LBB118_34
.LBB118_72:
	v_add_u32_e32 v5, v4, v2
	v_mov_b32_e32 v6, 0
	v_lshlrev_b64 v[5:6], 2, v[5:6]
	s_waitcnt lgkmcnt(0)
	v_mov_b32_e32 v7, s13
	v_add_co_u32_e64 v5, s[6:7], s12, v5
	v_addc_co_u32_e64 v6, s[6:7], v7, v6, s[6:7]
	global_store_dword v[5:6], v54, off
	s_or_b64 exec, exec, s[8:9]
	s_and_saveexec_b64 s[8:9], s[4:5]
	s_cbranch_execnz .LBB118_35
	s_branch .LBB118_36
.LBB118_73:
	v_add_u32_e32 v5, v4, v0
	v_mov_b32_e32 v6, 0
	v_lshlrev_b64 v[5:6], 2, v[5:6]
	s_waitcnt lgkmcnt(0)
	v_mov_b32_e32 v7, s13
	v_add_co_u32_e64 v5, s[6:7], s12, v5
	v_addc_co_u32_e64 v6, s[6:7], v7, v6, s[6:7]
	global_store_dword v[5:6], v51, off
	s_or_b64 exec, exec, s[8:9]
	s_and_saveexec_b64 s[8:9], s[0:1]
	s_cbranch_execz .LBB118_39
.LBB118_74:
	v_add_u32_e32 v5, v4, v1
	v_mov_b32_e32 v6, 0
	v_lshlrev_b64 v[5:6], 2, v[5:6]
	s_waitcnt lgkmcnt(0)
	v_mov_b32_e32 v7, s13
	v_add_co_u32_e64 v5, s[6:7], s12, v5
	v_addc_co_u32_e64 v6, s[6:7], v7, v6, s[6:7]
	global_store_dword v[5:6], v49, off
	s_or_b64 exec, exec, s[8:9]
	s_and_saveexec_b64 s[8:9], s[2:3]
	s_cbranch_execz .LBB118_40
.LBB118_75:
	v_add_u32_e32 v5, v4, v2
	v_mov_b32_e32 v6, 0
	v_lshlrev_b64 v[5:6], 2, v[5:6]
	s_waitcnt lgkmcnt(0)
	v_mov_b32_e32 v7, s13
	v_add_co_u32_e64 v5, s[6:7], s12, v5
	v_addc_co_u32_e64 v6, s[6:7], v7, v6, s[6:7]
	global_store_dword v[5:6], v48, off
	s_or_b64 exec, exec, s[8:9]
	s_and_saveexec_b64 s[8:9], s[4:5]
	s_cbranch_execnz .LBB118_41
	s_branch .LBB118_42
.LBB118_76:
	v_add_u32_e32 v5, v4, v0
	v_mov_b32_e32 v6, 0
	v_lshlrev_b64 v[5:6], 2, v[5:6]
	s_waitcnt lgkmcnt(0)
	v_mov_b32_e32 v7, s13
	v_add_co_u32_e64 v5, s[6:7], s12, v5
	v_addc_co_u32_e64 v6, s[6:7], v7, v6, s[6:7]
	global_store_dword v[5:6], v46, off
	s_or_b64 exec, exec, s[8:9]
	s_and_saveexec_b64 s[8:9], s[0:1]
	s_cbranch_execz .LBB118_45
.LBB118_77:
	v_add_u32_e32 v5, v4, v1
	v_mov_b32_e32 v6, 0
	v_lshlrev_b64 v[5:6], 2, v[5:6]
	s_waitcnt lgkmcnt(0)
	v_mov_b32_e32 v7, s13
	v_add_co_u32_e64 v5, s[6:7], s12, v5
	v_addc_co_u32_e64 v6, s[6:7], v7, v6, s[6:7]
	global_store_dword v[5:6], v45, off
	s_or_b64 exec, exec, s[8:9]
	s_and_saveexec_b64 s[8:9], s[2:3]
	s_cbranch_execz .LBB118_46
.LBB118_78:
	v_add_u32_e32 v5, v4, v2
	v_mov_b32_e32 v6, 0
	v_lshlrev_b64 v[5:6], 2, v[5:6]
	s_waitcnt lgkmcnt(0)
	v_mov_b32_e32 v7, s13
	v_add_co_u32_e64 v5, s[6:7], s12, v5
	v_addc_co_u32_e64 v6, s[6:7], v7, v6, s[6:7]
	global_store_dword v[5:6], v44, off
	s_or_b64 exec, exec, s[8:9]
	s_and_saveexec_b64 s[8:9], s[4:5]
	s_cbranch_execnz .LBB118_47
	s_branch .LBB118_48
.LBB118_79:
	v_add_u32_e32 v5, v4, v0
	v_mov_b32_e32 v6, 0
	v_lshlrev_b64 v[5:6], 2, v[5:6]
	s_waitcnt lgkmcnt(0)
	v_mov_b32_e32 v7, s13
	v_add_co_u32_e64 v5, s[6:7], s12, v5
	v_addc_co_u32_e64 v6, s[6:7], v7, v6, s[6:7]
	global_store_dword v[5:6], v42, off
	s_or_b64 exec, exec, s[8:9]
	s_and_saveexec_b64 s[8:9], s[0:1]
	s_cbranch_execz .LBB118_51
.LBB118_80:
	v_add_u32_e32 v5, v4, v1
	v_mov_b32_e32 v6, 0
	v_lshlrev_b64 v[5:6], 2, v[5:6]
	s_waitcnt lgkmcnt(0)
	v_mov_b32_e32 v7, s13
	v_add_co_u32_e64 v5, s[6:7], s12, v5
	v_addc_co_u32_e64 v6, s[6:7], v7, v6, s[6:7]
	global_store_dword v[5:6], v41, off
	s_or_b64 exec, exec, s[8:9]
	s_and_saveexec_b64 s[8:9], s[2:3]
	s_cbranch_execz .LBB118_52
.LBB118_81:
	v_add_u32_e32 v5, v4, v2
	v_mov_b32_e32 v6, 0
	v_lshlrev_b64 v[5:6], 2, v[5:6]
	s_waitcnt lgkmcnt(0)
	v_mov_b32_e32 v7, s13
	v_add_co_u32_e64 v5, s[6:7], s12, v5
	v_addc_co_u32_e64 v6, s[6:7], v7, v6, s[6:7]
	global_store_dword v[5:6], v40, off
	s_or_b64 exec, exec, s[8:9]
	s_and_saveexec_b64 s[8:9], s[4:5]
	s_cbranch_execnz .LBB118_53
	s_branch .LBB118_54
.LBB118_82:
	v_add_u32_e32 v5, v4, v0
	v_mov_b32_e32 v6, 0
	v_lshlrev_b64 v[5:6], 2, v[5:6]
	s_waitcnt lgkmcnt(0)
	v_mov_b32_e32 v7, s13
	v_add_co_u32_e64 v5, s[6:7], s12, v5
	v_addc_co_u32_e64 v6, s[6:7], v7, v6, s[6:7]
	global_store_dword v[5:6], v38, off
	s_or_b64 exec, exec, s[8:9]
	s_and_saveexec_b64 s[8:9], s[0:1]
	s_cbranch_execz .LBB118_57
.LBB118_83:
	v_add_u32_e32 v5, v4, v1
	v_mov_b32_e32 v6, 0
	v_lshlrev_b64 v[5:6], 2, v[5:6]
	s_waitcnt lgkmcnt(0)
	v_mov_b32_e32 v7, s13
	v_add_co_u32_e64 v5, s[6:7], s12, v5
	v_addc_co_u32_e64 v6, s[6:7], v7, v6, s[6:7]
	global_store_dword v[5:6], v37, off
	s_or_b64 exec, exec, s[8:9]
	s_and_saveexec_b64 s[8:9], s[2:3]
	s_cbranch_execz .LBB118_58
.LBB118_84:
	v_add_u32_e32 v5, v4, v2
	v_mov_b32_e32 v6, 0
	v_lshlrev_b64 v[5:6], 2, v[5:6]
	s_waitcnt lgkmcnt(0)
	v_mov_b32_e32 v7, s13
	v_add_co_u32_e64 v5, s[6:7], s12, v5
	v_addc_co_u32_e64 v6, s[6:7], v7, v6, s[6:7]
	global_store_dword v[5:6], v36, off
	s_or_b64 exec, exec, s[8:9]
	s_and_saveexec_b64 s[8:9], s[4:5]
	s_cbranch_execnz .LBB118_59
	s_branch .LBB118_60
.LBB118_85:
	v_add_u32_e32 v5, v4, v0
	v_mov_b32_e32 v6, 0
	v_lshlrev_b64 v[5:6], 2, v[5:6]
	s_waitcnt lgkmcnt(0)
	v_mov_b32_e32 v0, s13
	v_add_co_u32_e32 v5, vcc, s12, v5
	v_addc_co_u32_e32 v6, vcc, v0, v6, vcc
	global_store_dword v[5:6], v34, off
	s_or_b64 exec, exec, s[6:7]
	s_and_saveexec_b64 s[6:7], s[0:1]
	s_cbranch_execz .LBB118_63
.LBB118_86:
	v_add_u32_e32 v0, v4, v1
	v_mov_b32_e32 v1, 0
	v_lshlrev_b64 v[0:1], 2, v[0:1]
	s_waitcnt lgkmcnt(0)
	v_mov_b32_e32 v5, s13
	v_add_co_u32_e32 v0, vcc, s12, v0
	v_addc_co_u32_e32 v1, vcc, v5, v1, vcc
	global_store_dword v[0:1], v33, off
	s_or_b64 exec, exec, s[6:7]
	s_and_saveexec_b64 s[0:1], s[2:3]
	s_cbranch_execz .LBB118_64
.LBB118_87:
	v_add_u32_e32 v0, v4, v2
	v_mov_b32_e32 v1, 0
	v_lshlrev_b64 v[0:1], 2, v[0:1]
	s_waitcnt lgkmcnt(0)
	v_mov_b32_e32 v2, s13
	v_add_co_u32_e32 v0, vcc, s12, v0
	v_addc_co_u32_e32 v1, vcc, v2, v1, vcc
	global_store_dword v[0:1], v32, off
	s_or_b64 exec, exec, s[0:1]
	s_and_b64 exec, exec, s[4:5]
	s_cbranch_execnz .LBB118_65
	s_branch .LBB118_66
	.section	.rodata,"a",@progbits
	.p2align	6, 0x0
	.amdhsa_kernel _ZL12mul_mat_q4_0IfLb1EEvPKvS1_PT_iiiii
		.amdhsa_group_segment_fixed_size 30336
		.amdhsa_private_segment_fixed_size 192
		.amdhsa_kernarg_size 44
		.amdhsa_user_sgpr_count 6
		.amdhsa_user_sgpr_private_segment_buffer 1
		.amdhsa_user_sgpr_dispatch_ptr 0
		.amdhsa_user_sgpr_queue_ptr 0
		.amdhsa_user_sgpr_kernarg_segment_ptr 1
		.amdhsa_user_sgpr_dispatch_id 0
		.amdhsa_user_sgpr_flat_scratch_init 0
		.amdhsa_user_sgpr_private_segment_size 0
		.amdhsa_uses_dynamic_stack 0
		.amdhsa_system_sgpr_private_segment_wavefront_offset 1
		.amdhsa_system_sgpr_workgroup_id_x 1
		.amdhsa_system_sgpr_workgroup_id_y 1
		.amdhsa_system_sgpr_workgroup_id_z 0
		.amdhsa_system_sgpr_workgroup_info 0
		.amdhsa_system_vgpr_workitem_id 1
		.amdhsa_next_free_vgpr 128
		.amdhsa_next_free_sgpr 98
		.amdhsa_reserve_vcc 1
		.amdhsa_reserve_flat_scratch 0
		.amdhsa_float_round_mode_32 0
		.amdhsa_float_round_mode_16_64 0
		.amdhsa_float_denorm_mode_32 3
		.amdhsa_float_denorm_mode_16_64 3
		.amdhsa_dx10_clamp 1
		.amdhsa_ieee_mode 1
		.amdhsa_fp16_overflow 0
		.amdhsa_exception_fp_ieee_invalid_op 0
		.amdhsa_exception_fp_denorm_src 0
		.amdhsa_exception_fp_ieee_div_zero 0
		.amdhsa_exception_fp_ieee_overflow 0
		.amdhsa_exception_fp_ieee_underflow 0
		.amdhsa_exception_fp_ieee_inexact 0
		.amdhsa_exception_int_div_zero 0
	.end_amdhsa_kernel
	.section	.text._ZL12mul_mat_q4_0IfLb1EEvPKvS1_PT_iiiii,"axG",@progbits,_ZL12mul_mat_q4_0IfLb1EEvPKvS1_PT_iiiii,comdat
.Lfunc_end118:
	.size	_ZL12mul_mat_q4_0IfLb1EEvPKvS1_PT_iiiii, .Lfunc_end118-_ZL12mul_mat_q4_0IfLb1EEvPKvS1_PT_iiiii
                                        ; -- End function
	.set _ZL12mul_mat_q4_0IfLb1EEvPKvS1_PT_iiiii.num_vgpr, 128
	.set _ZL12mul_mat_q4_0IfLb1EEvPKvS1_PT_iiiii.num_agpr, 0
	.set _ZL12mul_mat_q4_0IfLb1EEvPKvS1_PT_iiiii.numbered_sgpr, 24
	.set _ZL12mul_mat_q4_0IfLb1EEvPKvS1_PT_iiiii.num_named_barrier, 0
	.set _ZL12mul_mat_q4_0IfLb1EEvPKvS1_PT_iiiii.private_seg_size, 192
	.set _ZL12mul_mat_q4_0IfLb1EEvPKvS1_PT_iiiii.uses_vcc, 1
	.set _ZL12mul_mat_q4_0IfLb1EEvPKvS1_PT_iiiii.uses_flat_scratch, 0
	.set _ZL12mul_mat_q4_0IfLb1EEvPKvS1_PT_iiiii.has_dyn_sized_stack, 0
	.set _ZL12mul_mat_q4_0IfLb1EEvPKvS1_PT_iiiii.has_recursion, 0
	.set _ZL12mul_mat_q4_0IfLb1EEvPKvS1_PT_iiiii.has_indirect_call, 0
	.section	.AMDGPU.csdata,"",@progbits
; Kernel info:
; codeLenInByte = 13600
; TotalNumSgprs: 28
; NumVgprs: 128
; ScratchSize: 192
; MemoryBound: 0
; FloatMode: 240
; IeeeMode: 1
; LDSByteSize: 30336 bytes/workgroup (compile time only)
; SGPRBlocks: 12
; VGPRBlocks: 31
; NumSGPRsForWavesPerEU: 102
; NumVGPRsForWavesPerEU: 128
; Occupancy: 2
; WaveLimiterHint : 0
; COMPUTE_PGM_RSRC2:SCRATCH_EN: 1
; COMPUTE_PGM_RSRC2:USER_SGPR: 6
; COMPUTE_PGM_RSRC2:TRAP_HANDLER: 0
; COMPUTE_PGM_RSRC2:TGID_X_EN: 1
; COMPUTE_PGM_RSRC2:TGID_Y_EN: 1
; COMPUTE_PGM_RSRC2:TGID_Z_EN: 0
; COMPUTE_PGM_RSRC2:TIDIG_COMP_CNT: 1
	.section	.text._ZL12mul_mat_q4_1IfLb0EEvPKvS1_PT_iiiii,"axG",@progbits,_ZL12mul_mat_q4_1IfLb0EEvPKvS1_PT_iiiii,comdat
	.globl	_ZL12mul_mat_q4_1IfLb0EEvPKvS1_PT_iiiii ; -- Begin function _ZL12mul_mat_q4_1IfLb0EEvPKvS1_PT_iiiii
	.p2align	8
	.type	_ZL12mul_mat_q4_1IfLb0EEvPKvS1_PT_iiiii,@function
_ZL12mul_mat_q4_1IfLb0EEvPKvS1_PT_iiiii: ; @_ZL12mul_mat_q4_1IfLb0EEvPKvS1_PT_iiiii
; %bb.0:
	s_mov_b64 s[22:23], s[2:3]
	s_mov_b64 s[20:21], s[0:1]
	s_add_u32 s20, s20, s8
	s_load_dword s14, s[4:5], 0x18
	s_load_dwordx4 s[8:11], s[4:5], 0x20
	s_addc_u32 s21, s21, 0
	v_mov_b32_e32 v36, v1
	s_waitcnt lgkmcnt(0)
	s_lshl_b32 s11, s7, 6
	s_cmp_gt_i32 s14, 31
	v_add_u32_e32 v12, s11, v36
	s_cbranch_scc1 .LBB119_2
; %bb.1:
	v_add_u32_e32 v1, s11, v36
	s_mov_b64 s[0:1], 0
	s_branch .LBB119_3
.LBB119_2:
	s_mov_b64 s[0:1], -1
                                        ; implicit-def: $vgpr1
.LBB119_3:
	s_load_dwordx2 s[12:13], s[4:5], 0x10
	s_lshl_b32 s6, s6, 7
	v_mov_b32_e32 v15, 0
	s_andn2_b64 vcc, exec, s[0:1]
	v_mov_b32_e32 v19, 0
	v_mov_b32_e32 v23, 0
	;; [unrolled: 1-line block ×31, first 2 shown]
	s_cbranch_vccnz .LBB119_14
; %bb.4:
	s_load_dwordx4 s[0:3], s[4:5], 0x0
	s_ashr_i32 s4, s14, 31
	s_lshr_b32 s4, s4, 27
	s_ashr_i32 s5, s9, 31
	s_add_i32 s14, s14, s4
	s_lshr_b32 s5, s5, 27
	s_ashr_i32 s4, s14, 5
	s_add_i32 s5, s9, s5
	s_ashr_i32 s16, s5, 5
	s_mul_i32 s5, s4, s6
	v_mul_lo_u32 v46, s4, v36
	s_mul_hi_i32 s7, s5, 20
	s_mul_i32 s5, s5, 20
	s_waitcnt lgkmcnt(0)
	s_add_u32 s5, s0, s5
	s_addc_u32 s7, s1, s7
	s_lshl_b32 s1, s4, 3
	v_add_u32_e32 v48, s1, v46
	v_add_u32_e32 v49, s1, v48
	;; [unrolled: 1-line block ×13, first 2 shown]
	v_lshrrev_b32_e32 v1, 3, v0
	v_add_u32_e32 v63, s1, v61
	v_and_b32_e32 v101, 7, v0
	v_lshl_add_u32 v1, v36, 2, v1
	v_add_u32_e32 v64, s1, v63
	v_and_b32_e32 v2, 0x7fc, v1
	v_lshlrev_b32_e32 v4, 2, v101
	s_movk_i32 s1, 0x6200
	v_add3_u32 v13, v2, v4, s1
	v_add_u32_e32 v2, 32, v1
	v_mul_lo_u32 v67, s4, v1
	v_lshlrev_b32_e32 v14, 5, v1
	v_and_b32_e32 v5, 0xffc, v2
	v_lshlrev_b32_e32 v16, 5, v2
	v_add_u32_e32 v2, 64, v1
	v_add_u32_e32 v1, 0x60, v1
	v_lshlrev_b32_e32 v3, 2, v0
	s_movk_i32 s0, 0x84
	v_add3_u32 v15, v5, v4, s1
	v_and_b32_e32 v5, 0xffc, v2
	v_lshlrev_b32_e32 v18, 5, v2
	v_and_b32_e32 v2, 0xffc, v1
	v_lshrrev_b32_e32 v100, 2, v0
	v_and_b32_e32 v45, 12, v3
	v_mad_u32_u24 v47, v36, s0, v3
	v_add3_u32 v17, v5, v4, s1
	v_add3_u32 v19, v2, v4, s1
	s_add_i32 s1, s8, -1
	v_and_b32_e32 v4, 31, v0
	v_and_b32_e32 v21, 28, v3
	v_mov_b32_e32 v3, 0x4200
	v_lshlrev_b32_e32 v20, 5, v1
	v_cvt_f64_i32_e32 v[1:2], s1
	v_lshl_or_b32 v25, v4, 2, v3
	v_lshl_add_u32 v3, v36, 3, v100
	v_cvt_f64_u32_e32 v[4:5], v12
	v_and_b32_e32 v10, 63, v3
	v_or_b32_e32 v6, s11, v10
	v_min_i32_e32 v11, s1, v6
	v_add_u32_e32 v6, 8, v12
	v_cvt_f64_u32_e32 v[6:7], v6
	v_min_f64 v[4:5], v[4:5], v[1:2]
	v_add_u32_e32 v8, 16, v12
	v_cvt_f64_u32_e32 v[8:9], v8
	v_min_f64 v[6:7], v[6:7], v[1:2]
	s_andn2_b32 s14, s14, 31
	v_add_u32_e32 v68, s14, v67
	v_add_u32_e32 v70, s14, v68
	v_and_b32_e32 v3, 3, v0
	v_add_u32_e32 v71, s14, v70
	v_mad_u64_u32 v[22:23], s[14:15], v11, s16, v[3:4]
	v_min_f64 v[8:9], v[8:9], v[1:2]
	v_cvt_i32_f64_e32 v4, v[4:5]
	v_lshlrev_b32_e32 v3, 2, v3
	v_lshl_or_b32 v3, v10, 4, v3
	v_add_u32_e32 v3, 0x7280, v3
	buffer_store_dword v22, off, s[20:23], 0 offset:52 ; 4-byte Folded Spill
	s_nop 0
	buffer_store_dword v23, off, s[20:23], 0 offset:56 ; 4-byte Folded Spill
	buffer_store_dword v3, off, s[20:23], 0 ; 4-byte Folded Spill
	v_cvt_i32_f64_e32 v3, v[6:7]
	v_mul_lo_u32 v4, s16, v4
	v_add_u32_e32 v7, 40, v12
	v_add_u32_e32 v5, 32, v12
	v_mul_lo_u32 v3, s16, v3
	buffer_store_dword v4, off, s[20:23], 0 offset:4 ; 4-byte Folded Spill
	v_cvt_i32_f64_e32 v4, v[8:9]
	v_cvt_f64_u32_e32 v[7:8], v7
	buffer_store_dword v3, off, s[20:23], 0 offset:8 ; 4-byte Folded Spill
	v_add_u32_e32 v9, 48, v12
	v_mul_lo_u32 v3, s16, v4
	v_min_f64 v[7:8], v[7:8], v[1:2]
	v_cvt_f64_u32_e32 v[9:10], v9
	v_add_u32_e32 v11, 56, v12
	buffer_store_dword v3, off, s[20:23], 0 offset:12 ; 4-byte Folded Spill
	v_add_u32_e32 v3, 24, v12
	v_cvt_f64_u32_e32 v[3:4], v3
	v_cvt_f64_u32_e32 v[5:6], v5
	buffer_store_dword v12, off, s[20:23], 0 offset:108 ; 4-byte Folded Spill
	v_cvt_f64_u32_e32 v[11:12], v11
	v_min_f64 v[3:4], v[3:4], v[1:2]
	v_cvt_i32_f64_e32 v7, v[7:8]
	v_min_f64 v[5:6], v[5:6], v[1:2]
	v_add_u32_e32 v8, 0x60, v0
	v_and_b32_e32 v8, 0x1fc, v8
	v_lshlrev_b32_e32 v26, 7, v36
	v_add_u32_e32 v22, 0x400, v26
	v_add_u32_e32 v23, 0x800, v26
	v_cvt_i32_f64_e32 v24, v[3:4]
	v_min_f64 v[3:4], v[9:10], v[1:2]
	v_min_f64 v[1:2], v[11:12], v[1:2]
	v_add_co_u32_e32 v11, vcc, s2, v21
	v_cvt_i32_f64_e32 v5, v[5:6]
	v_mul_lo_u32 v6, s16, v24
	v_mov_b32_e32 v38, 0
	s_add_i32 s9, s4, 3
	v_cvt_i32_f64_e32 v3, v[3:4]
	v_mul_lo_u32 v4, s16, v7
	v_add_u32_e32 v7, 64, v0
	v_cvt_i32_f64_e32 v1, v[1:2]
	v_and_b32_e32 v7, 0x1fc, v7
	buffer_store_dword v4, off, s[20:23], 0 offset:24 ; 4-byte Folded Spill
	v_add_u32_e32 v4, 32, v0
	v_lshrrev_b32_e32 v9, 3, v4
	buffer_store_dword v9, off, s[20:23], 0 offset:80 ; 4-byte Folded Spill
	v_mov_b32_e32 v9, s3
	v_addc_co_u32_e32 v12, vcc, 0, v9, vcc
	v_lshlrev_b32_e32 v9, 5, v0
	v_add_u32_e32 v8, v9, v8
	v_add_u32_e32 v10, 0x6e00, v8
	v_add_u32_e32 v7, v9, v7
	v_and_b32_e32 v4, 0x1fc, v4
	buffer_store_dword v10, off, s[20:23], 0 offset:64 ; 4-byte Folded Spill
	v_add_u32_e32 v10, 0x6a00, v7
	v_add_u32_e32 v4, v9, v4
	buffer_store_dword v10, off, s[20:23], 0 offset:68 ; 4-byte Folded Spill
	v_add_u32_e32 v10, 0x6600, v4
	v_mul_lo_u32 v5, s16, v5
	v_mul_lo_u32 v3, s16, v3
	v_mul_lo_u32 v1, s16, v1
	buffer_store_dword v10, off, s[20:23], 0 offset:72 ; 4-byte Folded Spill
	v_and_b32_e32 v10, 0xfc, v0
	v_add_u32_e32 v9, v9, v10
	v_add_u32_e32 v10, 0x6200, v9
	;; [unrolled: 1-line block ×3, first 2 shown]
	buffer_store_dword v10, off, s[20:23], 0 offset:76 ; 4-byte Folded Spill
	v_mov_b32_e32 v10, 0x7280
	buffer_store_dword v4, off, s[20:23], 0 offset:96 ; 4-byte Folded Spill
	v_add_u32_e32 v4, 0x6210, v9
	buffer_store_dword v6, off, s[20:23], 0 offset:16 ; 4-byte Folded Spill
	v_add_u32_e32 v6, 0xc00, v26
	;; [unrolled: 2-line block ×3, first 2 shown]
	v_add_u32_e32 v2, 0x1400, v26
	buffer_store_dword v3, off, s[20:23], 0 offset:28 ; 4-byte Folded Spill
	v_add_u32_e32 v3, 0x1800, v26
	buffer_store_dword v1, off, s[20:23], 0 offset:32 ; 4-byte Folded Spill
	v_add_u32_e32 v1, 0x1c00, v26
	v_lshl_add_u32 v89, v36, 4, v10
	v_add_u32_e32 v10, 0x4200, v26
	buffer_store_dword v4, off, s[20:23], 0 offset:100 ; 4-byte Folded Spill
	v_add_u32_e32 v4, v25, v22
	buffer_store_dword v26, off, s[20:23], 0 offset:60 ; 4-byte Folded Spill
	buffer_store_dword v10, off, s[20:23], 0 offset:36 ; 4-byte Folded Spill
	v_mad_u32_u24 v10, v0, s0, 64
	v_add_u32_e32 v8, 0x6e10, v8
	v_add_u32_e32 v7, 0x6a10, v7
	s_mov_b32 s14, 0
	v_add_u32_e32 v96, v13, v14
	v_add_u32_e32 v97, v15, v16
	;; [unrolled: 1-line block ×4, first 2 shown]
	buffer_store_dword v4, off, s[20:23], 0 offset:40 ; 4-byte Folded Spill
	v_add_u32_e32 v4, v25, v23
	v_add_u32_e32 v102, v25, v6
	;; [unrolled: 1-line block ×5, first 2 shown]
	buffer_store_dword v25, off, s[20:23], 0 offset:48 ; 4-byte Folded Spill
	v_add_u32_e32 v106, v25, v1
	v_mov_b32_e32 v51, 0
	v_mov_b32_e32 v40, 0
	;; [unrolled: 1-line block ×31, first 2 shown]
	buffer_store_dword v36, off, s[20:23], 0 offset:104 ; 4-byte Folded Spill
	buffer_store_dword v10, off, s[20:23], 0 offset:84 ; 4-byte Folded Spill
	;; [unrolled: 1-line block ×5, first 2 shown]
	s_branch .LBB119_6
.LBB119_5:                              ;   in Loop: Header=BB119_6 Depth=1
	s_add_i32 s14, s14, 8
	s_add_i32 s9, s9, -8
	s_cmp_ge_i32 s14, s4
	s_cbranch_scc1 .LBB119_13
.LBB119_6:                              ; =>This Loop Header: Depth=1
                                        ;     Child Loop BB119_8 Depth 2
                                        ;     Child Loop BB119_11 Depth 2
	s_mul_i32 s0, s14, 20
	s_mul_hi_u32 s1, s14, 20
	s_add_u32 s0, s5, s0
	s_addc_u32 s1, s7, s1
	v_mad_u64_u32 v[2:3], s[16:17], v100, 20, s[0:1]
	v_mad_u64_u32 v[84:85], s[0:1], v101, 20, s[0:1]
	;; [unrolled: 1-line block ×4, first 2 shown]
	v_add_co_u32_e32 v4, vcc, v4, v45
	v_mad_u64_u32 v[8:9], s[16:17], v49, 20, v[2:3]
	v_addc_co_u32_e32 v5, vcc, 0, v5, vcc
	v_add_co_u32_e32 v6, vcc, v6, v45
	v_addc_co_u32_e32 v7, vcc, 0, v7, vcc
	v_mad_u64_u32 v[13:14], s[16:17], v50, 20, v[2:3]
	v_add_co_u32_e32 v65, vcc, v8, v45
	v_addc_co_u32_e32 v66, vcc, 0, v9, vcc
	v_mad_u64_u32 v[8:9], s[16:17], v52, 20, v[2:3]
	;; [unrolled: 3-line block ×4, first 2 shown]
	v_add_co_u32_e32 v74, vcc, v74, v45
	v_mad_u64_u32 v[78:79], s[16:17], v55, 20, v[2:3]
	v_addc_co_u32_e32 v75, vcc, 0, v75, vcc
	v_add_co_u32_e32 v80, vcc, v8, v45
	v_addc_co_u32_e32 v81, vcc, 0, v9, vcc
	v_add_co_u32_e32 v78, vcc, v78, v45
	v_addc_co_u32_e32 v79, vcc, 0, v79, vcc
	global_load_dword v9, v[4:5], off offset:4
	global_load_dword v8, v[6:7], off offset:4
	s_nop 0
	global_load_dword v7, v[65:66], off offset:4
	global_load_dword v6, v[13:14], off offset:4
	;; [unrolled: 1-line block ×6, first 2 shown]
	v_mad_u64_u32 v[13:14], s[16:17], v56, 20, v[2:3]
	v_mad_u64_u32 v[65:66], s[16:17], v57, 20, v[2:3]
	v_add_co_u32_e32 v13, vcc, v13, v45
	v_mad_u64_u32 v[74:75], s[16:17], v58, 20, v[2:3]
	v_addc_co_u32_e32 v14, vcc, 0, v14, vcc
	v_add_co_u32_e32 v65, vcc, v65, v45
	v_mad_u64_u32 v[76:77], s[16:17], v59, 20, v[2:3]
	v_addc_co_u32_e32 v66, vcc, 0, v66, vcc
	;; [unrolled: 3-line block ×6, first 2 shown]
	v_add_co_u32_e32 v82, vcc, v82, v45
	v_addc_co_u32_e32 v83, vcc, 0, v83, vcc
	v_add_co_u32_e32 v2, vcc, v2, v45
	v_addc_co_u32_e32 v3, vcc, 0, v3, vcc
	global_load_dword v36, v[13:14], off offset:4
	global_load_dword v44, v[65:66], off offset:4
	;; [unrolled: 1-line block ×3, first 2 shown]
	s_nop 0
	global_load_dword v76, v[76:77], off offset:4
	s_nop 0
	global_load_dword v77, v[78:79], off offset:4
	;; [unrolled: 2-line block ×3, first 2 shown]
	global_load_dword v79, v[82:83], off offset:4
	s_nop 0
	global_load_dword v80, v[2:3], off offset:4
	v_mad_u64_u32 v[2:3], s[0:1], v67, 20, v[84:85]
	v_mad_u64_u32 v[13:14], s[0:1], v68, 20, v[84:85]
	;; [unrolled: 1-line block ×4, first 2 shown]
	global_load_dword v2, v[2:3], off
	s_nop 0
	global_load_dword v3, v[13:14], off
	s_nop 0
	global_load_dword v13, v[65:66], off
	global_load_dword v14, v[74:75], off
	s_cmp_gt_u32 s9, 3
	s_waitcnt vmcnt(19)
	ds_write_b32 v47, v9
	v_add_u32_e32 v9, 0x420, v47
	s_waitcnt vmcnt(18)
	ds_write_b32 v9, v8
	v_add_u32_e32 v8, 0x840, v47
	;; [unrolled: 3-line block ×15, first 2 shown]
	s_waitcnt vmcnt(4)
	ds_write_b32 v1, v80
	s_waitcnt vmcnt(3)
	ds_write_b32 v96, v2
	s_waitcnt vmcnt(2)
	ds_write_b32 v97, v3
	s_waitcnt vmcnt(1)
	ds_write_b32 v98, v13
	s_waitcnt vmcnt(0)
	ds_write_b32 v99, v14
	s_cbranch_scc0 .LBB119_5
; %bb.7:                                ;   in Loop: Header=BB119_6 Depth=1
	buffer_load_dword v1, off, s[20:23], 0 offset:52 ; 4-byte Folded Reload
	buffer_load_dword v2, off, s[20:23], 0 offset:56 ; 4-byte Folded Reload
	v_mov_b32_e32 v110, v89
	v_mul_u32_u24_e32 v115, 0x84, v0
	buffer_load_dword v3, off, s[20:23], 0 offset:8 ; 4-byte Folded Reload
	buffer_load_dword v5, off, s[20:23], 0 offset:12 ; 4-byte Folded Reload
	;; [unrolled: 1-line block ×6, first 2 shown]
	s_waitcnt vmcnt(7)
	v_add_u32_e32 v107, s14, v1
	v_lshrrev_b32_e32 v1, 3, v0
	v_add_u32_e32 v36, s14, v1
	buffer_load_dword v1, off, s[20:23], 0 offset:4 ; 4-byte Folded Reload
	v_mad_u64_u32 v[74:75], s[0:1], v107, 36, s[2:3]
	s_waitcnt vmcnt(6)
	v_add_u32_e32 v3, v36, v3
	s_waitcnt vmcnt(5)
	v_add_u32_e32 v5, v36, v5
	;; [unrolled: 2-line block ×4, first 2 shown]
	v_add_u32_e32 v9, v36, v9
	v_add_u32_e32 v13, v36, v13
	v_mad_i64_i32 v[65:66], s[0:1], v44, 36, v[11:12]
	buffer_load_dword v44, off, s[20:23], 0 offset:32 ; 4-byte Folded Reload
	v_mad_i64_i32 v[3:4], s[0:1], v3, 36, v[11:12]
	v_mad_i64_i32 v[5:6], s[0:1], v5, 36, v[11:12]
	;; [unrolled: 1-line block ×5, first 2 shown]
	s_waitcnt vmcnt(1)
	v_add_u32_e32 v1, v36, v1
	v_mad_i64_i32 v[1:2], s[0:1], v1, 36, v[11:12]
	s_waitcnt vmcnt(0)
	v_add_u32_e32 v36, v36, v44
	v_mad_i64_i32 v[76:77], s[0:1], v36, 36, v[11:12]
	global_load_dword v36, v[74:75], off
	s_nop 0
	global_load_dword v1, v[1:2], off offset:4
	s_nop 0
	global_load_dword v2, v[3:4], off offset:4
	;; [unrolled: 2-line block ×3, first 2 shown]
	global_load_dword v4, v[7:8], off offset:4
	s_nop 0
	global_load_dword v5, v[9:10], off offset:4
	global_load_dword v6, v[13:14], off offset:4
	;; [unrolled: 1-line block ×4, first 2 shown]
	s_nop 0
	buffer_load_dword v9, off, s[20:23], 0 offset:48 ; 4-byte Folded Reload
	buffer_load_dword v10, off, s[20:23], 0 offset:60 ; 4-byte Folded Reload
	;; [unrolled: 1-line block ×7, first 2 shown]
	s_mov_b32 s0, -4
	s_waitcnt vmcnt(5)
	v_add_u32_e32 v108, v9, v10
	buffer_load_dword v9, off, s[20:23], 0  ; 4-byte Folded Reload
	s_waitcnt vmcnt(0)
	ds_write_b32 v9, v36
	ds_write_b32 v108, v1
	buffer_load_dword v1, off, s[20:23], 0 offset:40 ; 4-byte Folded Reload
	s_waitcnt vmcnt(0)
	ds_write_b32 v1, v2
	buffer_load_dword v1, off, s[20:23], 0 offset:44 ; 4-byte Folded Reload
	s_waitcnt vmcnt(0)
	ds_write_b32 v1, v3
	ds_write_b32 v102, v4
	ds_write_b32 v103, v5
	ds_write_b32 v104, v6
	ds_write_b32 v105, v7
	ds_write_b32 v106, v8
	s_waitcnt lgkmcnt(0)
	s_barrier
.LBB119_8:                              ;   Parent Loop BB119_6 Depth=1
                                        ; =>  This Inner Loop Header: Depth=2
	ds_read_b128 v[2:5], v109
	ds_read_b128 v[6:9], v109 offset:16
	ds_read2_b32 v[13:14], v110 offset1:32
	ds_read_b32 v116, v111
	ds_read2_b32 v[65:66], v115 offset1:1
	s_add_i32 s0, s0, 4
	v_add_u32_e32 v111, 4, v111
	s_cmp_lt_u32 s0, 12
	s_waitcnt lgkmcnt(1)
	v_pk_mul_f16 v80, v116, v14
	s_waitcnt lgkmcnt(0)
	v_and_b32_e32 v117, 0xf0f0f0f, v65
	v_lshrrev_b32_e32 v1, 4, v65
	v_and_b32_e32 v119, 0xf0f0f0f, v66
	v_lshrrev_b32_e32 v10, 4, v66
	ds_read2_b32 v[65:66], v115 offset0:2 offset1:3
	v_and_b32_e32 v118, 0xf0f0f0f, v1
	v_dot4_i32_i8 v1, v117, v2, 0
	v_dot4_i32_i8 v1, v118, v6, v1
	v_and_b32_e32 v120, 0xf0f0f0f, v10
	v_dot4_i32_i8 v1, v119, v3, v1
	v_dot4_i32_i8 v1, v120, v7, v1
	s_waitcnt lgkmcnt(0)
	v_and_b32_e32 v121, 0xf0f0f0f, v65
	v_lshrrev_b32_e32 v10, 4, v65
	v_and_b32_e32 v122, 0xf0f0f0f, v10
	v_dot4_i32_i8 v1, v121, v4, v1
	v_dot4_i32_i8 v1, v122, v8, v1
	v_and_b32_e32 v123, 0xf0f0f0f, v66
	v_lshrrev_b32_e32 v10, 4, v66
	v_and_b32_e32 v124, 0xf0f0f0f, v10
	v_dot4_i32_i8 v1, v123, v5, v1
	v_dot4_i32_i8 v1, v124, v9, v1
	v_cvt_f32_i32_e32 v1, v1
	v_pk_mul_f16 v10, v13, v116
	v_fma_mix_f32 v1, v10, v1, v10 op_sel:[0,0,1] op_sel_hi:[1,0,1]
	v_add_f32_e32 v38, v38, v1
	v_add_u32_e32 v1, 0x1080, v115
	ds_read_b32 v126, v112
	ds_read2_b32 v[74:75], v1 offset1:1
	v_add_u32_e32 v112, 4, v112
	s_waitcnt lgkmcnt(0)
	v_lshrrev_b32_e32 v10, 4, v75
	v_and_b32_e32 v91, 0xf0f0f0f, v10
	v_add_u32_e32 v10, 0x1088, v115
	v_and_b32_e32 v127, 0xf0f0f0f, v74
	v_lshrrev_b32_e32 v1, 4, v74
	v_and_b32_e32 v84, 0xf0f0f0f, v75
	ds_read2_b32 v[74:75], v10 offset1:1
	v_and_b32_e32 v66, 0xf0f0f0f, v1
	v_dot4_i32_i8 v1, v127, v2, 0
	v_dot4_i32_i8 v1, v66, v6, v1
	;; [unrolled: 1-line block ×4, first 2 shown]
	s_waitcnt lgkmcnt(0)
	v_and_b32_e32 v92, 0xf0f0f0f, v74
	v_lshrrev_b32_e32 v10, 4, v74
	v_and_b32_e32 v93, 0xf0f0f0f, v10
	v_dot4_i32_i8 v1, v92, v4, v1
	v_dot4_i32_i8 v1, v93, v8, v1
	v_and_b32_e32 v94, 0xf0f0f0f, v75
	v_lshrrev_b32_e32 v10, 4, v75
	v_and_b32_e32 v95, 0xf0f0f0f, v10
	v_dot4_i32_i8 v1, v94, v5, v1
	v_dot4_i32_i8 v1, v95, v9, v1
	v_cvt_f32_i32_e32 v1, v1
	v_pk_mul_f16 v10, v13, v126
	v_fma_mix_f32 v1, v10, v1, v10 op_sel:[0,0,1] op_sel_hi:[1,0,1]
	v_add_f32_e32 v73, v73, v1
	v_add_u32_e32 v1, 0x2100, v115
	ds_read_b32 v36, v113
	ds_read2_b32 v[74:75], v1 offset1:1
	v_add_u32_e32 v113, 4, v113
	s_waitcnt lgkmcnt(0)
	v_and_b32_e32 v76, 0xf0f0f0f, v74
	v_lshrrev_b32_e32 v1, 4, v74
	v_and_b32_e32 v1, 0xf0f0f0f, v1
	v_dot4_i32_i8 v10, v76, v2, 0
	v_dot4_i32_i8 v10, v1, v6, v10
	v_and_b32_e32 v90, 0xf0f0f0f, v75
	v_lshrrev_b32_e32 v44, 4, v75
	v_and_b32_e32 v44, 0xf0f0f0f, v44
	v_dot4_i32_i8 v10, v90, v3, v10
	v_dot4_i32_i8 v72, v44, v7, v10
	v_add_u32_e32 v10, 0x2108, v115
	ds_read2_b32 v[74:75], v10 offset1:1
	s_waitcnt lgkmcnt(0)
	v_and_b32_e32 v65, 0xf0f0f0f, v74
	v_lshrrev_b32_e32 v10, 4, v74
	v_and_b32_e32 v10, 0xf0f0f0f, v10
	v_dot4_i32_i8 v72, v65, v4, v72
	v_dot4_i32_i8 v72, v10, v8, v72
	v_and_b32_e32 v85, 0xf0f0f0f, v75
	v_lshrrev_b32_e32 v74, 4, v75
	v_and_b32_e32 v86, 0xf0f0f0f, v74
	v_dot4_i32_i8 v72, v85, v5, v72
	v_dot4_i32_i8 v72, v86, v9, v72
	v_cvt_f32_i32_e32 v72, v72
	v_pk_mul_f16 v74, v13, v36
	v_fma_mix_f32 v72, v74, v72, v74 op_sel:[0,0,1] op_sel_hi:[1,0,1]
	v_add_f32_e32 v69, v69, v72
	v_add_u32_e32 v72, 0x3180, v115
	ds_read_b32 v125, v114
	ds_read2_b32 v[74:75], v72 offset1:1
	v_add_u32_e32 v114, 4, v114
	s_waitcnt lgkmcnt(0)
	v_and_b32_e32 v77, 0xf0f0f0f, v74
	v_lshrrev_b32_e32 v72, 4, v74
	v_and_b32_e32 v78, 0xf0f0f0f, v72
	v_dot4_i32_i8 v2, v77, v2, 0
	v_dot4_i32_i8 v2, v78, v6, v2
	v_and_b32_e32 v74, 0xf0f0f0f, v75
	v_lshrrev_b32_e32 v6, 4, v75
	v_and_b32_e32 v87, 0xf0f0f0f, v6
	v_dot4_i32_i8 v2, v74, v3, v2
	v_dot4_i32_i8 v6, v87, v7, v2
	v_add_u32_e32 v2, 0x3188, v115
	ds_read2_b32 v[2:3], v2 offset1:1
	v_add_u32_e32 v115, 16, v115
	s_waitcnt lgkmcnt(0)
	v_and_b32_e32 v79, 0xf0f0f0f, v2
	v_lshrrev_b32_e32 v2, 4, v2
	v_and_b32_e32 v75, 0xf0f0f0f, v2
	v_dot4_i32_i8 v2, v79, v4, v6
	v_dot4_i32_i8 v2, v75, v8, v2
	v_and_b32_e32 v88, 0xf0f0f0f, v3
	v_lshrrev_b32_e32 v3, 4, v3
	v_and_b32_e32 v72, 0xf0f0f0f, v3
	v_dot4_i32_i8 v2, v88, v5, v2
	v_dot4_i32_i8 v2, v72, v9, v2
	v_cvt_f32_i32_e32 v2, v2
	v_pk_mul_f16 v3, v13, v125
	v_fma_mix_f32 v2, v3, v2, v3 op_sel:[0,0,1] op_sel_hi:[1,0,1]
	v_add_f32_e32 v62, v62, v2
	ds_read_b128 v[2:5], v109 offset:1024
	ds_read_b128 v[6:9], v109 offset:1040
	s_waitcnt lgkmcnt(1)
	v_dot4_i32_i8 v13, v117, v2, 0
	s_waitcnt lgkmcnt(0)
	v_dot4_i32_i8 v13, v118, v6, v13
	v_dot4_i32_i8 v13, v119, v3, v13
	;; [unrolled: 1-line block ×7, first 2 shown]
	v_cvt_f32_i32_e32 v13, v13
	v_fma_mix_f32 v13, v13, v80, v80 op_sel:[0,0,1] op_sel_hi:[0,1,1]
	v_add_f32_e32 v51, v51, v13
	v_dot4_i32_i8 v13, v127, v2, 0
	v_dot4_i32_i8 v13, v66, v6, v13
	;; [unrolled: 1-line block ×8, first 2 shown]
	v_cvt_f32_i32_e32 v13, v13
	v_pk_mul_f16 v80, v126, v14
	v_fma_mix_f32 v13, v13, v80, v80 op_sel:[0,0,1] op_sel_hi:[0,1,1]
	v_add_f32_e32 v43, v43, v13
	v_dot4_i32_i8 v13, v76, v2, 0
	v_dot4_i32_i8 v2, v77, v2, 0
	;; [unrolled: 1-line block ×16, first 2 shown]
	v_cvt_f32_i32_e32 v2, v2
	v_cvt_f32_i32_e32 v13, v13
	v_pk_mul_f16 v3, v125, v14
	v_pk_mul_f16 v80, v36, v14
	v_fma_mix_f32 v2, v2, v3, v3 op_sel:[0,0,1] op_sel_hi:[0,1,1]
	v_fma_mix_f32 v13, v13, v80, v80 op_sel:[0,0,1] op_sel_hi:[0,1,1]
	v_add_f32_e32 v41, v41, v2
	ds_read_b128 v[4:7], v109 offset:2048
	ds_read_b128 v[80:83], v109 offset:2064
	ds_read2_b32 v[2:3], v110 offset0:64 offset1:96
	v_add_f32_e32 v42, v42, v13
	s_waitcnt lgkmcnt(2)
	v_dot4_i32_i8 v8, v117, v4, 0
	s_waitcnt lgkmcnt(1)
	v_dot4_i32_i8 v8, v118, v80, v8
	v_dot4_i32_i8 v8, v119, v5, v8
	v_dot4_i32_i8 v8, v120, v81, v8
	v_dot4_i32_i8 v8, v121, v6, v8
	v_dot4_i32_i8 v8, v122, v82, v8
	v_dot4_i32_i8 v8, v123, v7, v8
	v_dot4_i32_i8 v8, v124, v83, v8
	v_cvt_f32_i32_e32 v8, v8
	s_waitcnt lgkmcnt(0)
	v_pk_mul_f16 v9, v116, v2
	v_fma_mix_f32 v8, v8, v9, v9 op_sel:[0,0,1] op_sel_hi:[0,1,1]
	v_add_f32_e32 v40, v40, v8
	v_dot4_i32_i8 v8, v127, v4, 0
	v_dot4_i32_i8 v8, v66, v80, v8
	v_dot4_i32_i8 v8, v84, v5, v8
	v_dot4_i32_i8 v8, v91, v81, v8
	v_dot4_i32_i8 v8, v92, v6, v8
	v_dot4_i32_i8 v8, v93, v82, v8
	v_dot4_i32_i8 v8, v94, v7, v8
	v_dot4_i32_i8 v8, v95, v83, v8
	v_cvt_f32_i32_e32 v8, v8
	v_pk_mul_f16 v9, v126, v2
	v_fma_mix_f32 v8, v8, v9, v9 op_sel:[0,0,1] op_sel_hi:[0,1,1]
	v_add_f32_e32 v39, v39, v8
	v_dot4_i32_i8 v8, v76, v4, 0
	v_dot4_i32_i8 v4, v77, v4, 0
	;; [unrolled: 1-line block ×12, first 2 shown]
	v_cvt_f32_i32_e32 v4, v4
	v_dot4_i32_i8 v8, v65, v6, v8
	v_dot4_i32_i8 v8, v10, v82, v8
	;; [unrolled: 1-line block ×3, first 2 shown]
	v_pk_mul_f16 v9, v36, v2
	v_pk_mul_f16 v2, v125, v2
	v_dot4_i32_i8 v8, v86, v83, v8
	v_fma_mix_f32 v2, v4, v2, v2 op_sel:[0,0,1] op_sel_hi:[0,1,1]
	ds_read_b128 v[4:7], v109 offset:3072
	ds_read_b128 v[80:83], v109 offset:3088
	v_add_f32_e32 v35, v35, v2
	v_cvt_f32_i32_e32 v8, v8
	s_waitcnt lgkmcnt(1)
	v_dot4_i32_i8 v2, v117, v4, 0
	s_waitcnt lgkmcnt(0)
	v_dot4_i32_i8 v2, v118, v80, v2
	v_dot4_i32_i8 v2, v119, v5, v2
	;; [unrolled: 1-line block ×7, first 2 shown]
	v_cvt_f32_i32_e32 v2, v2
	v_fma_mix_f32 v8, v8, v9, v9 op_sel:[0,0,1] op_sel_hi:[0,1,1]
	v_add_f32_e32 v37, v37, v8
	v_pk_mul_f16 v8, v116, v3
	v_fma_mix_f32 v2, v2, v8, v8 op_sel:[0,0,1] op_sel_hi:[0,1,1]
	v_add_f32_e32 v34, v34, v2
	v_dot4_i32_i8 v2, v127, v4, 0
	v_dot4_i32_i8 v2, v66, v80, v2
	;; [unrolled: 1-line block ×8, first 2 shown]
	v_cvt_f32_i32_e32 v2, v2
	v_pk_mul_f16 v8, v126, v3
	v_fma_mix_f32 v2, v2, v8, v8 op_sel:[0,0,1] op_sel_hi:[0,1,1]
	v_add_f32_e32 v33, v33, v2
	v_dot4_i32_i8 v2, v76, v4, 0
	v_dot4_i32_i8 v2, v1, v80, v2
	;; [unrolled: 1-line block ×8, first 2 shown]
	v_cvt_f32_i32_e32 v2, v2
	v_pk_mul_f16 v8, v36, v3
	v_pk_mul_f16 v3, v125, v3
	v_fma_mix_f32 v2, v2, v8, v8 op_sel:[0,0,1] op_sel_hi:[0,1,1]
	v_add_f32_e32 v32, v32, v2
	v_dot4_i32_i8 v2, v77, v4, 0
	v_dot4_i32_i8 v2, v78, v80, v2
	;; [unrolled: 1-line block ×8, first 2 shown]
	v_cvt_f32_i32_e32 v2, v2
	v_fma_mix_f32 v2, v2, v3, v3 op_sel:[0,0,1] op_sel_hi:[0,1,1]
	v_add_f32_e32 v31, v31, v2
	ds_read_b128 v[2:5], v109 offset:4096
	ds_read_b128 v[6:9], v109 offset:4112
	ds_read2_b32 v[13:14], v110 offset0:128 offset1:160
	s_waitcnt lgkmcnt(2)
	v_dot4_i32_i8 v80, v117, v2, 0
	s_waitcnt lgkmcnt(1)
	v_dot4_i32_i8 v80, v118, v6, v80
	v_dot4_i32_i8 v80, v119, v3, v80
	;; [unrolled: 1-line block ×7, first 2 shown]
	v_cvt_f32_i32_e32 v80, v80
	s_waitcnt lgkmcnt(0)
	v_pk_mul_f16 v81, v116, v13
	v_fma_mix_f32 v80, v80, v81, v81 op_sel:[0,0,1] op_sel_hi:[0,1,1]
	v_add_f32_e32 v30, v30, v80
	v_dot4_i32_i8 v80, v127, v2, 0
	v_dot4_i32_i8 v80, v66, v6, v80
	;; [unrolled: 1-line block ×8, first 2 shown]
	v_cvt_f32_i32_e32 v80, v80
	v_pk_mul_f16 v81, v126, v13
	v_fma_mix_f32 v80, v80, v81, v81 op_sel:[0,0,1] op_sel_hi:[0,1,1]
	v_add_f32_e32 v29, v29, v80
	v_dot4_i32_i8 v80, v76, v2, 0
	v_dot4_i32_i8 v2, v77, v2, 0
	;; [unrolled: 1-line block ×11, first 2 shown]
	v_cvt_f32_i32_e32 v2, v2
	v_dot4_i32_i8 v80, v44, v7, v80
	v_dot4_i32_i8 v80, v65, v4, v80
	;; [unrolled: 1-line block ×3, first 2 shown]
	v_pk_mul_f16 v3, v125, v13
	v_dot4_i32_i8 v80, v85, v5, v80
	v_fma_mix_f32 v2, v2, v3, v3 op_sel:[0,0,1] op_sel_hi:[0,1,1]
	v_dot4_i32_i8 v80, v86, v9, v80
	v_add_f32_e32 v27, v27, v2
	ds_read_b128 v[2:5], v109 offset:5120
	ds_read_b128 v[6:9], v109 offset:5136
	v_pk_mul_f16 v81, v36, v13
	v_cvt_f32_i32_e32 v80, v80
	s_waitcnt lgkmcnt(1)
	v_dot4_i32_i8 v13, v117, v2, 0
	s_waitcnt lgkmcnt(0)
	v_dot4_i32_i8 v13, v118, v6, v13
	v_dot4_i32_i8 v13, v119, v3, v13
	;; [unrolled: 1-line block ×7, first 2 shown]
	v_cvt_f32_i32_e32 v13, v13
	v_fma_mix_f32 v80, v80, v81, v81 op_sel:[0,0,1] op_sel_hi:[0,1,1]
	v_add_f32_e32 v28, v28, v80
	v_pk_mul_f16 v80, v116, v14
	v_fma_mix_f32 v13, v13, v80, v80 op_sel:[0,0,1] op_sel_hi:[0,1,1]
	v_add_f32_e32 v26, v26, v13
	v_dot4_i32_i8 v13, v127, v2, 0
	v_dot4_i32_i8 v13, v66, v6, v13
	;; [unrolled: 1-line block ×8, first 2 shown]
	v_cvt_f32_i32_e32 v13, v13
	v_pk_mul_f16 v80, v126, v14
	v_fma_mix_f32 v13, v13, v80, v80 op_sel:[0,0,1] op_sel_hi:[0,1,1]
	v_add_f32_e32 v25, v25, v13
	v_dot4_i32_i8 v13, v76, v2, 0
	v_dot4_i32_i8 v2, v77, v2, 0
	;; [unrolled: 1-line block ×16, first 2 shown]
	v_cvt_f32_i32_e32 v2, v2
	v_cvt_f32_i32_e32 v13, v13
	v_pk_mul_f16 v3, v125, v14
	v_pk_mul_f16 v80, v36, v14
	v_fma_mix_f32 v2, v2, v3, v3 op_sel:[0,0,1] op_sel_hi:[0,1,1]
	v_fma_mix_f32 v13, v13, v80, v80 op_sel:[0,0,1] op_sel_hi:[0,1,1]
	v_add_f32_e32 v23, v23, v2
	ds_read_b128 v[4:7], v109 offset:6144
	ds_read_b128 v[80:83], v109 offset:6160
	ds_read2_b32 v[2:3], v110 offset0:192 offset1:224
	v_add_f32_e32 v24, v24, v13
	v_add_u32_e32 v110, 4, v110
	s_waitcnt lgkmcnt(2)
	v_dot4_i32_i8 v8, v117, v4, 0
	s_waitcnt lgkmcnt(1)
	v_dot4_i32_i8 v8, v118, v80, v8
	v_dot4_i32_i8 v8, v119, v5, v8
	;; [unrolled: 1-line block ×7, first 2 shown]
	v_cvt_f32_i32_e32 v8, v8
	s_waitcnt lgkmcnt(0)
	v_pk_mul_f16 v9, v116, v2
	v_fma_mix_f32 v8, v8, v9, v9 op_sel:[0,0,1] op_sel_hi:[0,1,1]
	v_add_f32_e32 v22, v22, v8
	v_dot4_i32_i8 v8, v127, v4, 0
	v_dot4_i32_i8 v8, v66, v80, v8
	;; [unrolled: 1-line block ×8, first 2 shown]
	v_cvt_f32_i32_e32 v8, v8
	v_pk_mul_f16 v9, v126, v2
	v_fma_mix_f32 v8, v8, v9, v9 op_sel:[0,0,1] op_sel_hi:[0,1,1]
	v_add_f32_e32 v21, v21, v8
	v_dot4_i32_i8 v8, v76, v4, 0
	v_dot4_i32_i8 v4, v77, v4, 0
	;; [unrolled: 1-line block ×12, first 2 shown]
	v_cvt_f32_i32_e32 v4, v4
	v_dot4_i32_i8 v8, v65, v6, v8
	v_dot4_i32_i8 v8, v10, v82, v8
	;; [unrolled: 1-line block ×3, first 2 shown]
	v_pk_mul_f16 v9, v36, v2
	v_pk_mul_f16 v2, v125, v2
	v_dot4_i32_i8 v8, v86, v83, v8
	v_fma_mix_f32 v2, v4, v2, v2 op_sel:[0,0,1] op_sel_hi:[0,1,1]
	ds_read_b128 v[4:7], v109 offset:7168
	ds_read_b128 v[80:83], v109 offset:7184
	v_add_f32_e32 v19, v19, v2
	v_cvt_f32_i32_e32 v8, v8
	v_add_u32_e32 v109, 32, v109
	s_waitcnt lgkmcnt(1)
	v_dot4_i32_i8 v2, v117, v4, 0
	s_waitcnt lgkmcnt(0)
	v_dot4_i32_i8 v2, v118, v80, v2
	v_dot4_i32_i8 v2, v119, v5, v2
	;; [unrolled: 1-line block ×7, first 2 shown]
	v_cvt_f32_i32_e32 v2, v2
	v_fma_mix_f32 v8, v8, v9, v9 op_sel:[0,0,1] op_sel_hi:[0,1,1]
	v_add_f32_e32 v20, v20, v8
	v_pk_mul_f16 v8, v116, v3
	v_fma_mix_f32 v2, v2, v8, v8 op_sel:[0,0,1] op_sel_hi:[0,1,1]
	v_add_f32_e32 v18, v18, v2
	v_dot4_i32_i8 v2, v127, v4, 0
	v_dot4_i32_i8 v2, v66, v80, v2
	v_dot4_i32_i8 v2, v84, v5, v2
	v_dot4_i32_i8 v2, v91, v81, v2
	v_dot4_i32_i8 v2, v92, v6, v2
	v_dot4_i32_i8 v2, v93, v82, v2
	v_dot4_i32_i8 v2, v94, v7, v2
	v_dot4_i32_i8 v2, v95, v83, v2
	v_cvt_f32_i32_e32 v2, v2
	v_pk_mul_f16 v8, v126, v3
	v_fma_mix_f32 v2, v2, v8, v8 op_sel:[0,0,1] op_sel_hi:[0,1,1]
	v_add_f32_e32 v17, v17, v2
	v_dot4_i32_i8 v2, v76, v4, 0
	v_dot4_i32_i8 v1, v1, v80, v2
	v_dot4_i32_i8 v1, v90, v5, v1
	v_dot4_i32_i8 v1, v44, v81, v1
	v_dot4_i32_i8 v1, v65, v6, v1
	v_dot4_i32_i8 v1, v10, v82, v1
	v_dot4_i32_i8 v1, v85, v7, v1
	v_dot4_i32_i8 v1, v86, v83, v1
	v_cvt_f32_i32_e32 v1, v1
	;; [unrolled: 12-line block ×3, first 2 shown]
	v_pk_mul_f16 v2, v125, v3
	v_fma_mix_f32 v1, v1, v2, v2 op_sel:[0,0,1] op_sel_hi:[0,1,1]
	v_add_f32_e32 v15, v15, v1
	s_cbranch_scc1 .LBB119_8
; %bb.9:                                ;   in Loop: Header=BB119_6 Depth=1
	s_and_b32 s0, s9, -4
	s_cmp_eq_u32 s0, 4
	s_barrier
	s_cbranch_scc1 .LBB119_5
; %bb.10:                               ;   in Loop: Header=BB119_6 Depth=1
	buffer_load_dword v1, off, s[20:23], 0 offset:80 ; 4-byte Folded Reload
	buffer_load_dword v3, off, s[20:23], 0 offset:8 ; 4-byte Folded Reload
	;; [unrolled: 1-line block ×7, first 2 shown]
	s_waitcnt vmcnt(6)
	v_add_u32_e32 v36, s14, v1
	buffer_load_dword v1, off, s[20:23], 0 offset:4 ; 4-byte Folded Reload
	s_waitcnt vmcnt(6)
	v_add_u32_e32 v3, v36, v3
	s_waitcnt vmcnt(5)
	v_add_u32_e32 v5, v36, v5
	;; [unrolled: 2-line block ×5, first 2 shown]
	v_add_u32_e32 v13, v36, v13
	v_mad_i64_i32 v[65:66], s[0:1], v44, 36, v[11:12]
	v_add_u32_e32 v44, 4, v107
	v_mad_i64_i32 v[3:4], s[0:1], v3, 36, v[11:12]
	v_mad_i64_i32 v[5:6], s[0:1], v5, 36, v[11:12]
	;; [unrolled: 1-line block ×5, first 2 shown]
	v_mov_b32_e32 v107, v89
	v_mad_u64_u32 v[74:75], s[0:1], v44, 36, s[2:3]
	buffer_load_dword v44, off, s[20:23], 0 offset:32 ; 4-byte Folded Reload
	s_waitcnt vmcnt(1)
	v_add_u32_e32 v1, v36, v1
	v_mad_i64_i32 v[1:2], s[0:1], v1, 36, v[11:12]
	s_waitcnt vmcnt(0)
	v_add_u32_e32 v36, v36, v44
	v_mad_i64_i32 v[76:77], s[0:1], v36, 36, v[11:12]
	global_load_dword v36, v[74:75], off
	s_nop 0
	global_load_dword v1, v[1:2], off offset:4
	s_nop 0
	global_load_dword v2, v[3:4], off offset:4
	;; [unrolled: 2-line block ×3, first 2 shown]
	global_load_dword v4, v[7:8], off offset:4
	s_nop 0
	global_load_dword v5, v[9:10], off offset:4
	global_load_dword v6, v[13:14], off offset:4
	;; [unrolled: 1-line block ×4, first 2 shown]
	buffer_load_dword v109, off, s[20:23], 0 offset:36 ; 4-byte Folded Reload
	buffer_load_dword v110, off, s[20:23], 0 offset:100 ; 4-byte Folded Reload
	;; [unrolled: 1-line block ×5, first 2 shown]
	buffer_load_dword v9, off, s[20:23], 0  ; 4-byte Folded Reload
	s_mov_b32 s0, 12
	s_waitcnt vmcnt(0)
	ds_write_b32 v9, v36
	ds_write_b32 v108, v1
	buffer_load_dword v1, off, s[20:23], 0 offset:40 ; 4-byte Folded Reload
	s_waitcnt vmcnt(0)
	ds_write_b32 v1, v2
	buffer_load_dword v1, off, s[20:23], 0 offset:44 ; 4-byte Folded Reload
	s_waitcnt vmcnt(0)
	ds_write_b32 v1, v3
	ds_write_b32 v102, v4
	;; [unrolled: 1-line block ×6, first 2 shown]
	s_waitcnt lgkmcnt(0)
	s_barrier
	buffer_load_dword v108, off, s[20:23], 0 offset:84 ; 4-byte Folded Reload
.LBB119_11:                             ;   Parent Loop BB119_6 Depth=1
                                        ; =>  This Inner Loop Header: Depth=2
	ds_read_b128 v[2:5], v109
	ds_read_b128 v[6:9], v109 offset:16
	ds_read2_b32 v[13:14], v107 offset1:32
	ds_read_b32 v114, v110
	s_waitcnt vmcnt(0)
	ds_read2_b32 v[65:66], v108 offset1:1
	s_add_i32 s0, s0, 4
	v_add_u32_e32 v110, 4, v110
	s_cmp_lt_u32 s0, 28
	s_waitcnt lgkmcnt(1)
	v_pk_mul_f16 v80, v114, v14
	s_waitcnt lgkmcnt(0)
	v_and_b32_e32 v115, 0xf0f0f0f, v65
	v_lshrrev_b32_e32 v1, 4, v65
	v_and_b32_e32 v117, 0xf0f0f0f, v66
	v_lshrrev_b32_e32 v10, 4, v66
	ds_read2_b32 v[65:66], v108 offset0:2 offset1:3
	v_and_b32_e32 v116, 0xf0f0f0f, v1
	v_dot4_i32_i8 v1, v115, v2, 0
	v_dot4_i32_i8 v1, v116, v6, v1
	v_and_b32_e32 v118, 0xf0f0f0f, v10
	v_dot4_i32_i8 v1, v117, v3, v1
	v_dot4_i32_i8 v1, v118, v7, v1
	s_waitcnt lgkmcnt(0)
	v_and_b32_e32 v119, 0xf0f0f0f, v65
	v_lshrrev_b32_e32 v10, 4, v65
	v_and_b32_e32 v120, 0xf0f0f0f, v10
	v_dot4_i32_i8 v1, v119, v4, v1
	v_dot4_i32_i8 v1, v120, v8, v1
	v_and_b32_e32 v121, 0xf0f0f0f, v66
	v_lshrrev_b32_e32 v10, 4, v66
	v_and_b32_e32 v122, 0xf0f0f0f, v10
	v_dot4_i32_i8 v1, v121, v5, v1
	v_dot4_i32_i8 v1, v122, v9, v1
	v_cvt_f32_i32_e32 v1, v1
	v_pk_mul_f16 v10, v13, v114
	v_fma_mix_f32 v1, v10, v1, v10 op_sel:[0,0,1] op_sel_hi:[1,0,1]
	v_add_f32_e32 v38, v38, v1
	v_add_u32_e32 v1, 0x1080, v108
	ds_read_b32 v124, v111
	ds_read2_b32 v[74:75], v1 offset1:1
	v_add_u32_e32 v111, 4, v111
	s_waitcnt lgkmcnt(0)
	v_lshrrev_b32_e32 v10, 4, v75
	v_and_b32_e32 v91, 0xf0f0f0f, v10
	v_add_u32_e32 v10, 0x1088, v108
	v_and_b32_e32 v125, 0xf0f0f0f, v74
	v_lshrrev_b32_e32 v1, 4, v74
	v_and_b32_e32 v84, 0xf0f0f0f, v75
	ds_read2_b32 v[74:75], v10 offset1:1
	v_and_b32_e32 v66, 0xf0f0f0f, v1
	v_dot4_i32_i8 v1, v125, v2, 0
	v_dot4_i32_i8 v1, v66, v6, v1
	;; [unrolled: 1-line block ×4, first 2 shown]
	s_waitcnt lgkmcnt(0)
	v_and_b32_e32 v92, 0xf0f0f0f, v74
	v_lshrrev_b32_e32 v10, 4, v74
	v_and_b32_e32 v93, 0xf0f0f0f, v10
	v_dot4_i32_i8 v1, v92, v4, v1
	v_dot4_i32_i8 v1, v93, v8, v1
	v_and_b32_e32 v94, 0xf0f0f0f, v75
	v_lshrrev_b32_e32 v10, 4, v75
	v_and_b32_e32 v95, 0xf0f0f0f, v10
	v_dot4_i32_i8 v1, v94, v5, v1
	v_dot4_i32_i8 v1, v95, v9, v1
	v_cvt_f32_i32_e32 v1, v1
	v_pk_mul_f16 v10, v13, v124
	v_fma_mix_f32 v1, v10, v1, v10 op_sel:[0,0,1] op_sel_hi:[1,0,1]
	v_add_f32_e32 v73, v73, v1
	v_add_u32_e32 v1, 0x2100, v108
	ds_read_b32 v36, v112
	ds_read2_b32 v[74:75], v1 offset1:1
	v_add_u32_e32 v112, 4, v112
	s_waitcnt lgkmcnt(0)
	v_and_b32_e32 v76, 0xf0f0f0f, v74
	v_lshrrev_b32_e32 v1, 4, v74
	v_and_b32_e32 v1, 0xf0f0f0f, v1
	v_dot4_i32_i8 v10, v76, v2, 0
	v_dot4_i32_i8 v10, v1, v6, v10
	v_and_b32_e32 v90, 0xf0f0f0f, v75
	v_lshrrev_b32_e32 v44, 4, v75
	v_and_b32_e32 v44, 0xf0f0f0f, v44
	v_dot4_i32_i8 v10, v90, v3, v10
	v_dot4_i32_i8 v72, v44, v7, v10
	v_add_u32_e32 v10, 0x2108, v108
	ds_read2_b32 v[74:75], v10 offset1:1
	s_waitcnt lgkmcnt(0)
	v_and_b32_e32 v65, 0xf0f0f0f, v74
	v_lshrrev_b32_e32 v10, 4, v74
	v_and_b32_e32 v10, 0xf0f0f0f, v10
	v_dot4_i32_i8 v72, v65, v4, v72
	v_dot4_i32_i8 v72, v10, v8, v72
	v_and_b32_e32 v85, 0xf0f0f0f, v75
	v_lshrrev_b32_e32 v74, 4, v75
	v_and_b32_e32 v86, 0xf0f0f0f, v74
	v_dot4_i32_i8 v72, v85, v5, v72
	v_dot4_i32_i8 v72, v86, v9, v72
	v_cvt_f32_i32_e32 v72, v72
	v_pk_mul_f16 v74, v13, v36
	v_fma_mix_f32 v72, v74, v72, v74 op_sel:[0,0,1] op_sel_hi:[1,0,1]
	v_add_f32_e32 v69, v69, v72
	v_add_u32_e32 v72, 0x3180, v108
	ds_read_b32 v123, v113
	ds_read2_b32 v[74:75], v72 offset1:1
	v_add_u32_e32 v113, 4, v113
	s_waitcnt lgkmcnt(0)
	v_and_b32_e32 v77, 0xf0f0f0f, v74
	v_lshrrev_b32_e32 v72, 4, v74
	v_and_b32_e32 v78, 0xf0f0f0f, v72
	v_dot4_i32_i8 v2, v77, v2, 0
	v_dot4_i32_i8 v2, v78, v6, v2
	v_and_b32_e32 v74, 0xf0f0f0f, v75
	v_lshrrev_b32_e32 v6, 4, v75
	v_and_b32_e32 v87, 0xf0f0f0f, v6
	v_dot4_i32_i8 v2, v74, v3, v2
	v_dot4_i32_i8 v6, v87, v7, v2
	v_add_u32_e32 v2, 0x3188, v108
	ds_read2_b32 v[2:3], v2 offset1:1
	v_add_u32_e32 v108, 16, v108
	s_waitcnt lgkmcnt(0)
	v_and_b32_e32 v79, 0xf0f0f0f, v2
	v_lshrrev_b32_e32 v2, 4, v2
	v_and_b32_e32 v75, 0xf0f0f0f, v2
	v_dot4_i32_i8 v2, v79, v4, v6
	v_dot4_i32_i8 v2, v75, v8, v2
	v_and_b32_e32 v88, 0xf0f0f0f, v3
	v_lshrrev_b32_e32 v3, 4, v3
	v_and_b32_e32 v72, 0xf0f0f0f, v3
	v_dot4_i32_i8 v2, v88, v5, v2
	v_dot4_i32_i8 v2, v72, v9, v2
	v_cvt_f32_i32_e32 v2, v2
	v_pk_mul_f16 v3, v13, v123
	v_fma_mix_f32 v2, v3, v2, v3 op_sel:[0,0,1] op_sel_hi:[1,0,1]
	v_add_f32_e32 v62, v62, v2
	ds_read_b128 v[2:5], v109 offset:1024
	ds_read_b128 v[6:9], v109 offset:1040
	s_waitcnt lgkmcnt(1)
	v_dot4_i32_i8 v13, v115, v2, 0
	s_waitcnt lgkmcnt(0)
	v_dot4_i32_i8 v13, v116, v6, v13
	v_dot4_i32_i8 v13, v117, v3, v13
	;; [unrolled: 1-line block ×7, first 2 shown]
	v_cvt_f32_i32_e32 v13, v13
	v_fma_mix_f32 v13, v13, v80, v80 op_sel:[0,0,1] op_sel_hi:[0,1,1]
	v_add_f32_e32 v51, v51, v13
	v_dot4_i32_i8 v13, v125, v2, 0
	v_dot4_i32_i8 v13, v66, v6, v13
	;; [unrolled: 1-line block ×8, first 2 shown]
	v_cvt_f32_i32_e32 v13, v13
	v_pk_mul_f16 v80, v124, v14
	v_fma_mix_f32 v13, v13, v80, v80 op_sel:[0,0,1] op_sel_hi:[0,1,1]
	v_add_f32_e32 v43, v43, v13
	v_dot4_i32_i8 v13, v76, v2, 0
	v_dot4_i32_i8 v2, v77, v2, 0
	;; [unrolled: 1-line block ×16, first 2 shown]
	v_cvt_f32_i32_e32 v2, v2
	v_cvt_f32_i32_e32 v13, v13
	v_pk_mul_f16 v3, v123, v14
	v_pk_mul_f16 v80, v36, v14
	v_fma_mix_f32 v2, v2, v3, v3 op_sel:[0,0,1] op_sel_hi:[0,1,1]
	v_fma_mix_f32 v13, v13, v80, v80 op_sel:[0,0,1] op_sel_hi:[0,1,1]
	v_add_f32_e32 v41, v41, v2
	ds_read_b128 v[4:7], v109 offset:2048
	ds_read_b128 v[80:83], v109 offset:2064
	ds_read2_b32 v[2:3], v107 offset0:64 offset1:96
	v_add_f32_e32 v42, v42, v13
	s_waitcnt lgkmcnt(2)
	v_dot4_i32_i8 v8, v115, v4, 0
	s_waitcnt lgkmcnt(1)
	v_dot4_i32_i8 v8, v116, v80, v8
	v_dot4_i32_i8 v8, v117, v5, v8
	;; [unrolled: 1-line block ×7, first 2 shown]
	v_cvt_f32_i32_e32 v8, v8
	s_waitcnt lgkmcnt(0)
	v_pk_mul_f16 v9, v114, v2
	v_fma_mix_f32 v8, v8, v9, v9 op_sel:[0,0,1] op_sel_hi:[0,1,1]
	v_add_f32_e32 v40, v40, v8
	v_dot4_i32_i8 v8, v125, v4, 0
	v_dot4_i32_i8 v8, v66, v80, v8
	;; [unrolled: 1-line block ×8, first 2 shown]
	v_cvt_f32_i32_e32 v8, v8
	v_pk_mul_f16 v9, v124, v2
	v_fma_mix_f32 v8, v8, v9, v9 op_sel:[0,0,1] op_sel_hi:[0,1,1]
	v_add_f32_e32 v39, v39, v8
	v_dot4_i32_i8 v8, v76, v4, 0
	v_dot4_i32_i8 v4, v77, v4, 0
	;; [unrolled: 1-line block ×12, first 2 shown]
	v_cvt_f32_i32_e32 v4, v4
	v_dot4_i32_i8 v8, v65, v6, v8
	v_dot4_i32_i8 v8, v10, v82, v8
	;; [unrolled: 1-line block ×3, first 2 shown]
	v_pk_mul_f16 v9, v36, v2
	v_pk_mul_f16 v2, v123, v2
	v_dot4_i32_i8 v8, v86, v83, v8
	v_fma_mix_f32 v2, v4, v2, v2 op_sel:[0,0,1] op_sel_hi:[0,1,1]
	ds_read_b128 v[4:7], v109 offset:3072
	ds_read_b128 v[80:83], v109 offset:3088
	v_add_f32_e32 v35, v35, v2
	v_cvt_f32_i32_e32 v8, v8
	s_waitcnt lgkmcnt(1)
	v_dot4_i32_i8 v2, v115, v4, 0
	s_waitcnt lgkmcnt(0)
	v_dot4_i32_i8 v2, v116, v80, v2
	v_dot4_i32_i8 v2, v117, v5, v2
	;; [unrolled: 1-line block ×7, first 2 shown]
	v_cvt_f32_i32_e32 v2, v2
	v_fma_mix_f32 v8, v8, v9, v9 op_sel:[0,0,1] op_sel_hi:[0,1,1]
	v_add_f32_e32 v37, v37, v8
	v_pk_mul_f16 v8, v114, v3
	v_fma_mix_f32 v2, v2, v8, v8 op_sel:[0,0,1] op_sel_hi:[0,1,1]
	v_add_f32_e32 v34, v34, v2
	v_dot4_i32_i8 v2, v125, v4, 0
	v_dot4_i32_i8 v2, v66, v80, v2
	;; [unrolled: 1-line block ×8, first 2 shown]
	v_cvt_f32_i32_e32 v2, v2
	v_pk_mul_f16 v8, v124, v3
	v_fma_mix_f32 v2, v2, v8, v8 op_sel:[0,0,1] op_sel_hi:[0,1,1]
	v_add_f32_e32 v33, v33, v2
	v_dot4_i32_i8 v2, v76, v4, 0
	v_dot4_i32_i8 v2, v1, v80, v2
	;; [unrolled: 1-line block ×8, first 2 shown]
	v_cvt_f32_i32_e32 v2, v2
	v_pk_mul_f16 v8, v36, v3
	v_pk_mul_f16 v3, v123, v3
	v_fma_mix_f32 v2, v2, v8, v8 op_sel:[0,0,1] op_sel_hi:[0,1,1]
	v_add_f32_e32 v32, v32, v2
	v_dot4_i32_i8 v2, v77, v4, 0
	v_dot4_i32_i8 v2, v78, v80, v2
	;; [unrolled: 1-line block ×8, first 2 shown]
	v_cvt_f32_i32_e32 v2, v2
	v_fma_mix_f32 v2, v2, v3, v3 op_sel:[0,0,1] op_sel_hi:[0,1,1]
	v_add_f32_e32 v31, v31, v2
	ds_read_b128 v[2:5], v109 offset:4096
	ds_read_b128 v[6:9], v109 offset:4112
	ds_read2_b32 v[13:14], v107 offset0:128 offset1:160
	s_waitcnt lgkmcnt(2)
	v_dot4_i32_i8 v80, v115, v2, 0
	s_waitcnt lgkmcnt(1)
	v_dot4_i32_i8 v80, v116, v6, v80
	v_dot4_i32_i8 v80, v117, v3, v80
	;; [unrolled: 1-line block ×7, first 2 shown]
	v_cvt_f32_i32_e32 v80, v80
	s_waitcnt lgkmcnt(0)
	v_pk_mul_f16 v81, v114, v13
	v_fma_mix_f32 v80, v80, v81, v81 op_sel:[0,0,1] op_sel_hi:[0,1,1]
	v_add_f32_e32 v30, v30, v80
	v_dot4_i32_i8 v80, v125, v2, 0
	v_dot4_i32_i8 v80, v66, v6, v80
	;; [unrolled: 1-line block ×8, first 2 shown]
	v_cvt_f32_i32_e32 v80, v80
	v_pk_mul_f16 v81, v124, v13
	v_fma_mix_f32 v80, v80, v81, v81 op_sel:[0,0,1] op_sel_hi:[0,1,1]
	v_add_f32_e32 v29, v29, v80
	v_dot4_i32_i8 v80, v76, v2, 0
	v_dot4_i32_i8 v2, v77, v2, 0
	;; [unrolled: 1-line block ×11, first 2 shown]
	v_cvt_f32_i32_e32 v2, v2
	v_dot4_i32_i8 v80, v44, v7, v80
	v_dot4_i32_i8 v80, v65, v4, v80
	v_dot4_i32_i8 v80, v10, v8, v80
	v_pk_mul_f16 v3, v123, v13
	v_dot4_i32_i8 v80, v85, v5, v80
	v_fma_mix_f32 v2, v2, v3, v3 op_sel:[0,0,1] op_sel_hi:[0,1,1]
	v_dot4_i32_i8 v80, v86, v9, v80
	v_add_f32_e32 v27, v27, v2
	ds_read_b128 v[2:5], v109 offset:5120
	ds_read_b128 v[6:9], v109 offset:5136
	v_pk_mul_f16 v81, v36, v13
	v_cvt_f32_i32_e32 v80, v80
	s_waitcnt lgkmcnt(1)
	v_dot4_i32_i8 v13, v115, v2, 0
	s_waitcnt lgkmcnt(0)
	v_dot4_i32_i8 v13, v116, v6, v13
	v_dot4_i32_i8 v13, v117, v3, v13
	;; [unrolled: 1-line block ×7, first 2 shown]
	v_cvt_f32_i32_e32 v13, v13
	v_fma_mix_f32 v80, v80, v81, v81 op_sel:[0,0,1] op_sel_hi:[0,1,1]
	v_add_f32_e32 v28, v28, v80
	v_pk_mul_f16 v80, v114, v14
	v_fma_mix_f32 v13, v13, v80, v80 op_sel:[0,0,1] op_sel_hi:[0,1,1]
	v_add_f32_e32 v26, v26, v13
	v_dot4_i32_i8 v13, v125, v2, 0
	v_dot4_i32_i8 v13, v66, v6, v13
	;; [unrolled: 1-line block ×8, first 2 shown]
	v_cvt_f32_i32_e32 v13, v13
	v_pk_mul_f16 v80, v124, v14
	v_fma_mix_f32 v13, v13, v80, v80 op_sel:[0,0,1] op_sel_hi:[0,1,1]
	v_add_f32_e32 v25, v25, v13
	v_dot4_i32_i8 v13, v76, v2, 0
	v_dot4_i32_i8 v2, v77, v2, 0
	;; [unrolled: 1-line block ×16, first 2 shown]
	v_cvt_f32_i32_e32 v2, v2
	v_cvt_f32_i32_e32 v13, v13
	v_pk_mul_f16 v3, v123, v14
	v_pk_mul_f16 v80, v36, v14
	v_fma_mix_f32 v2, v2, v3, v3 op_sel:[0,0,1] op_sel_hi:[0,1,1]
	v_fma_mix_f32 v13, v13, v80, v80 op_sel:[0,0,1] op_sel_hi:[0,1,1]
	v_add_f32_e32 v23, v23, v2
	ds_read_b128 v[4:7], v109 offset:6144
	ds_read_b128 v[80:83], v109 offset:6160
	ds_read2_b32 v[2:3], v107 offset0:192 offset1:224
	v_add_f32_e32 v24, v24, v13
	v_add_u32_e32 v107, 4, v107
	s_waitcnt lgkmcnt(2)
	v_dot4_i32_i8 v8, v115, v4, 0
	s_waitcnt lgkmcnt(1)
	v_dot4_i32_i8 v8, v116, v80, v8
	v_dot4_i32_i8 v8, v117, v5, v8
	;; [unrolled: 1-line block ×7, first 2 shown]
	v_cvt_f32_i32_e32 v8, v8
	s_waitcnt lgkmcnt(0)
	v_pk_mul_f16 v9, v114, v2
	v_fma_mix_f32 v8, v8, v9, v9 op_sel:[0,0,1] op_sel_hi:[0,1,1]
	v_add_f32_e32 v22, v22, v8
	v_dot4_i32_i8 v8, v125, v4, 0
	v_dot4_i32_i8 v8, v66, v80, v8
	;; [unrolled: 1-line block ×8, first 2 shown]
	v_cvt_f32_i32_e32 v8, v8
	v_pk_mul_f16 v9, v124, v2
	v_fma_mix_f32 v8, v8, v9, v9 op_sel:[0,0,1] op_sel_hi:[0,1,1]
	v_add_f32_e32 v21, v21, v8
	v_dot4_i32_i8 v8, v76, v4, 0
	v_dot4_i32_i8 v4, v77, v4, 0
	;; [unrolled: 1-line block ×12, first 2 shown]
	v_cvt_f32_i32_e32 v4, v4
	v_dot4_i32_i8 v8, v65, v6, v8
	v_dot4_i32_i8 v8, v10, v82, v8
	;; [unrolled: 1-line block ×3, first 2 shown]
	v_pk_mul_f16 v9, v36, v2
	v_pk_mul_f16 v2, v123, v2
	v_dot4_i32_i8 v8, v86, v83, v8
	v_fma_mix_f32 v2, v4, v2, v2 op_sel:[0,0,1] op_sel_hi:[0,1,1]
	ds_read_b128 v[4:7], v109 offset:7168
	ds_read_b128 v[80:83], v109 offset:7184
	v_add_f32_e32 v19, v19, v2
	v_cvt_f32_i32_e32 v8, v8
	v_add_u32_e32 v109, 32, v109
	s_waitcnt lgkmcnt(1)
	v_dot4_i32_i8 v2, v115, v4, 0
	s_waitcnt lgkmcnt(0)
	v_dot4_i32_i8 v2, v116, v80, v2
	v_dot4_i32_i8 v2, v117, v5, v2
	;; [unrolled: 1-line block ×7, first 2 shown]
	v_cvt_f32_i32_e32 v2, v2
	v_fma_mix_f32 v8, v8, v9, v9 op_sel:[0,0,1] op_sel_hi:[0,1,1]
	v_add_f32_e32 v20, v20, v8
	v_pk_mul_f16 v8, v114, v3
	v_fma_mix_f32 v2, v2, v8, v8 op_sel:[0,0,1] op_sel_hi:[0,1,1]
	v_add_f32_e32 v18, v18, v2
	v_dot4_i32_i8 v2, v125, v4, 0
	v_dot4_i32_i8 v2, v66, v80, v2
	v_dot4_i32_i8 v2, v84, v5, v2
	v_dot4_i32_i8 v2, v91, v81, v2
	v_dot4_i32_i8 v2, v92, v6, v2
	v_dot4_i32_i8 v2, v93, v82, v2
	v_dot4_i32_i8 v2, v94, v7, v2
	v_dot4_i32_i8 v2, v95, v83, v2
	v_cvt_f32_i32_e32 v2, v2
	v_pk_mul_f16 v8, v124, v3
	v_fma_mix_f32 v2, v2, v8, v8 op_sel:[0,0,1] op_sel_hi:[0,1,1]
	v_add_f32_e32 v17, v17, v2
	v_dot4_i32_i8 v2, v76, v4, 0
	v_dot4_i32_i8 v1, v1, v80, v2
	v_dot4_i32_i8 v1, v90, v5, v1
	v_dot4_i32_i8 v1, v44, v81, v1
	v_dot4_i32_i8 v1, v65, v6, v1
	v_dot4_i32_i8 v1, v10, v82, v1
	v_dot4_i32_i8 v1, v85, v7, v1
	v_dot4_i32_i8 v1, v86, v83, v1
	v_cvt_f32_i32_e32 v1, v1
	;; [unrolled: 12-line block ×3, first 2 shown]
	v_pk_mul_f16 v2, v123, v3
	v_fma_mix_f32 v1, v1, v2, v2 op_sel:[0,0,1] op_sel_hi:[0,1,1]
	v_add_f32_e32 v15, v15, v1
	s_cbranch_scc1 .LBB119_11
; %bb.12:                               ;   in Loop: Header=BB119_6 Depth=1
	s_barrier
	s_branch .LBB119_5
.LBB119_13:
	buffer_load_dword v1, off, s[20:23], 0 offset:108 ; 4-byte Folded Reload
	buffer_load_dword v36, off, s[20:23], 0 offset:104 ; 4-byte Folded Reload
.LBB119_14:
	s_waitcnt vmcnt(1)
	v_cmp_gt_u32_e32 vcc, s8, v1
	s_and_saveexec_b64 s[0:1], vcc
	s_cbranch_execz .LBB119_65
; %bb.15:
	v_mul_lo_u32 v4, v1, s10
	v_add_u32_e32 v0, s6, v0
	v_cmp_gt_u32_e32 vcc, s10, v0
	s_and_saveexec_b64 s[2:3], vcc
	s_cbranch_execz .LBB119_17
; %bb.16:
	v_add_u32_e32 v1, v0, v4
	v_mov_b32_e32 v2, 0
	v_lshlrev_b64 v[1:2], 2, v[1:2]
	s_waitcnt lgkmcnt(0)
	v_mov_b32_e32 v3, s13
	v_add_co_u32_e64 v1, s[0:1], s12, v1
	v_addc_co_u32_e64 v2, s[0:1], v3, v2, s[0:1]
	global_store_dword v[1:2], v38, off
.LBB119_17:
	s_or_b64 exec, exec, s[2:3]
	v_add_u32_e32 v1, 32, v0
	v_cmp_gt_u32_e64 s[0:1], s10, v1
	s_and_saveexec_b64 s[4:5], s[0:1]
	s_cbranch_execz .LBB119_19
; %bb.18:
	v_add_u32_e32 v2, v1, v4
	v_mov_b32_e32 v3, 0
	v_lshlrev_b64 v[2:3], 2, v[2:3]
	s_waitcnt lgkmcnt(0)
	v_mov_b32_e32 v5, s13
	v_add_co_u32_e64 v2, s[2:3], s12, v2
	v_addc_co_u32_e64 v3, s[2:3], v5, v3, s[2:3]
	global_store_dword v[2:3], v73, off
.LBB119_19:
	s_or_b64 exec, exec, s[4:5]
	v_add_u32_e32 v2, 64, v0
	v_cmp_gt_u32_e64 s[2:3], s10, v2
	s_and_saveexec_b64 s[6:7], s[2:3]
	s_cbranch_execz .LBB119_21
; %bb.20:
	v_add_u32_e32 v5, v2, v4
	v_mov_b32_e32 v6, 0
	v_lshlrev_b64 v[5:6], 2, v[5:6]
	s_waitcnt lgkmcnt(0)
	v_mov_b32_e32 v3, s13
	v_add_co_u32_e64 v5, s[4:5], s12, v5
	v_addc_co_u32_e64 v6, s[4:5], v3, v6, s[4:5]
	global_store_dword v[5:6], v69, off
.LBB119_21:
	s_or_b64 exec, exec, s[6:7]
	v_add_u32_e32 v3, 0x60, v0
	v_cmp_gt_u32_e64 s[4:5], s10, v3
	s_and_saveexec_b64 s[14:15], s[4:5]
	s_cbranch_execz .LBB119_23
; %bb.22:
	v_add_u32_e32 v4, v3, v4
	v_mov_b32_e32 v5, 0
	v_lshlrev_b64 v[4:5], 2, v[4:5]
	s_waitcnt lgkmcnt(0)
	v_mov_b32_e32 v6, s13
	v_add_co_u32_e64 v4, s[6:7], s12, v4
	v_addc_co_u32_e64 v5, s[6:7], v6, v5, s[6:7]
	global_store_dword v[4:5], v62, off
.LBB119_23:
	s_or_b64 exec, exec, s[14:15]
	s_waitcnt vmcnt(0)
	v_add3_u32 v4, v36, s11, 8
	v_cmp_gt_u32_e64 s[6:7], s8, v4
	s_and_b64 exec, exec, s[6:7]
	s_cbranch_execz .LBB119_65
; %bb.24:
	v_mul_lo_u32 v4, v4, s10
	s_and_saveexec_b64 s[14:15], vcc
	s_cbranch_execnz .LBB119_66
; %bb.25:
	s_or_b64 exec, exec, s[14:15]
	s_and_saveexec_b64 s[14:15], s[0:1]
	s_cbranch_execnz .LBB119_67
.LBB119_26:
	s_or_b64 exec, exec, s[14:15]
	s_and_saveexec_b64 s[14:15], s[2:3]
	s_cbranch_execnz .LBB119_68
.LBB119_27:
	s_or_b64 exec, exec, s[14:15]
	s_and_saveexec_b64 s[14:15], s[4:5]
	s_cbranch_execz .LBB119_29
.LBB119_28:
	v_add_u32_e32 v4, v4, v3
	v_mov_b32_e32 v5, 0
	v_lshlrev_b64 v[4:5], 2, v[4:5]
	s_waitcnt lgkmcnt(0)
	v_mov_b32_e32 v6, s13
	v_add_co_u32_e64 v4, s[6:7], s12, v4
	v_addc_co_u32_e64 v5, s[6:7], v6, v5, s[6:7]
	global_store_dword v[4:5], v41, off
.LBB119_29:
	s_or_b64 exec, exec, s[14:15]
	v_add3_u32 v4, v36, s11, 16
	v_cmp_gt_u32_e64 s[6:7], s8, v4
	s_and_b64 exec, exec, s[6:7]
	s_cbranch_execz .LBB119_65
; %bb.30:
	v_mul_lo_u32 v4, v4, s10
	s_and_saveexec_b64 s[14:15], vcc
	s_cbranch_execnz .LBB119_69
; %bb.31:
	s_or_b64 exec, exec, s[14:15]
	s_and_saveexec_b64 s[14:15], s[0:1]
	s_cbranch_execnz .LBB119_70
.LBB119_32:
	s_or_b64 exec, exec, s[14:15]
	s_and_saveexec_b64 s[14:15], s[2:3]
	s_cbranch_execnz .LBB119_71
.LBB119_33:
	s_or_b64 exec, exec, s[14:15]
	s_and_saveexec_b64 s[14:15], s[4:5]
	s_cbranch_execz .LBB119_35
.LBB119_34:
	v_add_u32_e32 v4, v4, v3
	v_mov_b32_e32 v5, 0
	v_lshlrev_b64 v[4:5], 2, v[4:5]
	s_waitcnt lgkmcnt(0)
	v_mov_b32_e32 v6, s13
	v_add_co_u32_e64 v4, s[6:7], s12, v4
	v_addc_co_u32_e64 v5, s[6:7], v6, v5, s[6:7]
	global_store_dword v[4:5], v35, off
.LBB119_35:
	s_or_b64 exec, exec, s[14:15]
	v_add3_u32 v4, v36, s11, 24
	v_cmp_gt_u32_e64 s[6:7], s8, v4
	s_and_b64 exec, exec, s[6:7]
	s_cbranch_execz .LBB119_65
; %bb.36:
	v_mul_lo_u32 v4, v4, s10
	s_and_saveexec_b64 s[14:15], vcc
	s_cbranch_execnz .LBB119_72
; %bb.37:
	s_or_b64 exec, exec, s[14:15]
	s_and_saveexec_b64 s[14:15], s[0:1]
	s_cbranch_execnz .LBB119_73
.LBB119_38:
	s_or_b64 exec, exec, s[14:15]
	s_and_saveexec_b64 s[14:15], s[2:3]
	s_cbranch_execnz .LBB119_74
.LBB119_39:
	s_or_b64 exec, exec, s[14:15]
	s_and_saveexec_b64 s[14:15], s[4:5]
	s_cbranch_execz .LBB119_41
.LBB119_40:
	v_add_u32_e32 v4, v4, v3
	v_mov_b32_e32 v5, 0
	v_lshlrev_b64 v[4:5], 2, v[4:5]
	s_waitcnt lgkmcnt(0)
	v_mov_b32_e32 v6, s13
	v_add_co_u32_e64 v4, s[6:7], s12, v4
	v_addc_co_u32_e64 v5, s[6:7], v6, v5, s[6:7]
	global_store_dword v[4:5], v31, off
.LBB119_41:
	s_or_b64 exec, exec, s[14:15]
	v_add3_u32 v4, v36, s11, 32
	v_cmp_gt_u32_e64 s[6:7], s8, v4
	s_and_b64 exec, exec, s[6:7]
	s_cbranch_execz .LBB119_65
; %bb.42:
	v_mul_lo_u32 v4, v4, s10
	s_and_saveexec_b64 s[14:15], vcc
	s_cbranch_execnz .LBB119_75
; %bb.43:
	s_or_b64 exec, exec, s[14:15]
	s_and_saveexec_b64 s[14:15], s[0:1]
	s_cbranch_execnz .LBB119_76
.LBB119_44:
	s_or_b64 exec, exec, s[14:15]
	s_and_saveexec_b64 s[14:15], s[2:3]
	s_cbranch_execnz .LBB119_77
.LBB119_45:
	s_or_b64 exec, exec, s[14:15]
	s_and_saveexec_b64 s[14:15], s[4:5]
	s_cbranch_execz .LBB119_47
.LBB119_46:
	v_add_u32_e32 v4, v4, v3
	v_mov_b32_e32 v5, 0
	v_lshlrev_b64 v[4:5], 2, v[4:5]
	s_waitcnt lgkmcnt(0)
	v_mov_b32_e32 v6, s13
	v_add_co_u32_e64 v4, s[6:7], s12, v4
	v_addc_co_u32_e64 v5, s[6:7], v6, v5, s[6:7]
	global_store_dword v[4:5], v27, off
.LBB119_47:
	s_or_b64 exec, exec, s[14:15]
	v_add3_u32 v4, v36, s11, 40
	v_cmp_gt_u32_e64 s[6:7], s8, v4
	s_and_b64 exec, exec, s[6:7]
	s_cbranch_execz .LBB119_65
; %bb.48:
	v_mul_lo_u32 v4, v4, s10
	s_and_saveexec_b64 s[14:15], vcc
	s_cbranch_execnz .LBB119_78
; %bb.49:
	s_or_b64 exec, exec, s[14:15]
	s_and_saveexec_b64 s[14:15], s[0:1]
	s_cbranch_execnz .LBB119_79
.LBB119_50:
	s_or_b64 exec, exec, s[14:15]
	s_and_saveexec_b64 s[14:15], s[2:3]
	s_cbranch_execnz .LBB119_80
.LBB119_51:
	s_or_b64 exec, exec, s[14:15]
	s_and_saveexec_b64 s[14:15], s[4:5]
	s_cbranch_execz .LBB119_53
.LBB119_52:
	v_add_u32_e32 v4, v4, v3
	v_mov_b32_e32 v5, 0
	v_lshlrev_b64 v[4:5], 2, v[4:5]
	s_waitcnt lgkmcnt(0)
	v_mov_b32_e32 v6, s13
	v_add_co_u32_e64 v4, s[6:7], s12, v4
	v_addc_co_u32_e64 v5, s[6:7], v6, v5, s[6:7]
	global_store_dword v[4:5], v23, off
.LBB119_53:
	s_or_b64 exec, exec, s[14:15]
	v_add3_u32 v4, v36, s11, 48
	v_cmp_gt_u32_e64 s[6:7], s8, v4
	s_and_b64 exec, exec, s[6:7]
	s_cbranch_execz .LBB119_65
; %bb.54:
	v_mul_lo_u32 v4, v4, s10
	s_and_saveexec_b64 s[14:15], vcc
	s_cbranch_execnz .LBB119_81
; %bb.55:
	s_or_b64 exec, exec, s[14:15]
	s_and_saveexec_b64 s[14:15], s[0:1]
	s_cbranch_execnz .LBB119_82
.LBB119_56:
	s_or_b64 exec, exec, s[14:15]
	s_and_saveexec_b64 s[14:15], s[2:3]
	s_cbranch_execnz .LBB119_83
.LBB119_57:
	s_or_b64 exec, exec, s[14:15]
	s_and_saveexec_b64 s[14:15], s[4:5]
	s_cbranch_execz .LBB119_59
.LBB119_58:
	v_add_u32_e32 v4, v4, v3
	v_mov_b32_e32 v5, 0
	v_lshlrev_b64 v[4:5], 2, v[4:5]
	s_waitcnt lgkmcnt(0)
	v_mov_b32_e32 v6, s13
	v_add_co_u32_e64 v4, s[6:7], s12, v4
	v_addc_co_u32_e64 v5, s[6:7], v6, v5, s[6:7]
	global_store_dword v[4:5], v19, off
.LBB119_59:
	s_or_b64 exec, exec, s[14:15]
	v_add3_u32 v4, v36, s11, 56
	v_cmp_gt_u32_e64 s[6:7], s8, v4
	s_and_b64 exec, exec, s[6:7]
	s_cbranch_execz .LBB119_65
; %bb.60:
	v_mul_lo_u32 v4, v4, s10
	s_and_saveexec_b64 s[6:7], vcc
	s_cbranch_execnz .LBB119_84
; %bb.61:
	s_or_b64 exec, exec, s[6:7]
	s_and_saveexec_b64 s[6:7], s[0:1]
	s_cbranch_execnz .LBB119_85
.LBB119_62:
	s_or_b64 exec, exec, s[6:7]
	s_and_saveexec_b64 s[0:1], s[2:3]
	s_cbranch_execnz .LBB119_86
.LBB119_63:
	s_or_b64 exec, exec, s[0:1]
	s_and_b64 exec, exec, s[4:5]
	s_cbranch_execz .LBB119_65
.LBB119_64:
	v_add_u32_e32 v0, v4, v3
	v_mov_b32_e32 v1, 0
	v_lshlrev_b64 v[0:1], 2, v[0:1]
	s_waitcnt lgkmcnt(0)
	v_mov_b32_e32 v2, s13
	v_add_co_u32_e32 v0, vcc, s12, v0
	v_addc_co_u32_e32 v1, vcc, v2, v1, vcc
	global_store_dword v[0:1], v15, off
.LBB119_65:
	s_endpgm
.LBB119_66:
	v_add_u32_e32 v5, v4, v0
	v_mov_b32_e32 v6, 0
	v_lshlrev_b64 v[5:6], 2, v[5:6]
	s_waitcnt lgkmcnt(0)
	v_mov_b32_e32 v7, s13
	v_add_co_u32_e64 v5, s[6:7], s12, v5
	v_addc_co_u32_e64 v6, s[6:7], v7, v6, s[6:7]
	global_store_dword v[5:6], v51, off
	s_or_b64 exec, exec, s[14:15]
	s_and_saveexec_b64 s[14:15], s[0:1]
	s_cbranch_execz .LBB119_26
.LBB119_67:
	v_add_u32_e32 v5, v4, v1
	v_mov_b32_e32 v6, 0
	v_lshlrev_b64 v[5:6], 2, v[5:6]
	s_waitcnt lgkmcnt(0)
	v_mov_b32_e32 v7, s13
	v_add_co_u32_e64 v5, s[6:7], s12, v5
	v_addc_co_u32_e64 v6, s[6:7], v7, v6, s[6:7]
	global_store_dword v[5:6], v43, off
	s_or_b64 exec, exec, s[14:15]
	s_and_saveexec_b64 s[14:15], s[2:3]
	s_cbranch_execz .LBB119_27
.LBB119_68:
	v_add_u32_e32 v5, v4, v2
	v_mov_b32_e32 v6, 0
	v_lshlrev_b64 v[5:6], 2, v[5:6]
	s_waitcnt lgkmcnt(0)
	v_mov_b32_e32 v7, s13
	v_add_co_u32_e64 v5, s[6:7], s12, v5
	v_addc_co_u32_e64 v6, s[6:7], v7, v6, s[6:7]
	global_store_dword v[5:6], v42, off
	s_or_b64 exec, exec, s[14:15]
	s_and_saveexec_b64 s[14:15], s[4:5]
	s_cbranch_execnz .LBB119_28
	s_branch .LBB119_29
.LBB119_69:
	v_add_u32_e32 v5, v4, v0
	v_mov_b32_e32 v6, 0
	v_lshlrev_b64 v[5:6], 2, v[5:6]
	s_waitcnt lgkmcnt(0)
	v_mov_b32_e32 v7, s13
	v_add_co_u32_e64 v5, s[6:7], s12, v5
	v_addc_co_u32_e64 v6, s[6:7], v7, v6, s[6:7]
	global_store_dword v[5:6], v40, off
	s_or_b64 exec, exec, s[14:15]
	s_and_saveexec_b64 s[14:15], s[0:1]
	s_cbranch_execz .LBB119_32
.LBB119_70:
	v_add_u32_e32 v5, v4, v1
	v_mov_b32_e32 v6, 0
	v_lshlrev_b64 v[5:6], 2, v[5:6]
	s_waitcnt lgkmcnt(0)
	v_mov_b32_e32 v7, s13
	v_add_co_u32_e64 v5, s[6:7], s12, v5
	v_addc_co_u32_e64 v6, s[6:7], v7, v6, s[6:7]
	global_store_dword v[5:6], v39, off
	s_or_b64 exec, exec, s[14:15]
	s_and_saveexec_b64 s[14:15], s[2:3]
	s_cbranch_execz .LBB119_33
.LBB119_71:
	v_add_u32_e32 v5, v4, v2
	v_mov_b32_e32 v6, 0
	v_lshlrev_b64 v[5:6], 2, v[5:6]
	s_waitcnt lgkmcnt(0)
	v_mov_b32_e32 v7, s13
	v_add_co_u32_e64 v5, s[6:7], s12, v5
	v_addc_co_u32_e64 v6, s[6:7], v7, v6, s[6:7]
	global_store_dword v[5:6], v37, off
	s_or_b64 exec, exec, s[14:15]
	s_and_saveexec_b64 s[14:15], s[4:5]
	s_cbranch_execnz .LBB119_34
	s_branch .LBB119_35
.LBB119_72:
	v_add_u32_e32 v5, v4, v0
	v_mov_b32_e32 v6, 0
	v_lshlrev_b64 v[5:6], 2, v[5:6]
	s_waitcnt lgkmcnt(0)
	v_mov_b32_e32 v7, s13
	v_add_co_u32_e64 v5, s[6:7], s12, v5
	v_addc_co_u32_e64 v6, s[6:7], v7, v6, s[6:7]
	global_store_dword v[5:6], v34, off
	s_or_b64 exec, exec, s[14:15]
	s_and_saveexec_b64 s[14:15], s[0:1]
	s_cbranch_execz .LBB119_38
.LBB119_73:
	v_add_u32_e32 v5, v4, v1
	v_mov_b32_e32 v6, 0
	v_lshlrev_b64 v[5:6], 2, v[5:6]
	s_waitcnt lgkmcnt(0)
	v_mov_b32_e32 v7, s13
	v_add_co_u32_e64 v5, s[6:7], s12, v5
	v_addc_co_u32_e64 v6, s[6:7], v7, v6, s[6:7]
	global_store_dword v[5:6], v33, off
	s_or_b64 exec, exec, s[14:15]
	s_and_saveexec_b64 s[14:15], s[2:3]
	s_cbranch_execz .LBB119_39
.LBB119_74:
	v_add_u32_e32 v5, v4, v2
	v_mov_b32_e32 v6, 0
	v_lshlrev_b64 v[5:6], 2, v[5:6]
	s_waitcnt lgkmcnt(0)
	v_mov_b32_e32 v7, s13
	v_add_co_u32_e64 v5, s[6:7], s12, v5
	v_addc_co_u32_e64 v6, s[6:7], v7, v6, s[6:7]
	global_store_dword v[5:6], v32, off
	s_or_b64 exec, exec, s[14:15]
	s_and_saveexec_b64 s[14:15], s[4:5]
	s_cbranch_execnz .LBB119_40
	s_branch .LBB119_41
.LBB119_75:
	v_add_u32_e32 v5, v4, v0
	v_mov_b32_e32 v6, 0
	v_lshlrev_b64 v[5:6], 2, v[5:6]
	s_waitcnt lgkmcnt(0)
	v_mov_b32_e32 v7, s13
	v_add_co_u32_e64 v5, s[6:7], s12, v5
	v_addc_co_u32_e64 v6, s[6:7], v7, v6, s[6:7]
	global_store_dword v[5:6], v30, off
	s_or_b64 exec, exec, s[14:15]
	s_and_saveexec_b64 s[14:15], s[0:1]
	s_cbranch_execz .LBB119_44
.LBB119_76:
	v_add_u32_e32 v5, v4, v1
	v_mov_b32_e32 v6, 0
	v_lshlrev_b64 v[5:6], 2, v[5:6]
	s_waitcnt lgkmcnt(0)
	v_mov_b32_e32 v7, s13
	v_add_co_u32_e64 v5, s[6:7], s12, v5
	v_addc_co_u32_e64 v6, s[6:7], v7, v6, s[6:7]
	global_store_dword v[5:6], v29, off
	s_or_b64 exec, exec, s[14:15]
	s_and_saveexec_b64 s[14:15], s[2:3]
	s_cbranch_execz .LBB119_45
.LBB119_77:
	v_add_u32_e32 v5, v4, v2
	v_mov_b32_e32 v6, 0
	v_lshlrev_b64 v[5:6], 2, v[5:6]
	s_waitcnt lgkmcnt(0)
	v_mov_b32_e32 v7, s13
	v_add_co_u32_e64 v5, s[6:7], s12, v5
	v_addc_co_u32_e64 v6, s[6:7], v7, v6, s[6:7]
	global_store_dword v[5:6], v28, off
	s_or_b64 exec, exec, s[14:15]
	s_and_saveexec_b64 s[14:15], s[4:5]
	s_cbranch_execnz .LBB119_46
	s_branch .LBB119_47
.LBB119_78:
	v_add_u32_e32 v5, v4, v0
	v_mov_b32_e32 v6, 0
	v_lshlrev_b64 v[5:6], 2, v[5:6]
	s_waitcnt lgkmcnt(0)
	v_mov_b32_e32 v7, s13
	v_add_co_u32_e64 v5, s[6:7], s12, v5
	v_addc_co_u32_e64 v6, s[6:7], v7, v6, s[6:7]
	global_store_dword v[5:6], v26, off
	s_or_b64 exec, exec, s[14:15]
	s_and_saveexec_b64 s[14:15], s[0:1]
	s_cbranch_execz .LBB119_50
.LBB119_79:
	v_add_u32_e32 v5, v4, v1
	v_mov_b32_e32 v6, 0
	v_lshlrev_b64 v[5:6], 2, v[5:6]
	s_waitcnt lgkmcnt(0)
	v_mov_b32_e32 v7, s13
	v_add_co_u32_e64 v5, s[6:7], s12, v5
	v_addc_co_u32_e64 v6, s[6:7], v7, v6, s[6:7]
	global_store_dword v[5:6], v25, off
	s_or_b64 exec, exec, s[14:15]
	s_and_saveexec_b64 s[14:15], s[2:3]
	s_cbranch_execz .LBB119_51
.LBB119_80:
	v_add_u32_e32 v5, v4, v2
	v_mov_b32_e32 v6, 0
	v_lshlrev_b64 v[5:6], 2, v[5:6]
	s_waitcnt lgkmcnt(0)
	v_mov_b32_e32 v7, s13
	v_add_co_u32_e64 v5, s[6:7], s12, v5
	v_addc_co_u32_e64 v6, s[6:7], v7, v6, s[6:7]
	global_store_dword v[5:6], v24, off
	s_or_b64 exec, exec, s[14:15]
	s_and_saveexec_b64 s[14:15], s[4:5]
	s_cbranch_execnz .LBB119_52
	s_branch .LBB119_53
.LBB119_81:
	v_add_u32_e32 v5, v4, v0
	v_mov_b32_e32 v6, 0
	v_lshlrev_b64 v[5:6], 2, v[5:6]
	s_waitcnt lgkmcnt(0)
	v_mov_b32_e32 v7, s13
	v_add_co_u32_e64 v5, s[6:7], s12, v5
	v_addc_co_u32_e64 v6, s[6:7], v7, v6, s[6:7]
	global_store_dword v[5:6], v22, off
	s_or_b64 exec, exec, s[14:15]
	s_and_saveexec_b64 s[14:15], s[0:1]
	s_cbranch_execz .LBB119_56
.LBB119_82:
	v_add_u32_e32 v5, v4, v1
	v_mov_b32_e32 v6, 0
	v_lshlrev_b64 v[5:6], 2, v[5:6]
	s_waitcnt lgkmcnt(0)
	v_mov_b32_e32 v7, s13
	v_add_co_u32_e64 v5, s[6:7], s12, v5
	v_addc_co_u32_e64 v6, s[6:7], v7, v6, s[6:7]
	global_store_dword v[5:6], v21, off
	s_or_b64 exec, exec, s[14:15]
	s_and_saveexec_b64 s[14:15], s[2:3]
	s_cbranch_execz .LBB119_57
.LBB119_83:
	v_add_u32_e32 v5, v4, v2
	v_mov_b32_e32 v6, 0
	v_lshlrev_b64 v[5:6], 2, v[5:6]
	s_waitcnt lgkmcnt(0)
	v_mov_b32_e32 v7, s13
	v_add_co_u32_e64 v5, s[6:7], s12, v5
	v_addc_co_u32_e64 v6, s[6:7], v7, v6, s[6:7]
	global_store_dword v[5:6], v20, off
	s_or_b64 exec, exec, s[14:15]
	s_and_saveexec_b64 s[14:15], s[4:5]
	s_cbranch_execnz .LBB119_58
	s_branch .LBB119_59
.LBB119_84:
	v_add_u32_e32 v5, v4, v0
	v_mov_b32_e32 v6, 0
	v_lshlrev_b64 v[5:6], 2, v[5:6]
	s_waitcnt lgkmcnt(0)
	v_mov_b32_e32 v0, s13
	v_add_co_u32_e32 v5, vcc, s12, v5
	v_addc_co_u32_e32 v6, vcc, v0, v6, vcc
	global_store_dword v[5:6], v18, off
	s_or_b64 exec, exec, s[6:7]
	s_and_saveexec_b64 s[6:7], s[0:1]
	s_cbranch_execz .LBB119_62
.LBB119_85:
	v_add_u32_e32 v0, v4, v1
	v_mov_b32_e32 v1, 0
	v_lshlrev_b64 v[0:1], 2, v[0:1]
	s_waitcnt lgkmcnt(0)
	v_mov_b32_e32 v5, s13
	v_add_co_u32_e32 v0, vcc, s12, v0
	v_addc_co_u32_e32 v1, vcc, v5, v1, vcc
	global_store_dword v[0:1], v17, off
	s_or_b64 exec, exec, s[6:7]
	s_and_saveexec_b64 s[0:1], s[2:3]
	s_cbranch_execz .LBB119_63
.LBB119_86:
	v_add_u32_e32 v0, v4, v2
	v_mov_b32_e32 v1, 0
	v_lshlrev_b64 v[0:1], 2, v[0:1]
	s_waitcnt lgkmcnt(0)
	v_mov_b32_e32 v2, s13
	v_add_co_u32_e32 v0, vcc, s12, v0
	v_addc_co_u32_e32 v1, vcc, v2, v1, vcc
	global_store_dword v[0:1], v16, off
	s_or_b64 exec, exec, s[0:1]
	s_and_b64 exec, exec, s[4:5]
	s_cbranch_execnz .LBB119_64
	s_branch .LBB119_65
	.section	.rodata,"a",@progbits
	.p2align	6, 0x0
	.amdhsa_kernel _ZL12mul_mat_q4_1IfLb0EEvPKvS1_PT_iiiii
		.amdhsa_group_segment_fixed_size 30336
		.amdhsa_private_segment_fixed_size 116
		.amdhsa_kernarg_size 44
		.amdhsa_user_sgpr_count 6
		.amdhsa_user_sgpr_private_segment_buffer 1
		.amdhsa_user_sgpr_dispatch_ptr 0
		.amdhsa_user_sgpr_queue_ptr 0
		.amdhsa_user_sgpr_kernarg_segment_ptr 1
		.amdhsa_user_sgpr_dispatch_id 0
		.amdhsa_user_sgpr_flat_scratch_init 0
		.amdhsa_user_sgpr_private_segment_size 0
		.amdhsa_uses_dynamic_stack 0
		.amdhsa_system_sgpr_private_segment_wavefront_offset 1
		.amdhsa_system_sgpr_workgroup_id_x 1
		.amdhsa_system_sgpr_workgroup_id_y 1
		.amdhsa_system_sgpr_workgroup_id_z 0
		.amdhsa_system_sgpr_workgroup_info 0
		.amdhsa_system_vgpr_workitem_id 1
		.amdhsa_next_free_vgpr 128
		.amdhsa_next_free_sgpr 98
		.amdhsa_reserve_vcc 1
		.amdhsa_reserve_flat_scratch 0
		.amdhsa_float_round_mode_32 0
		.amdhsa_float_round_mode_16_64 0
		.amdhsa_float_denorm_mode_32 3
		.amdhsa_float_denorm_mode_16_64 3
		.amdhsa_dx10_clamp 1
		.amdhsa_ieee_mode 1
		.amdhsa_fp16_overflow 0
		.amdhsa_exception_fp_ieee_invalid_op 0
		.amdhsa_exception_fp_denorm_src 0
		.amdhsa_exception_fp_ieee_div_zero 0
		.amdhsa_exception_fp_ieee_overflow 0
		.amdhsa_exception_fp_ieee_underflow 0
		.amdhsa_exception_fp_ieee_inexact 0
		.amdhsa_exception_int_div_zero 0
	.end_amdhsa_kernel
	.section	.text._ZL12mul_mat_q4_1IfLb0EEvPKvS1_PT_iiiii,"axG",@progbits,_ZL12mul_mat_q4_1IfLb0EEvPKvS1_PT_iiiii,comdat
.Lfunc_end119:
	.size	_ZL12mul_mat_q4_1IfLb0EEvPKvS1_PT_iiiii, .Lfunc_end119-_ZL12mul_mat_q4_1IfLb0EEvPKvS1_PT_iiiii
                                        ; -- End function
	.set _ZL12mul_mat_q4_1IfLb0EEvPKvS1_PT_iiiii.num_vgpr, 128
	.set _ZL12mul_mat_q4_1IfLb0EEvPKvS1_PT_iiiii.num_agpr, 0
	.set _ZL12mul_mat_q4_1IfLb0EEvPKvS1_PT_iiiii.numbered_sgpr, 24
	.set _ZL12mul_mat_q4_1IfLb0EEvPKvS1_PT_iiiii.num_named_barrier, 0
	.set _ZL12mul_mat_q4_1IfLb0EEvPKvS1_PT_iiiii.private_seg_size, 116
	.set _ZL12mul_mat_q4_1IfLb0EEvPKvS1_PT_iiiii.uses_vcc, 1
	.set _ZL12mul_mat_q4_1IfLb0EEvPKvS1_PT_iiiii.uses_flat_scratch, 0
	.set _ZL12mul_mat_q4_1IfLb0EEvPKvS1_PT_iiiii.has_dyn_sized_stack, 0
	.set _ZL12mul_mat_q4_1IfLb0EEvPKvS1_PT_iiiii.has_recursion, 0
	.set _ZL12mul_mat_q4_1IfLb0EEvPKvS1_PT_iiiii.has_indirect_call, 0
	.section	.AMDGPU.csdata,"",@progbits
; Kernel info:
; codeLenInByte = 13040
; TotalNumSgprs: 28
; NumVgprs: 128
; ScratchSize: 116
; MemoryBound: 0
; FloatMode: 240
; IeeeMode: 1
; LDSByteSize: 30336 bytes/workgroup (compile time only)
; SGPRBlocks: 12
; VGPRBlocks: 31
; NumSGPRsForWavesPerEU: 102
; NumVGPRsForWavesPerEU: 128
; Occupancy: 2
; WaveLimiterHint : 0
; COMPUTE_PGM_RSRC2:SCRATCH_EN: 1
; COMPUTE_PGM_RSRC2:USER_SGPR: 6
; COMPUTE_PGM_RSRC2:TRAP_HANDLER: 0
; COMPUTE_PGM_RSRC2:TGID_X_EN: 1
; COMPUTE_PGM_RSRC2:TGID_Y_EN: 1
; COMPUTE_PGM_RSRC2:TGID_Z_EN: 0
; COMPUTE_PGM_RSRC2:TIDIG_COMP_CNT: 1
	.section	.text._ZL12mul_mat_q4_1IfLb1EEvPKvS1_PT_iiiii,"axG",@progbits,_ZL12mul_mat_q4_1IfLb1EEvPKvS1_PT_iiiii,comdat
	.globl	_ZL12mul_mat_q4_1IfLb1EEvPKvS1_PT_iiiii ; -- Begin function _ZL12mul_mat_q4_1IfLb1EEvPKvS1_PT_iiiii
	.p2align	8
	.type	_ZL12mul_mat_q4_1IfLb1EEvPKvS1_PT_iiiii,@function
_ZL12mul_mat_q4_1IfLb1EEvPKvS1_PT_iiiii: ; @_ZL12mul_mat_q4_1IfLb1EEvPKvS1_PT_iiiii
; %bb.0:
	s_mov_b64 s[22:23], s[2:3]
	s_mov_b64 s[20:21], s[0:1]
	s_add_u32 s20, s20, s8
	s_addc_u32 s21, s21, 0
	buffer_store_dword v0, off, s[20:23], 0 offset:72 ; 4-byte Folded Spill
	s_load_dwordx4 s[8:11], s[4:5], 0x18
	s_load_dword s14, s[4:5], 0x28
	s_lshl_b32 s15, s7, 6
	v_add_u32_e32 v50, s15, v1
	buffer_store_dword v1, off, s[20:23], 0 offset:172 ; 4-byte Folded Spill
	s_waitcnt lgkmcnt(0)
	s_cmp_gt_i32 s8, 31
	s_cbranch_scc1 .LBB120_2
; %bb.1:
	buffer_load_dword v0, off, s[20:23], 0 offset:172 ; 4-byte Folded Reload
	s_mov_b64 s[0:1], 0
	s_waitcnt vmcnt(0)
	v_add_u32_e32 v0, s15, v0
	s_branch .LBB120_3
.LBB120_2:
	s_mov_b64 s[0:1], -1
                                        ; implicit-def: $vgpr0
.LBB120_3:
	s_load_dwordx2 s[12:13], s[4:5], 0x10
	s_lshl_b32 s6, s6, 7
	v_mov_b32_e32 v31, 0
	s_andn2_b64 vcc, exec, s[0:1]
	v_mov_b32_e32 v35, 0
	v_mov_b32_e32 v39, 0
	;; [unrolled: 1-line block ×31, first 2 shown]
	s_cbranch_vccnz .LBB120_15
; %bb.4:
	buffer_load_dword v41, off, s[20:23], 0 offset:72 ; 4-byte Folded Reload
	buffer_load_dword v2, off, s[20:23], 0 offset:172 ; 4-byte Folded Reload
	s_load_dwordx4 s[0:3], s[4:5], 0x0
	s_ashr_i32 s4, s8, 31
	s_lshr_b32 s4, s4, 27
	s_ashr_i32 s5, s11, 31
	s_add_i32 s4, s8, s4
	s_lshr_b32 s5, s5, 27
	s_ashr_i32 s4, s4, 5
	s_add_i32 s5, s11, s5
	s_ashr_i32 s11, s5, 5
	s_mul_i32 s5, s4, s6
	s_mul_hi_i32 s7, s5, 20
	s_mul_i32 s5, s5, 20
	s_waitcnt lgkmcnt(0)
	s_add_u32 s5, s0, s5
	s_addc_u32 s7, s1, s7
	s_not_b32 s0, s6
	s_add_i32 s1, s9, s0
	s_movk_i32 s0, 0x84
	v_add_u32_e32 v7, 16, v50
	v_cvt_f64_u32_e32 v[7:8], v7
	v_mov_b32_e32 v52, 0
	v_mov_b32_e32 v74, 0
	v_mov_b32_e32 v56, 0
	v_mov_b32_e32 v51, 0
	v_mov_b32_e32 v46, 0
	v_mov_b32_e32 v88, 0
	v_mov_b32_e32 v68, 0
	v_mov_b32_e32 v55, 0
	v_mov_b32_e32 v49, 0
	v_mov_b32_e32 v45, 0
	v_mov_b32_e32 v85, 0
	v_mov_b32_e32 v63, 0
	v_mov_b32_e32 v54, 0
	v_mov_b32_e32 v48, 0
	v_mov_b32_e32 v82, 0
	v_mov_b32_e32 v58, 0
	v_mov_b32_e32 v53, 0
	v_mov_b32_e32 v47, 0
	s_waitcnt vmcnt(1)
	v_lshlrev_b32_e32 v0, 2, v41
	s_waitcnt vmcnt(0)
	v_min_i32_e32 v1, s1, v2
	v_add_u32_e32 v9, 8, v2
	v_mul_lo_u32 v61, v1, s4
	v_mad_u64_u32 v[66:67], s[8:9], v1, s0, v[0:1]
	v_min_i32_e32 v1, s1, v9
	v_add_u32_e32 v10, 16, v2
	v_mul_lo_u32 v64, v1, s4
	v_mad_u64_u32 v[15:16], s[8:9], v1, s0, v[0:1]
	;; [unrolled: 4-line block ×3, first 2 shown]
	v_min_i32_e32 v1, s1, v13
	v_add_u32_e32 v14, 32, v2
	v_mov_b32_e32 v42, v2
	v_mul_lo_u32 v17, v1, s4
	v_mad_u64_u32 v[69:70], s[8:9], v1, s0, v[0:1]
	v_min_i32_e32 v1, s1, v14
	v_add_u32_e32 v27, 40, v42
	v_mul_lo_u32 v70, v1, s4
	v_mad_u64_u32 v[18:19], s[8:9], v1, s0, v[0:1]
	v_min_i32_e32 v1, s1, v27
	v_add_u32_e32 v28, 48, v42
	;; [unrolled: 4-line block ×3, first 2 shown]
	v_mul_lo_u32 v72, v1, s4
	v_mad_u64_u32 v[19:20], s[8:9], v1, s0, v[0:1]
	v_min_i32_e32 v1, s1, v29
	v_mul_lo_u32 v20, v1, s4
	v_mad_u64_u32 v[21:22], s[8:9], v1, s0, v[0:1]
	v_add_u32_e32 v1, 64, v42
	v_min_i32_e32 v1, s1, v1
	v_mul_lo_u32 v73, v1, s4
	v_mad_u64_u32 v[75:76], s[8:9], v1, s0, v[0:1]
	v_add_u32_e32 v1, 0x48, v42
	;; [unrolled: 4-line block ×8, first 2 shown]
	v_min_i32_e32 v1, s1, v1
	v_mul_lo_u32 v113, v1, s4
	v_mad_u64_u32 v[79:80], s[8:9], v1, s0, v[0:1]
	v_lshrrev_b32_e32 v1, 3, v41
	buffer_store_dword v1, off, s[20:23], 0 offset:84 ; 4-byte Folded Spill
	v_lshl_add_u32 v1, v42, 2, v1
	v_min_i32_e32 v2, s1, v1
	v_ashrrev_i32_e32 v3, 31, v2
	v_lshrrev_b32_e32 v3, 30, v3
	v_and_b32_e32 v114, 7, v41
	v_mul_lo_u32 v81, v2, s4
	v_add_u32_e32 v3, v2, v3
	v_lshlrev_b32_e32 v30, 5, v2
	v_add_u32_e32 v2, 32, v1
	v_and_b32_e32 v3, -4, v3
	v_lshlrev_b32_e32 v4, 2, v114
	s_movk_i32 s8, 0x6200
	v_min_i32_e32 v2, s1, v2
	v_add3_u32 v26, v3, v4, s8
	v_ashrrev_i32_e32 v3, 31, v2
	v_lshrrev_b32_e32 v3, 30, v3
	v_mul_lo_u32 v60, v2, s4
	v_add_u32_e32 v3, v2, v3
	v_lshlrev_b32_e32 v32, 5, v2
	v_add_u32_e32 v2, 64, v1
	v_and_b32_e32 v3, -4, v3
	v_min_i32_e32 v2, s1, v2
	v_add3_u32 v31, v3, v4, s8
	v_ashrrev_i32_e32 v3, 31, v2
	v_add_u32_e32 v1, 0x60, v1
	v_lshrrev_b32_e32 v3, 30, v3
	v_min_i32_e32 v1, s1, v1
	v_mul_lo_u32 v65, v2, s4
	v_add_u32_e32 v3, v2, v3
	v_lshlrev_b32_e32 v34, 5, v2
	v_ashrrev_i32_e32 v2, 31, v1
	v_lshrrev_b32_e32 v2, 30, v2
	v_and_b32_e32 v3, -4, v3
	v_add_u32_e32 v2, v1, v2
	v_lshrrev_b32_e32 v57, 2, v41
	v_and_b32_e32 v59, 12, v0
	v_add3_u32 v33, v3, v4, s8
	v_and_b32_e32 v2, -4, v2
	s_add_i32 s1, s10, -1
	v_and_b32_e32 v3, 31, v41
	v_and_b32_e32 v37, 28, v0
	v_mov_b32_e32 v0, 0x4200
	v_mul_lo_u32 v80, v1, s4
	v_add3_u32 v35, v2, v4, s8
	v_lshlrev_b32_e32 v36, 5, v1
	v_cvt_f64_i32_e32 v[1:2], s1
	v_lshl_or_b32 v43, v3, 2, v0
	v_lshl_add_u32 v0, v42, 3, v57
	v_cvt_f64_u32_e32 v[3:4], v50
	v_and_b32_e32 v11, 63, v0
	v_or_b32_e32 v5, s15, v11
	v_min_i32_e32 v12, s1, v5
	v_add_u32_e32 v5, 8, v50
	v_cvt_f64_u32_e32 v[5:6], v5
	v_min_f64 v[3:4], v[3:4], v[1:2]
	v_and_b32_e32 v0, 3, v41
	v_mad_u64_u32 v[38:39], s[8:9], v12, s11, v[0:1]
	v_min_f64 v[5:6], v[5:6], v[1:2]
	v_min_f64 v[7:8], v[7:8], v[1:2]
	v_lshlrev_b32_e32 v0, 2, v0
	v_lshl_or_b32 v0, v11, 4, v0
	v_cvt_i32_f64_e32 v3, v[3:4]
	v_add_u32_e32 v0, 0x7280, v0
	buffer_store_dword v38, off, s[20:23], 0 offset:104 ; 4-byte Folded Spill
	s_nop 0
	buffer_store_dword v39, off, s[20:23], 0 offset:108 ; 4-byte Folded Spill
	buffer_store_dword v0, off, s[20:23], 0 ; 4-byte Folded Spill
	v_cvt_i32_f64_e32 v0, v[5:6]
	v_mul_lo_u32 v3, s11, v3
	v_lshlrev_b32_e32 v38, 7, v9
	v_lshlrev_b32_e32 v39, 7, v10
	v_mul_lo_u32 v0, s11, v0
	buffer_store_dword v3, off, s[20:23], 0 offset:4 ; 4-byte Folded Spill
	v_cvt_i32_f64_e32 v3, v[7:8]
	v_lshlrev_b32_e32 v44, 7, v42
	buffer_store_dword v0, off, s[20:23], 0 offset:8 ; 4-byte Folded Spill
	buffer_store_dword v50, off, s[20:23], 0 offset:176 ; 4-byte Folded Spill
	v_mul_lo_u32 v0, s11, v3
	s_add_i32 s8, s4, 3
	s_mov_b32 s9, 0
	buffer_store_dword v0, off, s[20:23], 0 offset:12 ; 4-byte Folded Spill
	v_add_u32_e32 v0, 24, v50
	v_cvt_f64_u32_e32 v[3:4], v0
	v_add_u32_e32 v0, 32, v50
	v_cvt_f64_u32_e32 v[5:6], v0
	v_add_u32_e32 v0, 40, v50
	v_min_f64 v[3:4], v[3:4], v[1:2]
	v_cvt_f64_u32_e32 v[7:8], v0
	v_add_u32_e32 v0, 48, v50
	v_cvt_f64_u32_e32 v[9:10], v0
	v_min_f64 v[5:6], v[5:6], v[1:2]
	v_min_f64 v[7:8], v[7:8], v[1:2]
	v_add_u32_e32 v0, 56, v50
	v_cvt_f64_u32_e32 v[11:12], v0
	v_cvt_i32_f64_e32 v40, v[3:4]
	v_min_f64 v[3:4], v[9:10], v[1:2]
	v_min_f64 v[0:1], v[11:12], v[1:2]
	v_cvt_i32_f64_e32 v5, v[5:6]
	v_cvt_i32_f64_e32 v6, v[7:8]
	v_add_u32_e32 v7, 0x60, v41
	v_and_b32_e32 v7, 0x1fc, v7
	v_mul_lo_u32 v2, s11, v40
	v_cvt_i32_f64_e32 v3, v[3:4]
	v_mul_lo_u32 v4, s11, v6
	v_cvt_i32_f64_e32 v0, v[0:1]
	v_lshlrev_b32_e32 v1, 7, v27
	v_mul_lo_u32 v3, s11, v3
	buffer_store_dword v4, off, s[20:23], 0 offset:24 ; 4-byte Folded Spill
	v_add_u32_e32 v4, 32, v41
	v_lshrrev_b32_e32 v8, 3, v4
	buffer_store_dword v8, off, s[20:23], 0 offset:148 ; 4-byte Folded Spill
	v_mov_b32_e32 v8, s3
	v_add_co_u32_e32 v27, vcc, s2, v37
	buffer_store_dword v3, off, s[20:23], 0 offset:28 ; 4-byte Folded Spill
	v_lshlrev_b32_e32 v3, 7, v28
	v_add_u32_e32 v6, 64, v41
	v_addc_co_u32_e32 v28, vcc, 0, v8, vcc
	v_lshlrev_b32_e32 v8, 5, v41
	v_add_u32_e32 v7, v8, v7
	v_and_b32_e32 v6, 0x1fc, v6
	v_add_u32_e32 v9, 0x6e00, v7
	v_add_u32_e32 v6, v8, v6
	v_and_b32_e32 v4, 0x1fc, v4
	buffer_store_dword v9, off, s[20:23], 0 offset:116 ; 4-byte Folded Spill
	v_add_u32_e32 v9, 0x6a00, v6
	v_add_u32_e32 v4, v8, v4
	buffer_store_dword v9, off, s[20:23], 0 offset:120 ; 4-byte Folded Spill
	v_add_u32_e32 v9, 0x6600, v4
	buffer_store_dword v9, off, s[20:23], 0 offset:124 ; 4-byte Folded Spill
	v_and_b32_e32 v9, 0xfc, v41
	v_mul_lo_u32 v5, s11, v5
	v_mul_lo_u32 v0, s11, v0
	v_add_u32_e32 v8, v8, v9
	v_add_u32_e32 v9, 0x6200, v8
	buffer_store_dword v9, off, s[20:23], 0 offset:132 ; 4-byte Folded Spill
	v_mov_b32_e32 v9, 0x7280
	v_lshl_add_u32 v9, v42, 4, v9
	buffer_store_dword v2, off, s[20:23], 0 offset:16 ; 4-byte Folded Spill
	buffer_store_dword v5, off, s[20:23], 0 offset:20 ; 4-byte Folded Spill
	;; [unrolled: 1-line block ×5, first 2 shown]
	v_add_u32_e32 v9, 0x4200, v44
	v_lshlrev_b32_e32 v2, 7, v13
	buffer_store_dword v9, off, s[20:23], 0 offset:40 ; 4-byte Folded Spill
	v_mad_u32_u24 v9, v41, s0, 64
	v_lshlrev_b32_e32 v5, 7, v14
	buffer_store_dword v9, off, s[20:23], 0 offset:152 ; 4-byte Folded Spill
	v_add_u32_e32 v4, 0x6610, v4
	v_add_u32_e32 v9, v43, v38
	;; [unrolled: 1-line block ×4, first 2 shown]
	v_lshlrev_b32_e32 v0, 7, v29
	v_add_u32_e32 v7, 0x6e10, v7
	v_add_u32_e32 v6, 0x6a10, v6
	buffer_store_dword v4, off, s[20:23], 0 offset:164 ; 4-byte Folded Spill
	v_add_u32_e32 v4, 0x6210, v8
	buffer_store_dword v9, off, s[20:23], 0 offset:44 ; 4-byte Folded Spill
	;; [unrolled: 2-line block ×5, first 2 shown]
	buffer_store_dword v6, off, s[20:23], 0 offset:160 ; 4-byte Folded Spill
	buffer_store_dword v4, off, s[20:23], 0 offset:168 ; 4-byte Folded Spill
	v_add_u32_e32 v4, v26, v30
	v_add_u32_e32 v6, v31, v32
	;; [unrolled: 1-line block ×4, first 2 shown]
	buffer_store_dword v9, off, s[20:23], 0 offset:48 ; 4-byte Folded Spill
	buffer_store_dword v2, off, s[20:23], 0 offset:56 ; 4-byte Folded Spill
	;; [unrolled: 1-line block ×4, first 2 shown]
	v_add_u32_e32 v0, v43, v0
	v_mov_b32_e32 v42, 0
	v_mov_b32_e32 v38, 0
	;; [unrolled: 1-line block ×14, first 2 shown]
	buffer_store_dword v0, off, s[20:23], 0 offset:68 ; 4-byte Folded Spill
	buffer_store_dword v79, off, s[20:23], 0 offset:76 ; 4-byte Folded Spill
	s_nop 0
	buffer_store_dword v80, off, s[20:23], 0 offset:80 ; 4-byte Folded Spill
	buffer_store_dword v60, off, s[20:23], 0 offset:88 ; 4-byte Folded Spill
	;; [unrolled: 1-line block ×8, first 2 shown]
	s_branch .LBB120_7
.LBB120_5:                              ;   in Loop: Header=BB120_7 Depth=1
	v_mov_b32_e32 v57, v65
	buffer_load_dword v79, off, s[20:23], 0 offset:76 ; 4-byte Folded Reload
	buffer_load_dword v80, off, s[20:23], 0 offset:80 ; 4-byte Folded Reload
	;; [unrolled: 1-line block ×9, first 2 shown]
.LBB120_6:                              ;   in Loop: Header=BB120_7 Depth=1
	s_add_i32 s9, s9, 8
	s_add_i32 s8, s8, -8
	s_cmp_ge_i32 s9, s4
	s_cbranch_scc1 .LBB120_14
.LBB120_7:                              ; =>This Loop Header: Depth=1
                                        ;     Child Loop BB120_9 Depth 2
                                        ;     Child Loop BB120_12 Depth 2
	s_mul_i32 s0, s9, 20
	s_mul_hi_u32 s1, s9, 20
	s_add_u32 s0, s5, s0
	s_addc_u32 s1, s7, s1
	v_mad_u64_u32 v[2:3], s[16:17], v57, 20, s[0:1]
	s_cmp_gt_u32 s8, 3
	v_mad_i64_i32 v[0:1], s[16:17], v61, 20, v[2:3]
	v_add_co_u32_e32 v0, vcc, v0, v59
	v_addc_co_u32_e32 v1, vcc, 0, v1, vcc
	global_load_dword v0, v[0:1], off offset:4
	s_waitcnt vmcnt(0)
	ds_write_b32 v66, v0
	v_mad_i64_i32 v[0:1], s[16:17], v64, 20, v[2:3]
	v_add_co_u32_e32 v0, vcc, v0, v59
	v_addc_co_u32_e32 v1, vcc, 0, v1, vcc
	global_load_dword v0, v[0:1], off offset:4
	s_waitcnt vmcnt(0)
	ds_write_b32 v15, v0
	;; [unrolled: 6-line block ×16, first 2 shown]
	v_mad_u64_u32 v[0:1], s[0:1], v114, 20, s[0:1]
	v_mad_i64_i32 v[2:3], s[0:1], v81, 20, v[0:1]
	global_load_dword v2, v[2:3], off
	s_waitcnt vmcnt(0)
	ds_write_b32 v4, v2
	v_mad_i64_i32 v[2:3], s[0:1], v60, 20, v[0:1]
	global_load_dword v2, v[2:3], off
	s_waitcnt vmcnt(0)
	ds_write_b32 v6, v2
	v_mad_i64_i32 v[2:3], s[0:1], v65, 20, v[0:1]
	v_mad_i64_i32 v[0:1], s[0:1], v80, 20, v[0:1]
	global_load_dword v2, v[2:3], off
	s_nop 0
	global_load_dword v0, v[0:1], off
	s_waitcnt vmcnt(1)
	ds_write_b32 v7, v2
	s_waitcnt vmcnt(0)
	ds_write_b32 v8, v0
	s_cbranch_scc0 .LBB120_6
; %bb.8:                                ;   in Loop: Header=BB120_7 Depth=1
	buffer_load_dword v0, off, s[20:23], 0 offset:104 ; 4-byte Folded Reload
	buffer_load_dword v1, off, s[20:23], 0 offset:108 ; 4-byte Folded Reload
	v_mov_b32_e32 v65, v57
	s_waitcnt vmcnt(1)
	v_add_u32_e32 v122, s9, v0
	buffer_load_dword v0, off, s[20:23], 0 offset:84 ; 4-byte Folded Reload
	s_waitcnt vmcnt(0)
	v_add_u32_e32 v2, s9, v0
	buffer_load_dword v0, off, s[20:23], 0 offset:4 ; 4-byte Folded Reload
	s_waitcnt vmcnt(0)
	v_add_u32_e32 v0, v2, v0
	v_mad_i64_i32 v[0:1], s[0:1], v0, 36, v[27:28]
	global_load_dword v0, v[0:1], off offset:4
	s_nop 0
	buffer_load_dword v1, off, s[20:23], 0 offset:100 ; 4-byte Folded Reload
	buffer_load_dword v3, off, s[20:23], 0 offset:112 ; 4-byte Folded Reload
	s_waitcnt vmcnt(0)
	v_add_u32_e32 v123, v1, v3
	ds_write_b32 v123, v0
	buffer_load_dword v0, off, s[20:23], 0 offset:8 ; 4-byte Folded Reload
	s_waitcnt vmcnt(0)
	v_add_u32_e32 v0, v2, v0
	v_mad_i64_i32 v[0:1], s[0:1], v0, 36, v[27:28]
	global_load_dword v0, v[0:1], off offset:4
	s_nop 0
	buffer_load_dword v1, off, s[20:23], 0 offset:44 ; 4-byte Folded Reload
	s_waitcnt vmcnt(0)
	ds_write_b32 v1, v0
	buffer_load_dword v0, off, s[20:23], 0 offset:12 ; 4-byte Folded Reload
	s_waitcnt vmcnt(0)
	v_add_u32_e32 v0, v2, v0
	v_mad_i64_i32 v[0:1], s[0:1], v0, 36, v[27:28]
	global_load_dword v0, v[0:1], off offset:4
	s_nop 0
	buffer_load_dword v1, off, s[20:23], 0 offset:48 ; 4-byte Folded Reload
	s_waitcnt vmcnt(0)
	;; [unrolled: 9-line block ×7, first 2 shown]
	ds_write_b32 v1, v0
	v_mad_u64_u32 v[0:1], s[0:1], v122, 36, s[2:3]
	s_mov_b32 s0, -4
	global_load_dword v0, v[0:1], off
	s_nop 0
	buffer_load_dword v1, off, s[20:23], 0  ; 4-byte Folded Reload
	s_waitcnt vmcnt(0)
	ds_write_b32 v1, v0
	s_waitcnt lgkmcnt(0)
	s_barrier
	buffer_load_dword v124, off, s[20:23], 0 offset:40 ; 4-byte Folded Reload
	buffer_load_dword v125, off, s[20:23], 0 offset:36 ; 4-byte Folded Reload
	;; [unrolled: 1-line block ×7, first 2 shown]
	s_waitcnt vmcnt(0)
	v_mul_u32_u24_e32 v99, 0x84, v0
.LBB120_9:                              ;   Parent Loop BB120_7 Depth=1
                                        ; =>  This Inner Loop Header: Depth=2
	ds_read_b128 v[2:5], v124
	ds_read_b128 v[6:9], v124 offset:16
	ds_read2_b32 v[29:30], v125 offset1:32
	ds_read_b32 v106, v126
	ds_read2_b32 v[0:1], v99 offset1:1
	s_add_i32 s0, s0, 4
	v_add_u32_e32 v126, 4, v126
	s_cmp_lt_u32 s0, 12
	s_waitcnt lgkmcnt(1)
	v_pk_mul_f16 v12, v106, v30
	s_waitcnt lgkmcnt(0)
	v_and_b32_e32 v107, 0xf0f0f0f, v0
	v_lshrrev_b32_e32 v0, 4, v0
	v_and_b32_e32 v108, 0xf0f0f0f, v0
	v_dot4_i32_i8 v0, v107, v2, 0
	v_dot4_i32_i8 v0, v108, v6, v0
	v_and_b32_e32 v109, 0xf0f0f0f, v1
	v_lshrrev_b32_e32 v1, 4, v1
	v_and_b32_e32 v110, 0xf0f0f0f, v1
	v_dot4_i32_i8 v0, v109, v3, v0
	v_dot4_i32_i8 v10, v110, v7, v0
	ds_read2_b32 v[0:1], v99 offset0:2 offset1:3
	s_waitcnt lgkmcnt(0)
	v_and_b32_e32 v50, 0xf0f0f0f, v0
	v_lshrrev_b32_e32 v0, 4, v0
	v_and_b32_e32 v105, 0xf0f0f0f, v0
	v_dot4_i32_i8 v0, v50, v4, v10
	v_dot4_i32_i8 v0, v105, v8, v0
	v_and_b32_e32 v57, 0xf0f0f0f, v1
	v_lshrrev_b32_e32 v1, 4, v1
	v_and_b32_e32 v79, 0xf0f0f0f, v1
	v_dot4_i32_i8 v0, v57, v5, v0
	v_dot4_i32_i8 v0, v79, v9, v0
	v_cvt_f32_i32_e32 v0, v0
	v_pk_mul_f16 v1, v29, v106
	v_fma_mix_f32 v0, v1, v0, v1 op_sel:[0,0,1] op_sel_hi:[1,0,1]
	v_add_f32_e32 v52, v52, v0
	v_add_u32_e32 v0, 0x1080, v99
	ds_read_b32 v91, v127
	ds_read2_b32 v[0:1], v0 offset1:1
	v_add_u32_e32 v127, 4, v127
	s_waitcnt lgkmcnt(0)
	v_and_b32_e32 v103, 0xf0f0f0f, v1
	v_lshrrev_b32_e32 v1, 4, v1
	v_and_b32_e32 v87, 0xf0f0f0f, v1
	v_add_u32_e32 v1, 0x1088, v99
	ds_read2_b32 v[10:11], v1 offset1:1
	v_and_b32_e32 v80, 0xf0f0f0f, v0
	v_lshrrev_b32_e32 v0, 4, v0
	v_and_b32_e32 v102, 0xf0f0f0f, v0
	v_dot4_i32_i8 v0, v80, v2, 0
	v_dot4_i32_i8 v0, v102, v6, v0
	;; [unrolled: 1-line block ×4, first 2 shown]
	s_waitcnt lgkmcnt(0)
	v_and_b32_e32 v89, 0xf0f0f0f, v10
	v_lshrrev_b32_e32 v1, 4, v10
	v_and_b32_e32 v1, 0xf0f0f0f, v1
	v_dot4_i32_i8 v0, v89, v4, v0
	v_dot4_i32_i8 v0, v1, v8, v0
	v_and_b32_e32 v90, 0xf0f0f0f, v11
	v_lshrrev_b32_e32 v10, 4, v11
	v_and_b32_e32 v92, 0xf0f0f0f, v10
	v_dot4_i32_i8 v0, v90, v5, v0
	v_dot4_i32_i8 v0, v92, v9, v0
	v_cvt_f32_i32_e32 v0, v0
	v_pk_mul_f16 v10, v29, v91
	v_fma_mix_f32 v0, v10, v0, v10 op_sel:[0,0,1] op_sel_hi:[1,0,1]
	v_add_f32_e32 v88, v88, v0
	v_add_u32_e32 v0, 0x2100, v99
	ds_read_b32 v93, v101
	ds_read2_b32 v[10:11], v0 offset1:1
	v_add_u32_e32 v101, 4, v101
	s_waitcnt lgkmcnt(0)
	v_and_b32_e32 v94, 0xf0f0f0f, v10
	v_lshrrev_b32_e32 v0, 4, v10
	v_lshrrev_b32_e32 v10, 4, v11
	v_and_b32_e32 v97, 0xf0f0f0f, v10
	v_add_u32_e32 v10, 0x2108, v99
	v_and_b32_e32 v96, 0xf0f0f0f, v11
	ds_read2_b32 v[10:11], v10 offset1:1
	v_and_b32_e32 v95, 0xf0f0f0f, v0
	v_dot4_i32_i8 v0, v94, v2, 0
	v_dot4_i32_i8 v0, v95, v6, v0
	;; [unrolled: 1-line block ×4, first 2 shown]
	s_waitcnt lgkmcnt(0)
	v_and_b32_e32 v98, 0xf0f0f0f, v10
	v_lshrrev_b32_e32 v10, 4, v10
	v_and_b32_e32 v115, 0xf0f0f0f, v10
	v_dot4_i32_i8 v0, v98, v4, v0
	v_dot4_i32_i8 v0, v115, v8, v0
	v_and_b32_e32 v116, 0xf0f0f0f, v11
	v_lshrrev_b32_e32 v10, 4, v11
	v_and_b32_e32 v117, 0xf0f0f0f, v10
	v_dot4_i32_i8 v0, v116, v5, v0
	v_dot4_i32_i8 v0, v117, v9, v0
	v_cvt_f32_i32_e32 v0, v0
	v_pk_mul_f16 v10, v29, v93
	v_fma_mix_f32 v0, v10, v0, v10 op_sel:[0,0,1] op_sel_hi:[1,0,1]
	v_add_f32_e32 v85, v85, v0
	v_add_u32_e32 v0, 0x3180, v99
	ds_read_b32 v26, v100
	ds_read2_b32 v[10:11], v0 offset1:1
	v_add_u32_e32 v100, 4, v100
	s_waitcnt lgkmcnt(0)
	v_and_b32_e32 v60, 0xf0f0f0f, v10
	v_lshrrev_b32_e32 v0, 4, v10
	v_and_b32_e32 v0, 0xf0f0f0f, v0
	v_dot4_i32_i8 v2, v60, v2, 0
	v_dot4_i32_i8 v2, v0, v6, v2
	v_and_b32_e32 v121, 0xf0f0f0f, v11
	v_lshrrev_b32_e32 v6, 4, v11
	v_and_b32_e32 v118, 0xf0f0f0f, v6
	v_dot4_i32_i8 v2, v121, v3, v2
	v_dot4_i32_i8 v6, v118, v7, v2
	v_add_u32_e32 v2, 0x3188, v99
	ds_read2_b32 v[2:3], v2 offset1:1
	v_add_u32_e32 v99, 16, v99
	s_waitcnt lgkmcnt(0)
	v_and_b32_e32 v10, 0xf0f0f0f, v2
	v_lshrrev_b32_e32 v2, 4, v2
	v_and_b32_e32 v104, 0xf0f0f0f, v2
	v_dot4_i32_i8 v2, v10, v4, v6
	v_dot4_i32_i8 v2, v104, v8, v2
	v_and_b32_e32 v119, 0xf0f0f0f, v3
	v_lshrrev_b32_e32 v3, 4, v3
	v_and_b32_e32 v120, 0xf0f0f0f, v3
	v_dot4_i32_i8 v2, v119, v5, v2
	v_dot4_i32_i8 v2, v120, v9, v2
	v_cvt_f32_i32_e32 v2, v2
	v_pk_mul_f16 v3, v29, v26
	v_fma_mix_f32 v2, v3, v2, v3 op_sel:[0,0,1] op_sel_hi:[1,0,1]
	v_add_f32_e32 v82, v82, v2
	ds_read_b128 v[2:5], v124 offset:1024
	ds_read_b128 v[6:9], v124 offset:1040
	s_waitcnt lgkmcnt(1)
	v_dot4_i32_i8 v11, v107, v2, 0
	s_waitcnt lgkmcnt(0)
	v_dot4_i32_i8 v11, v108, v6, v11
	v_dot4_i32_i8 v11, v109, v3, v11
	;; [unrolled: 1-line block ×7, first 2 shown]
	v_cvt_f32_i32_e32 v11, v11
	v_fma_mix_f32 v11, v11, v12, v12 op_sel:[0,0,1] op_sel_hi:[0,1,1]
	v_add_f32_e32 v74, v74, v11
	v_dot4_i32_i8 v11, v80, v2, 0
	v_dot4_i32_i8 v11, v102, v6, v11
	v_dot4_i32_i8 v11, v103, v3, v11
	v_dot4_i32_i8 v11, v87, v7, v11
	v_dot4_i32_i8 v11, v89, v4, v11
	v_dot4_i32_i8 v11, v1, v8, v11
	v_dot4_i32_i8 v11, v90, v5, v11
	v_dot4_i32_i8 v11, v92, v9, v11
	v_cvt_f32_i32_e32 v11, v11
	v_pk_mul_f16 v12, v91, v30
	v_fma_mix_f32 v11, v11, v12, v12 op_sel:[0,0,1] op_sel_hi:[0,1,1]
	v_add_f32_e32 v68, v68, v11
	v_dot4_i32_i8 v11, v94, v2, 0
	v_dot4_i32_i8 v2, v60, v2, 0
	;; [unrolled: 1-line block ×16, first 2 shown]
	v_cvt_f32_i32_e32 v11, v11
	v_cvt_f32_i32_e32 v2, v2
	v_pk_mul_f16 v12, v93, v30
	v_pk_mul_f16 v3, v26, v30
	v_fma_mix_f32 v11, v11, v12, v12 op_sel:[0,0,1] op_sel_hi:[0,1,1]
	v_fma_mix_f32 v2, v2, v3, v3 op_sel:[0,0,1] op_sel_hi:[0,1,1]
	v_add_f32_e32 v63, v63, v11
	v_add_f32_e32 v58, v58, v2
	ds_read_b128 v[4:7], v124 offset:2048
	ds_read_b128 v[11:14], v124 offset:2064
	ds_read2_b32 v[2:3], v125 offset0:64 offset1:96
	s_waitcnt lgkmcnt(2)
	v_dot4_i32_i8 v8, v107, v4, 0
	s_waitcnt lgkmcnt(1)
	v_dot4_i32_i8 v8, v108, v11, v8
	v_dot4_i32_i8 v8, v109, v5, v8
	;; [unrolled: 1-line block ×7, first 2 shown]
	v_cvt_f32_i32_e32 v8, v8
	s_waitcnt lgkmcnt(0)
	v_pk_mul_f16 v9, v106, v2
	v_fma_mix_f32 v8, v8, v9, v9 op_sel:[0,0,1] op_sel_hi:[0,1,1]
	v_add_f32_e32 v56, v56, v8
	v_dot4_i32_i8 v8, v80, v4, 0
	v_dot4_i32_i8 v8, v102, v11, v8
	;; [unrolled: 1-line block ×8, first 2 shown]
	v_cvt_f32_i32_e32 v8, v8
	v_pk_mul_f16 v9, v91, v2
	v_fma_mix_f32 v8, v8, v9, v9 op_sel:[0,0,1] op_sel_hi:[0,1,1]
	v_add_f32_e32 v55, v55, v8
	v_dot4_i32_i8 v8, v94, v4, 0
	v_dot4_i32_i8 v4, v60, v4, 0
	;; [unrolled: 1-line block ×12, first 2 shown]
	v_cvt_f32_i32_e32 v4, v4
	v_dot4_i32_i8 v8, v98, v6, v8
	v_dot4_i32_i8 v8, v115, v13, v8
	;; [unrolled: 1-line block ×3, first 2 shown]
	v_pk_mul_f16 v9, v93, v2
	v_pk_mul_f16 v2, v26, v2
	v_dot4_i32_i8 v8, v117, v14, v8
	v_fma_mix_f32 v2, v4, v2, v2 op_sel:[0,0,1] op_sel_hi:[0,1,1]
	ds_read_b128 v[4:7], v124 offset:3072
	ds_read_b128 v[11:14], v124 offset:3088
	v_add_f32_e32 v53, v53, v2
	v_cvt_f32_i32_e32 v8, v8
	s_waitcnt lgkmcnt(1)
	v_dot4_i32_i8 v2, v107, v4, 0
	s_waitcnt lgkmcnt(0)
	v_dot4_i32_i8 v2, v108, v11, v2
	v_dot4_i32_i8 v2, v109, v5, v2
	;; [unrolled: 1-line block ×7, first 2 shown]
	v_cvt_f32_i32_e32 v2, v2
	v_fma_mix_f32 v8, v8, v9, v9 op_sel:[0,0,1] op_sel_hi:[0,1,1]
	v_add_f32_e32 v54, v54, v8
	v_pk_mul_f16 v8, v106, v3
	v_fma_mix_f32 v2, v2, v8, v8 op_sel:[0,0,1] op_sel_hi:[0,1,1]
	v_add_f32_e32 v51, v51, v2
	v_dot4_i32_i8 v2, v80, v4, 0
	v_dot4_i32_i8 v2, v102, v11, v2
	;; [unrolled: 1-line block ×8, first 2 shown]
	v_cvt_f32_i32_e32 v2, v2
	v_pk_mul_f16 v8, v91, v3
	v_fma_mix_f32 v2, v2, v8, v8 op_sel:[0,0,1] op_sel_hi:[0,1,1]
	v_add_f32_e32 v49, v49, v2
	v_dot4_i32_i8 v2, v94, v4, 0
	v_dot4_i32_i8 v2, v95, v11, v2
	;; [unrolled: 1-line block ×8, first 2 shown]
	v_cvt_f32_i32_e32 v2, v2
	v_pk_mul_f16 v8, v93, v3
	v_pk_mul_f16 v3, v26, v3
	v_fma_mix_f32 v2, v2, v8, v8 op_sel:[0,0,1] op_sel_hi:[0,1,1]
	v_add_f32_e32 v48, v48, v2
	v_dot4_i32_i8 v2, v60, v4, 0
	v_dot4_i32_i8 v2, v0, v11, v2
	;; [unrolled: 1-line block ×8, first 2 shown]
	v_cvt_f32_i32_e32 v2, v2
	v_fma_mix_f32 v2, v2, v3, v3 op_sel:[0,0,1] op_sel_hi:[0,1,1]
	v_add_f32_e32 v47, v47, v2
	ds_read_b128 v[2:5], v124 offset:4096
	ds_read_b128 v[6:9], v124 offset:4112
	ds_read2_b32 v[29:30], v125 offset0:128 offset1:160
	s_waitcnt lgkmcnt(2)
	v_dot4_i32_i8 v11, v107, v2, 0
	s_waitcnt lgkmcnt(1)
	v_dot4_i32_i8 v11, v108, v6, v11
	v_dot4_i32_i8 v11, v109, v3, v11
	;; [unrolled: 1-line block ×7, first 2 shown]
	v_cvt_f32_i32_e32 v11, v11
	s_waitcnt lgkmcnt(0)
	v_pk_mul_f16 v12, v106, v29
	v_fma_mix_f32 v11, v11, v12, v12 op_sel:[0,0,1] op_sel_hi:[0,1,1]
	v_add_f32_e32 v46, v46, v11
	v_dot4_i32_i8 v11, v80, v2, 0
	v_dot4_i32_i8 v11, v102, v6, v11
	;; [unrolled: 1-line block ×8, first 2 shown]
	v_cvt_f32_i32_e32 v11, v11
	v_pk_mul_f16 v12, v91, v29
	v_fma_mix_f32 v11, v11, v12, v12 op_sel:[0,0,1] op_sel_hi:[0,1,1]
	v_add_f32_e32 v45, v45, v11
	v_dot4_i32_i8 v11, v94, v2, 0
	v_dot4_i32_i8 v2, v60, v2, 0
	;; [unrolled: 1-line block ×13, first 2 shown]
	v_cvt_f32_i32_e32 v2, v2
	v_dot4_i32_i8 v11, v115, v8, v11
	v_dot4_i32_i8 v11, v116, v5, v11
	;; [unrolled: 1-line block ×3, first 2 shown]
	v_pk_mul_f16 v3, v26, v29
	v_cvt_f32_i32_e32 v11, v11
	v_fma_mix_f32 v2, v2, v3, v3 op_sel:[0,0,1] op_sel_hi:[0,1,1]
	v_add_f32_e32 v43, v43, v2
	ds_read_b128 v[2:5], v124 offset:5120
	ds_read_b128 v[6:9], v124 offset:5136
	v_pk_mul_f16 v12, v93, v29
	v_fma_mix_f32 v11, v11, v12, v12 op_sel:[0,0,1] op_sel_hi:[0,1,1]
	v_add_f32_e32 v44, v44, v11
	s_waitcnt lgkmcnt(1)
	v_dot4_i32_i8 v11, v107, v2, 0
	s_waitcnt lgkmcnt(0)
	v_dot4_i32_i8 v11, v108, v6, v11
	v_dot4_i32_i8 v11, v109, v3, v11
	;; [unrolled: 1-line block ×7, first 2 shown]
	v_cvt_f32_i32_e32 v11, v11
	v_pk_mul_f16 v12, v106, v30
	v_fma_mix_f32 v11, v11, v12, v12 op_sel:[0,0,1] op_sel_hi:[0,1,1]
	v_add_f32_e32 v42, v42, v11
	v_dot4_i32_i8 v11, v80, v2, 0
	v_dot4_i32_i8 v11, v102, v6, v11
	;; [unrolled: 1-line block ×8, first 2 shown]
	v_cvt_f32_i32_e32 v11, v11
	v_pk_mul_f16 v12, v91, v30
	v_fma_mix_f32 v11, v11, v12, v12 op_sel:[0,0,1] op_sel_hi:[0,1,1]
	v_add_f32_e32 v41, v41, v11
	v_dot4_i32_i8 v11, v94, v2, 0
	v_dot4_i32_i8 v2, v60, v2, 0
	;; [unrolled: 1-line block ×16, first 2 shown]
	v_cvt_f32_i32_e32 v11, v11
	v_cvt_f32_i32_e32 v2, v2
	v_pk_mul_f16 v12, v93, v30
	v_pk_mul_f16 v3, v26, v30
	v_fma_mix_f32 v11, v11, v12, v12 op_sel:[0,0,1] op_sel_hi:[0,1,1]
	v_fma_mix_f32 v2, v2, v3, v3 op_sel:[0,0,1] op_sel_hi:[0,1,1]
	v_add_f32_e32 v40, v40, v11
	v_add_f32_e32 v39, v39, v2
	ds_read_b128 v[4:7], v124 offset:6144
	ds_read_b128 v[11:14], v124 offset:6160
	ds_read2_b32 v[2:3], v125 offset0:192 offset1:224
	v_add_u32_e32 v125, 4, v125
	s_waitcnt lgkmcnt(2)
	v_dot4_i32_i8 v8, v107, v4, 0
	s_waitcnt lgkmcnt(1)
	v_dot4_i32_i8 v8, v108, v11, v8
	v_dot4_i32_i8 v8, v109, v5, v8
	;; [unrolled: 1-line block ×7, first 2 shown]
	v_cvt_f32_i32_e32 v8, v8
	s_waitcnt lgkmcnt(0)
	v_pk_mul_f16 v9, v106, v2
	v_fma_mix_f32 v8, v8, v9, v9 op_sel:[0,0,1] op_sel_hi:[0,1,1]
	v_add_f32_e32 v38, v38, v8
	v_dot4_i32_i8 v8, v80, v4, 0
	v_dot4_i32_i8 v8, v102, v11, v8
	;; [unrolled: 1-line block ×8, first 2 shown]
	v_cvt_f32_i32_e32 v8, v8
	v_pk_mul_f16 v9, v91, v2
	v_fma_mix_f32 v8, v8, v9, v9 op_sel:[0,0,1] op_sel_hi:[0,1,1]
	v_add_f32_e32 v37, v37, v8
	v_dot4_i32_i8 v8, v94, v4, 0
	v_dot4_i32_i8 v4, v60, v4, 0
	;; [unrolled: 1-line block ×12, first 2 shown]
	v_cvt_f32_i32_e32 v4, v4
	v_dot4_i32_i8 v8, v98, v6, v8
	v_dot4_i32_i8 v8, v115, v13, v8
	;; [unrolled: 1-line block ×3, first 2 shown]
	v_pk_mul_f16 v9, v93, v2
	v_pk_mul_f16 v2, v26, v2
	v_dot4_i32_i8 v8, v117, v14, v8
	v_fma_mix_f32 v2, v4, v2, v2 op_sel:[0,0,1] op_sel_hi:[0,1,1]
	ds_read_b128 v[4:7], v124 offset:7168
	ds_read_b128 v[11:14], v124 offset:7184
	v_add_f32_e32 v35, v35, v2
	v_cvt_f32_i32_e32 v8, v8
	v_add_u32_e32 v124, 32, v124
	s_waitcnt lgkmcnt(1)
	v_dot4_i32_i8 v2, v107, v4, 0
	s_waitcnt lgkmcnt(0)
	v_dot4_i32_i8 v2, v108, v11, v2
	v_dot4_i32_i8 v2, v109, v5, v2
	;; [unrolled: 1-line block ×7, first 2 shown]
	v_cvt_f32_i32_e32 v2, v2
	v_fma_mix_f32 v8, v8, v9, v9 op_sel:[0,0,1] op_sel_hi:[0,1,1]
	v_add_f32_e32 v36, v36, v8
	v_pk_mul_f16 v8, v106, v3
	v_fma_mix_f32 v2, v2, v8, v8 op_sel:[0,0,1] op_sel_hi:[0,1,1]
	v_add_f32_e32 v34, v34, v2
	v_dot4_i32_i8 v2, v80, v4, 0
	v_dot4_i32_i8 v2, v102, v11, v2
	v_dot4_i32_i8 v2, v103, v5, v2
	v_dot4_i32_i8 v2, v87, v12, v2
	v_dot4_i32_i8 v2, v89, v6, v2
	v_dot4_i32_i8 v1, v1, v13, v2
	v_dot4_i32_i8 v1, v90, v7, v1
	v_dot4_i32_i8 v1, v92, v14, v1
	v_cvt_f32_i32_e32 v1, v1
	v_pk_mul_f16 v2, v91, v3
	v_fma_mix_f32 v1, v1, v2, v2 op_sel:[0,0,1] op_sel_hi:[0,1,1]
	v_add_f32_e32 v33, v33, v1
	v_dot4_i32_i8 v1, v94, v4, 0
	v_dot4_i32_i8 v1, v95, v11, v1
	v_dot4_i32_i8 v1, v96, v5, v1
	v_dot4_i32_i8 v1, v97, v12, v1
	v_dot4_i32_i8 v1, v98, v6, v1
	v_dot4_i32_i8 v1, v115, v13, v1
	v_dot4_i32_i8 v1, v116, v7, v1
	v_dot4_i32_i8 v1, v117, v14, v1
	v_cvt_f32_i32_e32 v1, v1
	v_pk_mul_f16 v2, v93, v3
	v_fma_mix_f32 v1, v1, v2, v2 op_sel:[0,0,1] op_sel_hi:[0,1,1]
	v_add_f32_e32 v32, v32, v1
	v_dot4_i32_i8 v1, v60, v4, 0
	v_dot4_i32_i8 v0, v0, v11, v1
	v_dot4_i32_i8 v0, v121, v5, v0
	v_dot4_i32_i8 v0, v118, v12, v0
	v_dot4_i32_i8 v0, v10, v6, v0
	v_dot4_i32_i8 v0, v104, v13, v0
	v_dot4_i32_i8 v0, v119, v7, v0
	v_dot4_i32_i8 v0, v120, v14, v0
	v_cvt_f32_i32_e32 v0, v0
	v_pk_mul_f16 v1, v26, v3
	v_fma_mix_f32 v0, v0, v1, v1 op_sel:[0,0,1] op_sel_hi:[0,1,1]
	v_add_f32_e32 v31, v31, v0
	s_cbranch_scc1 .LBB120_9
; %bb.10:                               ;   in Loop: Header=BB120_7 Depth=1
	s_and_b32 s0, s8, -4
	s_cmp_eq_u32 s0, 4
	s_barrier
	s_cbranch_scc1 .LBB120_5
; %bb.11:                               ;   in Loop: Header=BB120_7 Depth=1
	buffer_load_dword v0, off, s[20:23], 0 offset:148 ; 4-byte Folded Reload
	s_waitcnt vmcnt(0)
	v_add_u32_e32 v2, s9, v0
	buffer_load_dword v0, off, s[20:23], 0 offset:4 ; 4-byte Folded Reload
	s_waitcnt vmcnt(0)
	v_add_u32_e32 v0, v2, v0
	v_mad_i64_i32 v[0:1], s[0:1], v0, 36, v[27:28]
	global_load_dword v0, v[0:1], off offset:4
	s_waitcnt vmcnt(0)
	ds_write_b32 v123, v0
	buffer_load_dword v0, off, s[20:23], 0 offset:8 ; 4-byte Folded Reload
	s_waitcnt vmcnt(0)
	v_add_u32_e32 v0, v2, v0
	v_mad_i64_i32 v[0:1], s[0:1], v0, 36, v[27:28]
	global_load_dword v0, v[0:1], off offset:4
	s_nop 0
	buffer_load_dword v1, off, s[20:23], 0 offset:44 ; 4-byte Folded Reload
	s_waitcnt vmcnt(0)
	ds_write_b32 v1, v0
	buffer_load_dword v0, off, s[20:23], 0 offset:12 ; 4-byte Folded Reload
	s_waitcnt vmcnt(0)
	v_add_u32_e32 v0, v2, v0
	v_mad_i64_i32 v[0:1], s[0:1], v0, 36, v[27:28]
	global_load_dword v0, v[0:1], off offset:4
	s_nop 0
	buffer_load_dword v1, off, s[20:23], 0 offset:48 ; 4-byte Folded Reload
	;; [unrolled: 9-line block ×7, first 2 shown]
	s_waitcnt vmcnt(0)
	ds_write_b32 v1, v0
	v_add_u32_e32 v0, 4, v122
	v_mad_u64_u32 v[0:1], s[0:1], v0, 36, s[2:3]
	s_mov_b32 s0, 12
	global_load_dword v0, v[0:1], off
	s_nop 0
	buffer_load_dword v1, off, s[20:23], 0  ; 4-byte Folded Reload
	s_waitcnt vmcnt(0)
	ds_write_b32 v1, v0
	s_waitcnt lgkmcnt(0)
	s_barrier
	buffer_load_dword v122, off, s[20:23], 0 offset:36 ; 4-byte Folded Reload
	buffer_load_dword v123, off, s[20:23], 0 offset:40 ; 4-byte Folded Reload
	;; [unrolled: 1-line block ×7, first 2 shown]
.LBB120_12:                             ;   Parent Loop BB120_7 Depth=1
                                        ; =>  This Inner Loop Header: Depth=2
	s_waitcnt vmcnt(5)
	ds_read_b128 v[2:5], v123
	ds_read_b128 v[6:9], v123 offset:16
	ds_read2_b32 v[29:30], v122 offset1:32
	s_waitcnt vmcnt(4)
	ds_read_b32 v106, v124
	s_waitcnt vmcnt(0)
	ds_read2_b32 v[0:1], v99 offset1:1
	s_add_i32 s0, s0, 4
	v_add_u32_e32 v124, 4, v124
	s_cmp_lt_u32 s0, 28
	s_waitcnt lgkmcnt(1)
	v_pk_mul_f16 v12, v106, v30
	s_waitcnt lgkmcnt(0)
	v_and_b32_e32 v107, 0xf0f0f0f, v0
	v_lshrrev_b32_e32 v0, 4, v0
	v_and_b32_e32 v108, 0xf0f0f0f, v0
	v_dot4_i32_i8 v0, v107, v2, 0
	v_dot4_i32_i8 v0, v108, v6, v0
	v_and_b32_e32 v109, 0xf0f0f0f, v1
	v_lshrrev_b32_e32 v1, 4, v1
	v_and_b32_e32 v110, 0xf0f0f0f, v1
	v_dot4_i32_i8 v0, v109, v3, v0
	v_dot4_i32_i8 v10, v110, v7, v0
	ds_read2_b32 v[0:1], v99 offset0:2 offset1:3
	s_waitcnt lgkmcnt(0)
	v_and_b32_e32 v50, 0xf0f0f0f, v0
	v_lshrrev_b32_e32 v0, 4, v0
	v_and_b32_e32 v105, 0xf0f0f0f, v0
	v_dot4_i32_i8 v0, v50, v4, v10
	v_dot4_i32_i8 v0, v105, v8, v0
	v_and_b32_e32 v57, 0xf0f0f0f, v1
	v_lshrrev_b32_e32 v1, 4, v1
	v_and_b32_e32 v26, 0xf0f0f0f, v1
	v_dot4_i32_i8 v0, v57, v5, v0
	v_dot4_i32_i8 v0, v26, v9, v0
	v_cvt_f32_i32_e32 v0, v0
	v_pk_mul_f16 v1, v29, v106
	v_fma_mix_f32 v0, v1, v0, v1 op_sel:[0,0,1] op_sel_hi:[1,0,1]
	v_add_f32_e32 v52, v52, v0
	v_add_u32_e32 v0, 0x1080, v99
	ds_read_b32 v91, v101
	ds_read2_b32 v[0:1], v0 offset1:1
	v_add_u32_e32 v101, 4, v101
	s_waitcnt lgkmcnt(0)
	v_and_b32_e32 v103, 0xf0f0f0f, v1
	v_lshrrev_b32_e32 v1, 4, v1
	v_and_b32_e32 v87, 0xf0f0f0f, v1
	v_add_u32_e32 v1, 0x1088, v99
	ds_read2_b32 v[10:11], v1 offset1:1
	v_and_b32_e32 v80, 0xf0f0f0f, v0
	v_lshrrev_b32_e32 v0, 4, v0
	v_and_b32_e32 v102, 0xf0f0f0f, v0
	v_dot4_i32_i8 v0, v80, v2, 0
	v_dot4_i32_i8 v0, v102, v6, v0
	;; [unrolled: 1-line block ×4, first 2 shown]
	s_waitcnt lgkmcnt(0)
	v_and_b32_e32 v89, 0xf0f0f0f, v10
	v_lshrrev_b32_e32 v1, 4, v10
	v_and_b32_e32 v1, 0xf0f0f0f, v1
	v_dot4_i32_i8 v0, v89, v4, v0
	v_dot4_i32_i8 v0, v1, v8, v0
	v_and_b32_e32 v90, 0xf0f0f0f, v11
	v_lshrrev_b32_e32 v10, 4, v11
	v_and_b32_e32 v92, 0xf0f0f0f, v10
	v_dot4_i32_i8 v0, v90, v5, v0
	v_dot4_i32_i8 v0, v92, v9, v0
	v_cvt_f32_i32_e32 v0, v0
	v_pk_mul_f16 v10, v29, v91
	v_fma_mix_f32 v0, v10, v0, v10 op_sel:[0,0,1] op_sel_hi:[1,0,1]
	v_add_f32_e32 v88, v88, v0
	v_add_u32_e32 v0, 0x2100, v99
	ds_read_b32 v93, v100
	ds_read2_b32 v[10:11], v0 offset1:1
	v_add_u32_e32 v100, 4, v100
	s_waitcnt lgkmcnt(0)
	v_and_b32_e32 v94, 0xf0f0f0f, v10
	v_lshrrev_b32_e32 v0, 4, v10
	v_lshrrev_b32_e32 v10, 4, v11
	v_and_b32_e32 v97, 0xf0f0f0f, v10
	v_add_u32_e32 v10, 0x2108, v99
	v_and_b32_e32 v96, 0xf0f0f0f, v11
	ds_read2_b32 v[10:11], v10 offset1:1
	v_and_b32_e32 v95, 0xf0f0f0f, v0
	v_dot4_i32_i8 v0, v94, v2, 0
	v_dot4_i32_i8 v0, v95, v6, v0
	;; [unrolled: 1-line block ×4, first 2 shown]
	s_waitcnt lgkmcnt(0)
	v_and_b32_e32 v98, 0xf0f0f0f, v10
	v_lshrrev_b32_e32 v10, 4, v10
	v_and_b32_e32 v115, 0xf0f0f0f, v10
	v_dot4_i32_i8 v0, v98, v4, v0
	v_dot4_i32_i8 v0, v115, v8, v0
	v_and_b32_e32 v116, 0xf0f0f0f, v11
	v_lshrrev_b32_e32 v10, 4, v11
	v_and_b32_e32 v117, 0xf0f0f0f, v10
	v_dot4_i32_i8 v0, v116, v5, v0
	v_dot4_i32_i8 v0, v117, v9, v0
	v_cvt_f32_i32_e32 v0, v0
	v_pk_mul_f16 v10, v29, v93
	v_fma_mix_f32 v0, v10, v0, v10 op_sel:[0,0,1] op_sel_hi:[1,0,1]
	v_add_f32_e32 v85, v85, v0
	v_add_u32_e32 v0, 0x3180, v99
	ds_read_b32 v79, v125
	ds_read2_b32 v[10:11], v0 offset1:1
	v_add_u32_e32 v125, 4, v125
	s_waitcnt lgkmcnt(0)
	v_and_b32_e32 v60, 0xf0f0f0f, v10
	v_lshrrev_b32_e32 v0, 4, v10
	v_and_b32_e32 v0, 0xf0f0f0f, v0
	v_dot4_i32_i8 v2, v60, v2, 0
	v_dot4_i32_i8 v2, v0, v6, v2
	v_and_b32_e32 v121, 0xf0f0f0f, v11
	v_lshrrev_b32_e32 v6, 4, v11
	v_and_b32_e32 v118, 0xf0f0f0f, v6
	v_dot4_i32_i8 v2, v121, v3, v2
	v_dot4_i32_i8 v6, v118, v7, v2
	v_add_u32_e32 v2, 0x3188, v99
	ds_read2_b32 v[2:3], v2 offset1:1
	v_add_u32_e32 v99, 16, v99
	s_waitcnt lgkmcnt(0)
	v_and_b32_e32 v10, 0xf0f0f0f, v2
	v_lshrrev_b32_e32 v2, 4, v2
	v_and_b32_e32 v104, 0xf0f0f0f, v2
	v_dot4_i32_i8 v2, v10, v4, v6
	v_dot4_i32_i8 v2, v104, v8, v2
	v_and_b32_e32 v119, 0xf0f0f0f, v3
	v_lshrrev_b32_e32 v3, 4, v3
	v_and_b32_e32 v120, 0xf0f0f0f, v3
	v_dot4_i32_i8 v2, v119, v5, v2
	v_dot4_i32_i8 v2, v120, v9, v2
	v_cvt_f32_i32_e32 v2, v2
	v_pk_mul_f16 v3, v29, v79
	v_fma_mix_f32 v2, v3, v2, v3 op_sel:[0,0,1] op_sel_hi:[1,0,1]
	v_add_f32_e32 v82, v82, v2
	ds_read_b128 v[2:5], v123 offset:1024
	ds_read_b128 v[6:9], v123 offset:1040
	s_waitcnt lgkmcnt(1)
	v_dot4_i32_i8 v11, v107, v2, 0
	s_waitcnt lgkmcnt(0)
	v_dot4_i32_i8 v11, v108, v6, v11
	v_dot4_i32_i8 v11, v109, v3, v11
	;; [unrolled: 1-line block ×7, first 2 shown]
	v_cvt_f32_i32_e32 v11, v11
	v_fma_mix_f32 v11, v11, v12, v12 op_sel:[0,0,1] op_sel_hi:[0,1,1]
	v_add_f32_e32 v74, v74, v11
	v_dot4_i32_i8 v11, v80, v2, 0
	v_dot4_i32_i8 v11, v102, v6, v11
	;; [unrolled: 1-line block ×8, first 2 shown]
	v_cvt_f32_i32_e32 v11, v11
	v_pk_mul_f16 v12, v91, v30
	v_fma_mix_f32 v11, v11, v12, v12 op_sel:[0,0,1] op_sel_hi:[0,1,1]
	v_add_f32_e32 v68, v68, v11
	v_dot4_i32_i8 v11, v94, v2, 0
	v_dot4_i32_i8 v2, v60, v2, 0
	;; [unrolled: 1-line block ×16, first 2 shown]
	v_cvt_f32_i32_e32 v11, v11
	v_cvt_f32_i32_e32 v2, v2
	v_pk_mul_f16 v12, v93, v30
	v_pk_mul_f16 v3, v79, v30
	v_fma_mix_f32 v11, v11, v12, v12 op_sel:[0,0,1] op_sel_hi:[0,1,1]
	v_fma_mix_f32 v2, v2, v3, v3 op_sel:[0,0,1] op_sel_hi:[0,1,1]
	v_add_f32_e32 v63, v63, v11
	v_add_f32_e32 v58, v58, v2
	ds_read_b128 v[4:7], v123 offset:2048
	ds_read_b128 v[11:14], v123 offset:2064
	ds_read2_b32 v[2:3], v122 offset0:64 offset1:96
	s_waitcnt lgkmcnt(2)
	v_dot4_i32_i8 v8, v107, v4, 0
	s_waitcnt lgkmcnt(1)
	v_dot4_i32_i8 v8, v108, v11, v8
	v_dot4_i32_i8 v8, v109, v5, v8
	;; [unrolled: 1-line block ×7, first 2 shown]
	v_cvt_f32_i32_e32 v8, v8
	s_waitcnt lgkmcnt(0)
	v_pk_mul_f16 v9, v106, v2
	v_fma_mix_f32 v8, v8, v9, v9 op_sel:[0,0,1] op_sel_hi:[0,1,1]
	v_add_f32_e32 v56, v56, v8
	v_dot4_i32_i8 v8, v80, v4, 0
	v_dot4_i32_i8 v8, v102, v11, v8
	;; [unrolled: 1-line block ×8, first 2 shown]
	v_cvt_f32_i32_e32 v8, v8
	v_pk_mul_f16 v9, v91, v2
	v_fma_mix_f32 v8, v8, v9, v9 op_sel:[0,0,1] op_sel_hi:[0,1,1]
	v_add_f32_e32 v55, v55, v8
	v_dot4_i32_i8 v8, v94, v4, 0
	v_dot4_i32_i8 v4, v60, v4, 0
	;; [unrolled: 1-line block ×12, first 2 shown]
	v_cvt_f32_i32_e32 v4, v4
	v_dot4_i32_i8 v8, v98, v6, v8
	v_dot4_i32_i8 v8, v115, v13, v8
	;; [unrolled: 1-line block ×3, first 2 shown]
	v_pk_mul_f16 v9, v93, v2
	v_pk_mul_f16 v2, v79, v2
	v_dot4_i32_i8 v8, v117, v14, v8
	v_fma_mix_f32 v2, v4, v2, v2 op_sel:[0,0,1] op_sel_hi:[0,1,1]
	ds_read_b128 v[4:7], v123 offset:3072
	ds_read_b128 v[11:14], v123 offset:3088
	v_add_f32_e32 v53, v53, v2
	v_cvt_f32_i32_e32 v8, v8
	s_waitcnt lgkmcnt(1)
	v_dot4_i32_i8 v2, v107, v4, 0
	s_waitcnt lgkmcnt(0)
	v_dot4_i32_i8 v2, v108, v11, v2
	v_dot4_i32_i8 v2, v109, v5, v2
	;; [unrolled: 1-line block ×7, first 2 shown]
	v_cvt_f32_i32_e32 v2, v2
	v_fma_mix_f32 v8, v8, v9, v9 op_sel:[0,0,1] op_sel_hi:[0,1,1]
	v_add_f32_e32 v54, v54, v8
	v_pk_mul_f16 v8, v106, v3
	v_fma_mix_f32 v2, v2, v8, v8 op_sel:[0,0,1] op_sel_hi:[0,1,1]
	v_add_f32_e32 v51, v51, v2
	v_dot4_i32_i8 v2, v80, v4, 0
	v_dot4_i32_i8 v2, v102, v11, v2
	;; [unrolled: 1-line block ×8, first 2 shown]
	v_cvt_f32_i32_e32 v2, v2
	v_pk_mul_f16 v8, v91, v3
	v_fma_mix_f32 v2, v2, v8, v8 op_sel:[0,0,1] op_sel_hi:[0,1,1]
	v_add_f32_e32 v49, v49, v2
	v_dot4_i32_i8 v2, v94, v4, 0
	v_dot4_i32_i8 v2, v95, v11, v2
	v_dot4_i32_i8 v2, v96, v5, v2
	v_dot4_i32_i8 v2, v97, v12, v2
	v_dot4_i32_i8 v2, v98, v6, v2
	v_dot4_i32_i8 v2, v115, v13, v2
	v_dot4_i32_i8 v2, v116, v7, v2
	v_dot4_i32_i8 v2, v117, v14, v2
	v_cvt_f32_i32_e32 v2, v2
	v_pk_mul_f16 v8, v93, v3
	v_pk_mul_f16 v3, v79, v3
	v_fma_mix_f32 v2, v2, v8, v8 op_sel:[0,0,1] op_sel_hi:[0,1,1]
	v_add_f32_e32 v48, v48, v2
	v_dot4_i32_i8 v2, v60, v4, 0
	v_dot4_i32_i8 v2, v0, v11, v2
	;; [unrolled: 1-line block ×8, first 2 shown]
	v_cvt_f32_i32_e32 v2, v2
	v_fma_mix_f32 v2, v2, v3, v3 op_sel:[0,0,1] op_sel_hi:[0,1,1]
	v_add_f32_e32 v47, v47, v2
	ds_read_b128 v[2:5], v123 offset:4096
	ds_read_b128 v[6:9], v123 offset:4112
	ds_read2_b32 v[29:30], v122 offset0:128 offset1:160
	s_waitcnt lgkmcnt(2)
	v_dot4_i32_i8 v11, v107, v2, 0
	s_waitcnt lgkmcnt(1)
	v_dot4_i32_i8 v11, v108, v6, v11
	v_dot4_i32_i8 v11, v109, v3, v11
	;; [unrolled: 1-line block ×7, first 2 shown]
	v_cvt_f32_i32_e32 v11, v11
	s_waitcnt lgkmcnt(0)
	v_pk_mul_f16 v12, v106, v29
	v_fma_mix_f32 v11, v11, v12, v12 op_sel:[0,0,1] op_sel_hi:[0,1,1]
	v_add_f32_e32 v46, v46, v11
	v_dot4_i32_i8 v11, v80, v2, 0
	v_dot4_i32_i8 v11, v102, v6, v11
	;; [unrolled: 1-line block ×8, first 2 shown]
	v_cvt_f32_i32_e32 v11, v11
	v_pk_mul_f16 v12, v91, v29
	v_fma_mix_f32 v11, v11, v12, v12 op_sel:[0,0,1] op_sel_hi:[0,1,1]
	v_add_f32_e32 v45, v45, v11
	v_dot4_i32_i8 v11, v94, v2, 0
	v_dot4_i32_i8 v2, v60, v2, 0
	;; [unrolled: 1-line block ×13, first 2 shown]
	v_cvt_f32_i32_e32 v2, v2
	v_dot4_i32_i8 v11, v115, v8, v11
	v_dot4_i32_i8 v11, v116, v5, v11
	;; [unrolled: 1-line block ×3, first 2 shown]
	v_pk_mul_f16 v3, v79, v29
	v_cvt_f32_i32_e32 v11, v11
	v_fma_mix_f32 v2, v2, v3, v3 op_sel:[0,0,1] op_sel_hi:[0,1,1]
	v_add_f32_e32 v43, v43, v2
	ds_read_b128 v[2:5], v123 offset:5120
	ds_read_b128 v[6:9], v123 offset:5136
	v_pk_mul_f16 v12, v93, v29
	v_fma_mix_f32 v11, v11, v12, v12 op_sel:[0,0,1] op_sel_hi:[0,1,1]
	v_add_f32_e32 v44, v44, v11
	s_waitcnt lgkmcnt(1)
	v_dot4_i32_i8 v11, v107, v2, 0
	s_waitcnt lgkmcnt(0)
	v_dot4_i32_i8 v11, v108, v6, v11
	v_dot4_i32_i8 v11, v109, v3, v11
	;; [unrolled: 1-line block ×7, first 2 shown]
	v_cvt_f32_i32_e32 v11, v11
	v_pk_mul_f16 v12, v106, v30
	v_fma_mix_f32 v11, v11, v12, v12 op_sel:[0,0,1] op_sel_hi:[0,1,1]
	v_add_f32_e32 v42, v42, v11
	v_dot4_i32_i8 v11, v80, v2, 0
	v_dot4_i32_i8 v11, v102, v6, v11
	;; [unrolled: 1-line block ×8, first 2 shown]
	v_cvt_f32_i32_e32 v11, v11
	v_pk_mul_f16 v12, v91, v30
	v_fma_mix_f32 v11, v11, v12, v12 op_sel:[0,0,1] op_sel_hi:[0,1,1]
	v_add_f32_e32 v41, v41, v11
	v_dot4_i32_i8 v11, v94, v2, 0
	v_dot4_i32_i8 v2, v60, v2, 0
	;; [unrolled: 1-line block ×16, first 2 shown]
	v_cvt_f32_i32_e32 v11, v11
	v_cvt_f32_i32_e32 v2, v2
	v_pk_mul_f16 v12, v93, v30
	v_pk_mul_f16 v3, v79, v30
	v_fma_mix_f32 v11, v11, v12, v12 op_sel:[0,0,1] op_sel_hi:[0,1,1]
	v_fma_mix_f32 v2, v2, v3, v3 op_sel:[0,0,1] op_sel_hi:[0,1,1]
	v_add_f32_e32 v40, v40, v11
	v_add_f32_e32 v39, v39, v2
	ds_read_b128 v[4:7], v123 offset:6144
	ds_read_b128 v[11:14], v123 offset:6160
	ds_read2_b32 v[2:3], v122 offset0:192 offset1:224
	v_add_u32_e32 v122, 4, v122
	s_waitcnt lgkmcnt(2)
	v_dot4_i32_i8 v8, v107, v4, 0
	s_waitcnt lgkmcnt(1)
	v_dot4_i32_i8 v8, v108, v11, v8
	v_dot4_i32_i8 v8, v109, v5, v8
	;; [unrolled: 1-line block ×7, first 2 shown]
	v_cvt_f32_i32_e32 v8, v8
	s_waitcnt lgkmcnt(0)
	v_pk_mul_f16 v9, v106, v2
	v_fma_mix_f32 v8, v8, v9, v9 op_sel:[0,0,1] op_sel_hi:[0,1,1]
	v_add_f32_e32 v38, v38, v8
	v_dot4_i32_i8 v8, v80, v4, 0
	v_dot4_i32_i8 v8, v102, v11, v8
	;; [unrolled: 1-line block ×8, first 2 shown]
	v_cvt_f32_i32_e32 v8, v8
	v_pk_mul_f16 v9, v91, v2
	v_fma_mix_f32 v8, v8, v9, v9 op_sel:[0,0,1] op_sel_hi:[0,1,1]
	v_add_f32_e32 v37, v37, v8
	v_dot4_i32_i8 v8, v94, v4, 0
	v_dot4_i32_i8 v4, v60, v4, 0
	;; [unrolled: 1-line block ×12, first 2 shown]
	v_cvt_f32_i32_e32 v4, v4
	v_dot4_i32_i8 v8, v98, v6, v8
	v_dot4_i32_i8 v8, v115, v13, v8
	;; [unrolled: 1-line block ×3, first 2 shown]
	v_pk_mul_f16 v9, v93, v2
	v_pk_mul_f16 v2, v79, v2
	v_dot4_i32_i8 v8, v117, v14, v8
	v_fma_mix_f32 v2, v4, v2, v2 op_sel:[0,0,1] op_sel_hi:[0,1,1]
	ds_read_b128 v[4:7], v123 offset:7168
	ds_read_b128 v[11:14], v123 offset:7184
	v_add_f32_e32 v35, v35, v2
	v_cvt_f32_i32_e32 v8, v8
	v_add_u32_e32 v123, 32, v123
	s_waitcnt lgkmcnt(1)
	v_dot4_i32_i8 v2, v107, v4, 0
	s_waitcnt lgkmcnt(0)
	v_dot4_i32_i8 v2, v108, v11, v2
	v_dot4_i32_i8 v2, v109, v5, v2
	;; [unrolled: 1-line block ×7, first 2 shown]
	v_cvt_f32_i32_e32 v2, v2
	v_fma_mix_f32 v8, v8, v9, v9 op_sel:[0,0,1] op_sel_hi:[0,1,1]
	v_add_f32_e32 v36, v36, v8
	v_pk_mul_f16 v8, v106, v3
	v_fma_mix_f32 v2, v2, v8, v8 op_sel:[0,0,1] op_sel_hi:[0,1,1]
	v_add_f32_e32 v34, v34, v2
	v_dot4_i32_i8 v2, v80, v4, 0
	v_dot4_i32_i8 v2, v102, v11, v2
	v_dot4_i32_i8 v2, v103, v5, v2
	v_dot4_i32_i8 v2, v87, v12, v2
	v_dot4_i32_i8 v2, v89, v6, v2
	v_dot4_i32_i8 v1, v1, v13, v2
	v_dot4_i32_i8 v1, v90, v7, v1
	v_dot4_i32_i8 v1, v92, v14, v1
	v_cvt_f32_i32_e32 v1, v1
	v_pk_mul_f16 v2, v91, v3
	v_fma_mix_f32 v1, v1, v2, v2 op_sel:[0,0,1] op_sel_hi:[0,1,1]
	v_add_f32_e32 v33, v33, v1
	v_dot4_i32_i8 v1, v94, v4, 0
	v_dot4_i32_i8 v1, v95, v11, v1
	v_dot4_i32_i8 v1, v96, v5, v1
	v_dot4_i32_i8 v1, v97, v12, v1
	v_dot4_i32_i8 v1, v98, v6, v1
	v_dot4_i32_i8 v1, v115, v13, v1
	v_dot4_i32_i8 v1, v116, v7, v1
	v_dot4_i32_i8 v1, v117, v14, v1
	v_cvt_f32_i32_e32 v1, v1
	;; [unrolled: 12-line block ×3, first 2 shown]
	v_pk_mul_f16 v1, v79, v3
	v_fma_mix_f32 v0, v0, v1, v1 op_sel:[0,0,1] op_sel_hi:[0,1,1]
	v_add_f32_e32 v31, v31, v0
	s_cbranch_scc1 .LBB120_12
; %bb.13:                               ;   in Loop: Header=BB120_7 Depth=1
	s_barrier
	s_branch .LBB120_5
.LBB120_14:
	buffer_load_dword v0, off, s[20:23], 0 offset:176 ; 4-byte Folded Reload
.LBB120_15:
	s_waitcnt vmcnt(0)
	v_cmp_gt_u32_e32 vcc, s10, v0
	s_and_saveexec_b64 s[0:1], vcc
	s_cbranch_execz .LBB120_66
; %bb.16:
	v_mul_lo_u32 v4, v0, s14
	buffer_load_dword v0, off, s[20:23], 0 offset:72 ; 4-byte Folded Reload
	s_waitcnt vmcnt(0)
	v_add_u32_e32 v0, s6, v0
	v_cmp_gt_u32_e32 vcc, s14, v0
	s_and_saveexec_b64 s[2:3], vcc
	s_cbranch_execz .LBB120_18
; %bb.17:
	v_add_u32_e32 v1, v0, v4
	v_mov_b32_e32 v2, 0
	v_lshlrev_b64 v[1:2], 2, v[1:2]
	s_waitcnt lgkmcnt(0)
	v_mov_b32_e32 v3, s13
	v_add_co_u32_e64 v1, s[0:1], s12, v1
	v_addc_co_u32_e64 v2, s[0:1], v3, v2, s[0:1]
	global_store_dword v[1:2], v52, off
.LBB120_18:
	s_or_b64 exec, exec, s[2:3]
	v_add_u32_e32 v1, 32, v0
	v_cmp_gt_u32_e64 s[0:1], s14, v1
	s_and_saveexec_b64 s[4:5], s[0:1]
	s_cbranch_execz .LBB120_20
; %bb.19:
	v_add_u32_e32 v2, v1, v4
	v_mov_b32_e32 v3, 0
	v_lshlrev_b64 v[2:3], 2, v[2:3]
	s_waitcnt lgkmcnt(0)
	v_mov_b32_e32 v5, s13
	v_add_co_u32_e64 v2, s[2:3], s12, v2
	v_addc_co_u32_e64 v3, s[2:3], v5, v3, s[2:3]
	global_store_dword v[2:3], v88, off
.LBB120_20:
	s_or_b64 exec, exec, s[4:5]
	v_add_u32_e32 v2, 64, v0
	v_cmp_gt_u32_e64 s[2:3], s14, v2
	s_and_saveexec_b64 s[6:7], s[2:3]
	;; [unrolled: 15-line block ×3, first 2 shown]
	s_cbranch_execz .LBB120_24
; %bb.23:
	v_add_u32_e32 v4, v3, v4
	v_mov_b32_e32 v5, 0
	v_lshlrev_b64 v[4:5], 2, v[4:5]
	s_waitcnt lgkmcnt(0)
	v_mov_b32_e32 v6, s13
	v_add_co_u32_e64 v4, s[6:7], s12, v4
	v_addc_co_u32_e64 v5, s[6:7], v6, v5, s[6:7]
	global_store_dword v[4:5], v82, off
.LBB120_24:
	s_or_b64 exec, exec, s[8:9]
	buffer_load_dword v4, off, s[20:23], 0 offset:172 ; 4-byte Folded Reload
	s_waitcnt vmcnt(0)
	v_add3_u32 v4, v4, s15, 8
	v_cmp_gt_u32_e64 s[6:7], s10, v4
	s_and_b64 exec, exec, s[6:7]
	s_cbranch_execz .LBB120_66
; %bb.25:
	v_mul_lo_u32 v4, v4, s14
	s_and_saveexec_b64 s[8:9], vcc
	s_cbranch_execnz .LBB120_67
; %bb.26:
	s_or_b64 exec, exec, s[8:9]
	s_and_saveexec_b64 s[8:9], s[0:1]
	s_cbranch_execnz .LBB120_68
.LBB120_27:
	s_or_b64 exec, exec, s[8:9]
	s_and_saveexec_b64 s[8:9], s[2:3]
	s_cbranch_execnz .LBB120_69
.LBB120_28:
	s_or_b64 exec, exec, s[8:9]
	s_and_saveexec_b64 s[8:9], s[4:5]
	s_cbranch_execz .LBB120_30
.LBB120_29:
	v_add_u32_e32 v4, v4, v3
	v_mov_b32_e32 v5, 0
	v_lshlrev_b64 v[4:5], 2, v[4:5]
	s_waitcnt lgkmcnt(0)
	v_mov_b32_e32 v6, s13
	v_add_co_u32_e64 v4, s[6:7], s12, v4
	v_addc_co_u32_e64 v5, s[6:7], v6, v5, s[6:7]
	global_store_dword v[4:5], v58, off
.LBB120_30:
	s_or_b64 exec, exec, s[8:9]
	buffer_load_dword v4, off, s[20:23], 0 offset:172 ; 4-byte Folded Reload
	s_waitcnt vmcnt(0)
	v_add3_u32 v4, v4, s15, 16
	v_cmp_gt_u32_e64 s[6:7], s10, v4
	s_and_b64 exec, exec, s[6:7]
	s_cbranch_execz .LBB120_66
; %bb.31:
	v_mul_lo_u32 v4, v4, s14
	s_and_saveexec_b64 s[8:9], vcc
	s_cbranch_execnz .LBB120_70
; %bb.32:
	s_or_b64 exec, exec, s[8:9]
	s_and_saveexec_b64 s[8:9], s[0:1]
	s_cbranch_execnz .LBB120_71
.LBB120_33:
	s_or_b64 exec, exec, s[8:9]
	s_and_saveexec_b64 s[8:9], s[2:3]
	s_cbranch_execnz .LBB120_72
.LBB120_34:
	s_or_b64 exec, exec, s[8:9]
	s_and_saveexec_b64 s[8:9], s[4:5]
	s_cbranch_execz .LBB120_36
.LBB120_35:
	v_add_u32_e32 v4, v4, v3
	v_mov_b32_e32 v5, 0
	v_lshlrev_b64 v[4:5], 2, v[4:5]
	s_waitcnt lgkmcnt(0)
	v_mov_b32_e32 v6, s13
	v_add_co_u32_e64 v4, s[6:7], s12, v4
	v_addc_co_u32_e64 v5, s[6:7], v6, v5, s[6:7]
	global_store_dword v[4:5], v53, off
.LBB120_36:
	s_or_b64 exec, exec, s[8:9]
	buffer_load_dword v4, off, s[20:23], 0 offset:172 ; 4-byte Folded Reload
	s_waitcnt vmcnt(0)
	v_add3_u32 v4, v4, s15, 24
	v_cmp_gt_u32_e64 s[6:7], s10, v4
	s_and_b64 exec, exec, s[6:7]
	s_cbranch_execz .LBB120_66
; %bb.37:
	v_mul_lo_u32 v4, v4, s14
	s_and_saveexec_b64 s[8:9], vcc
	s_cbranch_execnz .LBB120_73
; %bb.38:
	s_or_b64 exec, exec, s[8:9]
	s_and_saveexec_b64 s[8:9], s[0:1]
	s_cbranch_execnz .LBB120_74
.LBB120_39:
	s_or_b64 exec, exec, s[8:9]
	s_and_saveexec_b64 s[8:9], s[2:3]
	s_cbranch_execnz .LBB120_75
.LBB120_40:
	s_or_b64 exec, exec, s[8:9]
	s_and_saveexec_b64 s[8:9], s[4:5]
	s_cbranch_execz .LBB120_42
.LBB120_41:
	v_add_u32_e32 v4, v4, v3
	v_mov_b32_e32 v5, 0
	v_lshlrev_b64 v[4:5], 2, v[4:5]
	s_waitcnt lgkmcnt(0)
	v_mov_b32_e32 v6, s13
	v_add_co_u32_e64 v4, s[6:7], s12, v4
	v_addc_co_u32_e64 v5, s[6:7], v6, v5, s[6:7]
	global_store_dword v[4:5], v47, off
.LBB120_42:
	s_or_b64 exec, exec, s[8:9]
	buffer_load_dword v4, off, s[20:23], 0 offset:172 ; 4-byte Folded Reload
	s_waitcnt vmcnt(0)
	v_add3_u32 v4, v4, s15, 32
	v_cmp_gt_u32_e64 s[6:7], s10, v4
	s_and_b64 exec, exec, s[6:7]
	s_cbranch_execz .LBB120_66
; %bb.43:
	v_mul_lo_u32 v4, v4, s14
	s_and_saveexec_b64 s[8:9], vcc
	s_cbranch_execnz .LBB120_76
; %bb.44:
	s_or_b64 exec, exec, s[8:9]
	s_and_saveexec_b64 s[8:9], s[0:1]
	s_cbranch_execnz .LBB120_77
.LBB120_45:
	s_or_b64 exec, exec, s[8:9]
	s_and_saveexec_b64 s[8:9], s[2:3]
	s_cbranch_execnz .LBB120_78
.LBB120_46:
	s_or_b64 exec, exec, s[8:9]
	s_and_saveexec_b64 s[8:9], s[4:5]
	s_cbranch_execz .LBB120_48
.LBB120_47:
	v_add_u32_e32 v4, v4, v3
	v_mov_b32_e32 v5, 0
	v_lshlrev_b64 v[4:5], 2, v[4:5]
	s_waitcnt lgkmcnt(0)
	v_mov_b32_e32 v6, s13
	v_add_co_u32_e64 v4, s[6:7], s12, v4
	v_addc_co_u32_e64 v5, s[6:7], v6, v5, s[6:7]
	global_store_dword v[4:5], v43, off
.LBB120_48:
	s_or_b64 exec, exec, s[8:9]
	buffer_load_dword v4, off, s[20:23], 0 offset:172 ; 4-byte Folded Reload
	s_waitcnt vmcnt(0)
	v_add3_u32 v4, v4, s15, 40
	v_cmp_gt_u32_e64 s[6:7], s10, v4
	s_and_b64 exec, exec, s[6:7]
	s_cbranch_execz .LBB120_66
; %bb.49:
	v_mul_lo_u32 v4, v4, s14
	s_and_saveexec_b64 s[8:9], vcc
	s_cbranch_execnz .LBB120_79
; %bb.50:
	s_or_b64 exec, exec, s[8:9]
	s_and_saveexec_b64 s[8:9], s[0:1]
	s_cbranch_execnz .LBB120_80
.LBB120_51:
	s_or_b64 exec, exec, s[8:9]
	s_and_saveexec_b64 s[8:9], s[2:3]
	s_cbranch_execnz .LBB120_81
.LBB120_52:
	s_or_b64 exec, exec, s[8:9]
	s_and_saveexec_b64 s[8:9], s[4:5]
	s_cbranch_execz .LBB120_54
.LBB120_53:
	v_add_u32_e32 v4, v4, v3
	v_mov_b32_e32 v5, 0
	v_lshlrev_b64 v[4:5], 2, v[4:5]
	s_waitcnt lgkmcnt(0)
	v_mov_b32_e32 v6, s13
	v_add_co_u32_e64 v4, s[6:7], s12, v4
	v_addc_co_u32_e64 v5, s[6:7], v6, v5, s[6:7]
	global_store_dword v[4:5], v39, off
.LBB120_54:
	s_or_b64 exec, exec, s[8:9]
	buffer_load_dword v4, off, s[20:23], 0 offset:172 ; 4-byte Folded Reload
	s_waitcnt vmcnt(0)
	v_add3_u32 v4, v4, s15, 48
	v_cmp_gt_u32_e64 s[6:7], s10, v4
	s_and_b64 exec, exec, s[6:7]
	s_cbranch_execz .LBB120_66
; %bb.55:
	v_mul_lo_u32 v4, v4, s14
	s_and_saveexec_b64 s[8:9], vcc
	s_cbranch_execnz .LBB120_82
; %bb.56:
	s_or_b64 exec, exec, s[8:9]
	s_and_saveexec_b64 s[8:9], s[0:1]
	s_cbranch_execnz .LBB120_83
.LBB120_57:
	s_or_b64 exec, exec, s[8:9]
	s_and_saveexec_b64 s[8:9], s[2:3]
	s_cbranch_execnz .LBB120_84
.LBB120_58:
	s_or_b64 exec, exec, s[8:9]
	s_and_saveexec_b64 s[8:9], s[4:5]
	s_cbranch_execz .LBB120_60
.LBB120_59:
	v_add_u32_e32 v4, v4, v3
	v_mov_b32_e32 v5, 0
	v_lshlrev_b64 v[4:5], 2, v[4:5]
	s_waitcnt lgkmcnt(0)
	v_mov_b32_e32 v6, s13
	v_add_co_u32_e64 v4, s[6:7], s12, v4
	v_addc_co_u32_e64 v5, s[6:7], v6, v5, s[6:7]
	global_store_dword v[4:5], v35, off
.LBB120_60:
	s_or_b64 exec, exec, s[8:9]
	buffer_load_dword v4, off, s[20:23], 0 offset:172 ; 4-byte Folded Reload
	s_waitcnt vmcnt(0)
	v_add3_u32 v4, v4, s15, 56
	v_cmp_gt_u32_e64 s[6:7], s10, v4
	s_and_b64 exec, exec, s[6:7]
	s_cbranch_execz .LBB120_66
; %bb.61:
	v_mul_lo_u32 v4, v4, s14
	s_and_saveexec_b64 s[6:7], vcc
	s_cbranch_execnz .LBB120_85
; %bb.62:
	s_or_b64 exec, exec, s[6:7]
	s_and_saveexec_b64 s[6:7], s[0:1]
	s_cbranch_execnz .LBB120_86
.LBB120_63:
	s_or_b64 exec, exec, s[6:7]
	s_and_saveexec_b64 s[0:1], s[2:3]
	s_cbranch_execnz .LBB120_87
.LBB120_64:
	s_or_b64 exec, exec, s[0:1]
	s_and_b64 exec, exec, s[4:5]
	s_cbranch_execz .LBB120_66
.LBB120_65:
	v_add_u32_e32 v0, v4, v3
	v_mov_b32_e32 v1, 0
	v_lshlrev_b64 v[0:1], 2, v[0:1]
	s_waitcnt lgkmcnt(0)
	v_mov_b32_e32 v2, s13
	v_add_co_u32_e32 v0, vcc, s12, v0
	v_addc_co_u32_e32 v1, vcc, v2, v1, vcc
	global_store_dword v[0:1], v31, off
.LBB120_66:
	s_endpgm
.LBB120_67:
	v_add_u32_e32 v5, v4, v0
	v_mov_b32_e32 v6, 0
	v_lshlrev_b64 v[5:6], 2, v[5:6]
	s_waitcnt lgkmcnt(0)
	v_mov_b32_e32 v7, s13
	v_add_co_u32_e64 v5, s[6:7], s12, v5
	v_addc_co_u32_e64 v6, s[6:7], v7, v6, s[6:7]
	global_store_dword v[5:6], v74, off
	s_or_b64 exec, exec, s[8:9]
	s_and_saveexec_b64 s[8:9], s[0:1]
	s_cbranch_execz .LBB120_27
.LBB120_68:
	v_add_u32_e32 v5, v4, v1
	v_mov_b32_e32 v6, 0
	v_lshlrev_b64 v[5:6], 2, v[5:6]
	s_waitcnt lgkmcnt(0)
	v_mov_b32_e32 v7, s13
	v_add_co_u32_e64 v5, s[6:7], s12, v5
	v_addc_co_u32_e64 v6, s[6:7], v7, v6, s[6:7]
	global_store_dword v[5:6], v68, off
	s_or_b64 exec, exec, s[8:9]
	s_and_saveexec_b64 s[8:9], s[2:3]
	s_cbranch_execz .LBB120_28
.LBB120_69:
	v_add_u32_e32 v5, v4, v2
	v_mov_b32_e32 v6, 0
	v_lshlrev_b64 v[5:6], 2, v[5:6]
	s_waitcnt lgkmcnt(0)
	v_mov_b32_e32 v7, s13
	v_add_co_u32_e64 v5, s[6:7], s12, v5
	v_addc_co_u32_e64 v6, s[6:7], v7, v6, s[6:7]
	global_store_dword v[5:6], v63, off
	s_or_b64 exec, exec, s[8:9]
	s_and_saveexec_b64 s[8:9], s[4:5]
	s_cbranch_execnz .LBB120_29
	s_branch .LBB120_30
.LBB120_70:
	v_add_u32_e32 v5, v4, v0
	v_mov_b32_e32 v6, 0
	v_lshlrev_b64 v[5:6], 2, v[5:6]
	s_waitcnt lgkmcnt(0)
	v_mov_b32_e32 v7, s13
	v_add_co_u32_e64 v5, s[6:7], s12, v5
	v_addc_co_u32_e64 v6, s[6:7], v7, v6, s[6:7]
	global_store_dword v[5:6], v56, off
	s_or_b64 exec, exec, s[8:9]
	s_and_saveexec_b64 s[8:9], s[0:1]
	s_cbranch_execz .LBB120_33
.LBB120_71:
	v_add_u32_e32 v5, v4, v1
	v_mov_b32_e32 v6, 0
	v_lshlrev_b64 v[5:6], 2, v[5:6]
	s_waitcnt lgkmcnt(0)
	v_mov_b32_e32 v7, s13
	v_add_co_u32_e64 v5, s[6:7], s12, v5
	v_addc_co_u32_e64 v6, s[6:7], v7, v6, s[6:7]
	global_store_dword v[5:6], v55, off
	s_or_b64 exec, exec, s[8:9]
	s_and_saveexec_b64 s[8:9], s[2:3]
	s_cbranch_execz .LBB120_34
.LBB120_72:
	v_add_u32_e32 v5, v4, v2
	v_mov_b32_e32 v6, 0
	v_lshlrev_b64 v[5:6], 2, v[5:6]
	s_waitcnt lgkmcnt(0)
	v_mov_b32_e32 v7, s13
	v_add_co_u32_e64 v5, s[6:7], s12, v5
	v_addc_co_u32_e64 v6, s[6:7], v7, v6, s[6:7]
	global_store_dword v[5:6], v54, off
	s_or_b64 exec, exec, s[8:9]
	s_and_saveexec_b64 s[8:9], s[4:5]
	s_cbranch_execnz .LBB120_35
	s_branch .LBB120_36
.LBB120_73:
	v_add_u32_e32 v5, v4, v0
	v_mov_b32_e32 v6, 0
	v_lshlrev_b64 v[5:6], 2, v[5:6]
	s_waitcnt lgkmcnt(0)
	v_mov_b32_e32 v7, s13
	v_add_co_u32_e64 v5, s[6:7], s12, v5
	v_addc_co_u32_e64 v6, s[6:7], v7, v6, s[6:7]
	global_store_dword v[5:6], v51, off
	s_or_b64 exec, exec, s[8:9]
	s_and_saveexec_b64 s[8:9], s[0:1]
	s_cbranch_execz .LBB120_39
.LBB120_74:
	v_add_u32_e32 v5, v4, v1
	v_mov_b32_e32 v6, 0
	v_lshlrev_b64 v[5:6], 2, v[5:6]
	s_waitcnt lgkmcnt(0)
	v_mov_b32_e32 v7, s13
	v_add_co_u32_e64 v5, s[6:7], s12, v5
	v_addc_co_u32_e64 v6, s[6:7], v7, v6, s[6:7]
	global_store_dword v[5:6], v49, off
	s_or_b64 exec, exec, s[8:9]
	s_and_saveexec_b64 s[8:9], s[2:3]
	s_cbranch_execz .LBB120_40
.LBB120_75:
	v_add_u32_e32 v5, v4, v2
	v_mov_b32_e32 v6, 0
	v_lshlrev_b64 v[5:6], 2, v[5:6]
	s_waitcnt lgkmcnt(0)
	v_mov_b32_e32 v7, s13
	v_add_co_u32_e64 v5, s[6:7], s12, v5
	v_addc_co_u32_e64 v6, s[6:7], v7, v6, s[6:7]
	global_store_dword v[5:6], v48, off
	s_or_b64 exec, exec, s[8:9]
	s_and_saveexec_b64 s[8:9], s[4:5]
	s_cbranch_execnz .LBB120_41
	s_branch .LBB120_42
.LBB120_76:
	v_add_u32_e32 v5, v4, v0
	v_mov_b32_e32 v6, 0
	v_lshlrev_b64 v[5:6], 2, v[5:6]
	s_waitcnt lgkmcnt(0)
	v_mov_b32_e32 v7, s13
	v_add_co_u32_e64 v5, s[6:7], s12, v5
	v_addc_co_u32_e64 v6, s[6:7], v7, v6, s[6:7]
	global_store_dword v[5:6], v46, off
	s_or_b64 exec, exec, s[8:9]
	s_and_saveexec_b64 s[8:9], s[0:1]
	s_cbranch_execz .LBB120_45
.LBB120_77:
	v_add_u32_e32 v5, v4, v1
	v_mov_b32_e32 v6, 0
	v_lshlrev_b64 v[5:6], 2, v[5:6]
	s_waitcnt lgkmcnt(0)
	v_mov_b32_e32 v7, s13
	v_add_co_u32_e64 v5, s[6:7], s12, v5
	v_addc_co_u32_e64 v6, s[6:7], v7, v6, s[6:7]
	global_store_dword v[5:6], v45, off
	s_or_b64 exec, exec, s[8:9]
	s_and_saveexec_b64 s[8:9], s[2:3]
	s_cbranch_execz .LBB120_46
.LBB120_78:
	v_add_u32_e32 v5, v4, v2
	v_mov_b32_e32 v6, 0
	v_lshlrev_b64 v[5:6], 2, v[5:6]
	s_waitcnt lgkmcnt(0)
	v_mov_b32_e32 v7, s13
	v_add_co_u32_e64 v5, s[6:7], s12, v5
	v_addc_co_u32_e64 v6, s[6:7], v7, v6, s[6:7]
	global_store_dword v[5:6], v44, off
	s_or_b64 exec, exec, s[8:9]
	s_and_saveexec_b64 s[8:9], s[4:5]
	s_cbranch_execnz .LBB120_47
	s_branch .LBB120_48
.LBB120_79:
	v_add_u32_e32 v5, v4, v0
	v_mov_b32_e32 v6, 0
	v_lshlrev_b64 v[5:6], 2, v[5:6]
	s_waitcnt lgkmcnt(0)
	v_mov_b32_e32 v7, s13
	v_add_co_u32_e64 v5, s[6:7], s12, v5
	v_addc_co_u32_e64 v6, s[6:7], v7, v6, s[6:7]
	global_store_dword v[5:6], v42, off
	s_or_b64 exec, exec, s[8:9]
	s_and_saveexec_b64 s[8:9], s[0:1]
	s_cbranch_execz .LBB120_51
.LBB120_80:
	v_add_u32_e32 v5, v4, v1
	v_mov_b32_e32 v6, 0
	v_lshlrev_b64 v[5:6], 2, v[5:6]
	s_waitcnt lgkmcnt(0)
	v_mov_b32_e32 v7, s13
	v_add_co_u32_e64 v5, s[6:7], s12, v5
	v_addc_co_u32_e64 v6, s[6:7], v7, v6, s[6:7]
	global_store_dword v[5:6], v41, off
	s_or_b64 exec, exec, s[8:9]
	s_and_saveexec_b64 s[8:9], s[2:3]
	s_cbranch_execz .LBB120_52
.LBB120_81:
	v_add_u32_e32 v5, v4, v2
	v_mov_b32_e32 v6, 0
	v_lshlrev_b64 v[5:6], 2, v[5:6]
	s_waitcnt lgkmcnt(0)
	v_mov_b32_e32 v7, s13
	v_add_co_u32_e64 v5, s[6:7], s12, v5
	v_addc_co_u32_e64 v6, s[6:7], v7, v6, s[6:7]
	global_store_dword v[5:6], v40, off
	s_or_b64 exec, exec, s[8:9]
	s_and_saveexec_b64 s[8:9], s[4:5]
	s_cbranch_execnz .LBB120_53
	s_branch .LBB120_54
.LBB120_82:
	v_add_u32_e32 v5, v4, v0
	v_mov_b32_e32 v6, 0
	v_lshlrev_b64 v[5:6], 2, v[5:6]
	s_waitcnt lgkmcnt(0)
	v_mov_b32_e32 v7, s13
	v_add_co_u32_e64 v5, s[6:7], s12, v5
	v_addc_co_u32_e64 v6, s[6:7], v7, v6, s[6:7]
	global_store_dword v[5:6], v38, off
	s_or_b64 exec, exec, s[8:9]
	s_and_saveexec_b64 s[8:9], s[0:1]
	s_cbranch_execz .LBB120_57
.LBB120_83:
	v_add_u32_e32 v5, v4, v1
	v_mov_b32_e32 v6, 0
	v_lshlrev_b64 v[5:6], 2, v[5:6]
	s_waitcnt lgkmcnt(0)
	v_mov_b32_e32 v7, s13
	v_add_co_u32_e64 v5, s[6:7], s12, v5
	v_addc_co_u32_e64 v6, s[6:7], v7, v6, s[6:7]
	global_store_dword v[5:6], v37, off
	s_or_b64 exec, exec, s[8:9]
	s_and_saveexec_b64 s[8:9], s[2:3]
	s_cbranch_execz .LBB120_58
.LBB120_84:
	v_add_u32_e32 v5, v4, v2
	v_mov_b32_e32 v6, 0
	v_lshlrev_b64 v[5:6], 2, v[5:6]
	s_waitcnt lgkmcnt(0)
	v_mov_b32_e32 v7, s13
	v_add_co_u32_e64 v5, s[6:7], s12, v5
	v_addc_co_u32_e64 v6, s[6:7], v7, v6, s[6:7]
	global_store_dword v[5:6], v36, off
	s_or_b64 exec, exec, s[8:9]
	s_and_saveexec_b64 s[8:9], s[4:5]
	s_cbranch_execnz .LBB120_59
	s_branch .LBB120_60
.LBB120_85:
	v_add_u32_e32 v5, v4, v0
	v_mov_b32_e32 v6, 0
	v_lshlrev_b64 v[5:6], 2, v[5:6]
	s_waitcnt lgkmcnt(0)
	v_mov_b32_e32 v0, s13
	v_add_co_u32_e32 v5, vcc, s12, v5
	v_addc_co_u32_e32 v6, vcc, v0, v6, vcc
	global_store_dword v[5:6], v34, off
	s_or_b64 exec, exec, s[6:7]
	s_and_saveexec_b64 s[6:7], s[0:1]
	s_cbranch_execz .LBB120_63
.LBB120_86:
	v_add_u32_e32 v0, v4, v1
	v_mov_b32_e32 v1, 0
	v_lshlrev_b64 v[0:1], 2, v[0:1]
	s_waitcnt lgkmcnt(0)
	v_mov_b32_e32 v5, s13
	v_add_co_u32_e32 v0, vcc, s12, v0
	v_addc_co_u32_e32 v1, vcc, v5, v1, vcc
	global_store_dword v[0:1], v33, off
	s_or_b64 exec, exec, s[6:7]
	s_and_saveexec_b64 s[0:1], s[2:3]
	s_cbranch_execz .LBB120_64
.LBB120_87:
	v_add_u32_e32 v0, v4, v2
	v_mov_b32_e32 v1, 0
	v_lshlrev_b64 v[0:1], 2, v[0:1]
	s_waitcnt lgkmcnt(0)
	v_mov_b32_e32 v2, s13
	v_add_co_u32_e32 v0, vcc, s12, v0
	v_addc_co_u32_e32 v1, vcc, v2, v1, vcc
	global_store_dword v[0:1], v32, off
	s_or_b64 exec, exec, s[0:1]
	s_and_b64 exec, exec, s[4:5]
	s_cbranch_execnz .LBB120_65
	s_branch .LBB120_66
	.section	.rodata,"a",@progbits
	.p2align	6, 0x0
	.amdhsa_kernel _ZL12mul_mat_q4_1IfLb1EEvPKvS1_PT_iiiii
		.amdhsa_group_segment_fixed_size 30336
		.amdhsa_private_segment_fixed_size 184
		.amdhsa_kernarg_size 44
		.amdhsa_user_sgpr_count 6
		.amdhsa_user_sgpr_private_segment_buffer 1
		.amdhsa_user_sgpr_dispatch_ptr 0
		.amdhsa_user_sgpr_queue_ptr 0
		.amdhsa_user_sgpr_kernarg_segment_ptr 1
		.amdhsa_user_sgpr_dispatch_id 0
		.amdhsa_user_sgpr_flat_scratch_init 0
		.amdhsa_user_sgpr_private_segment_size 0
		.amdhsa_uses_dynamic_stack 0
		.amdhsa_system_sgpr_private_segment_wavefront_offset 1
		.amdhsa_system_sgpr_workgroup_id_x 1
		.amdhsa_system_sgpr_workgroup_id_y 1
		.amdhsa_system_sgpr_workgroup_id_z 0
		.amdhsa_system_sgpr_workgroup_info 0
		.amdhsa_system_vgpr_workitem_id 1
		.amdhsa_next_free_vgpr 128
		.amdhsa_next_free_sgpr 98
		.amdhsa_reserve_vcc 1
		.amdhsa_reserve_flat_scratch 0
		.amdhsa_float_round_mode_32 0
		.amdhsa_float_round_mode_16_64 0
		.amdhsa_float_denorm_mode_32 3
		.amdhsa_float_denorm_mode_16_64 3
		.amdhsa_dx10_clamp 1
		.amdhsa_ieee_mode 1
		.amdhsa_fp16_overflow 0
		.amdhsa_exception_fp_ieee_invalid_op 0
		.amdhsa_exception_fp_denorm_src 0
		.amdhsa_exception_fp_ieee_div_zero 0
		.amdhsa_exception_fp_ieee_overflow 0
		.amdhsa_exception_fp_ieee_underflow 0
		.amdhsa_exception_fp_ieee_inexact 0
		.amdhsa_exception_int_div_zero 0
	.end_amdhsa_kernel
	.section	.text._ZL12mul_mat_q4_1IfLb1EEvPKvS1_PT_iiiii,"axG",@progbits,_ZL12mul_mat_q4_1IfLb1EEvPKvS1_PT_iiiii,comdat
.Lfunc_end120:
	.size	_ZL12mul_mat_q4_1IfLb1EEvPKvS1_PT_iiiii, .Lfunc_end120-_ZL12mul_mat_q4_1IfLb1EEvPKvS1_PT_iiiii
                                        ; -- End function
	.set _ZL12mul_mat_q4_1IfLb1EEvPKvS1_PT_iiiii.num_vgpr, 128
	.set _ZL12mul_mat_q4_1IfLb1EEvPKvS1_PT_iiiii.num_agpr, 0
	.set _ZL12mul_mat_q4_1IfLb1EEvPKvS1_PT_iiiii.numbered_sgpr, 24
	.set _ZL12mul_mat_q4_1IfLb1EEvPKvS1_PT_iiiii.num_named_barrier, 0
	.set _ZL12mul_mat_q4_1IfLb1EEvPKvS1_PT_iiiii.private_seg_size, 184
	.set _ZL12mul_mat_q4_1IfLb1EEvPKvS1_PT_iiiii.uses_vcc, 1
	.set _ZL12mul_mat_q4_1IfLb1EEvPKvS1_PT_iiiii.uses_flat_scratch, 0
	.set _ZL12mul_mat_q4_1IfLb1EEvPKvS1_PT_iiiii.has_dyn_sized_stack, 0
	.set _ZL12mul_mat_q4_1IfLb1EEvPKvS1_PT_iiiii.has_recursion, 0
	.set _ZL12mul_mat_q4_1IfLb1EEvPKvS1_PT_iiiii.has_indirect_call, 0
	.section	.AMDGPU.csdata,"",@progbits
; Kernel info:
; codeLenInByte = 13804
; TotalNumSgprs: 28
; NumVgprs: 128
; ScratchSize: 184
; MemoryBound: 0
; FloatMode: 240
; IeeeMode: 1
; LDSByteSize: 30336 bytes/workgroup (compile time only)
; SGPRBlocks: 12
; VGPRBlocks: 31
; NumSGPRsForWavesPerEU: 102
; NumVGPRsForWavesPerEU: 128
; Occupancy: 2
; WaveLimiterHint : 0
; COMPUTE_PGM_RSRC2:SCRATCH_EN: 1
; COMPUTE_PGM_RSRC2:USER_SGPR: 6
; COMPUTE_PGM_RSRC2:TRAP_HANDLER: 0
; COMPUTE_PGM_RSRC2:TGID_X_EN: 1
; COMPUTE_PGM_RSRC2:TGID_Y_EN: 1
; COMPUTE_PGM_RSRC2:TGID_Z_EN: 0
; COMPUTE_PGM_RSRC2:TIDIG_COMP_CNT: 1
	.section	.text._ZL12mul_mat_q5_0IfLb0EEvPKvS1_PT_iiiii,"axG",@progbits,_ZL12mul_mat_q5_0IfLb0EEvPKvS1_PT_iiiii,comdat
	.globl	_ZL12mul_mat_q5_0IfLb0EEvPKvS1_PT_iiiii ; -- Begin function _ZL12mul_mat_q5_0IfLb0EEvPKvS1_PT_iiiii
	.p2align	8
	.type	_ZL12mul_mat_q5_0IfLb0EEvPKvS1_PT_iiiii,@function
_ZL12mul_mat_q5_0IfLb0EEvPKvS1_PT_iiiii: ; @_ZL12mul_mat_q5_0IfLb0EEvPKvS1_PT_iiiii
; %bb.0:
	s_load_dword s14, s[4:5], 0x18
	s_load_dwordx4 s[8:11], s[4:5], 0x20
	s_waitcnt lgkmcnt(0)
	s_lshl_b32 s11, s7, 6
	v_add_u32_e32 v58, s11, v1
	s_cmp_gt_i32 s14, 31
	s_cbranch_scc1 .LBB121_2
; %bb.1:
	v_add_u32_e32 v2, s11, v1
	s_mov_b64 s[0:1], 0
	s_branch .LBB121_3
.LBB121_2:
	s_mov_b64 s[0:1], -1
                                        ; implicit-def: $vgpr2
.LBB121_3:
	s_load_dwordx2 s[12:13], s[4:5], 0x10
	s_lshl_b32 s6, s6, 7
	v_mov_b32_e32 v37, 0
	s_andn2_b64 vcc, exec, s[0:1]
	v_mov_b32_e32 v41, 0
	v_mov_b32_e32 v45, 0
	;; [unrolled: 1-line block ×31, first 2 shown]
	s_cbranch_vccnz .LBB121_14
; %bb.4:
	s_load_dwordx4 s[0:3], s[4:5], 0x0
	s_ashr_i32 s4, s14, 31
	s_lshr_b32 s4, s4, 27
	s_ashr_i32 s5, s9, 31
	s_add_i32 s14, s14, s4
	s_lshr_b32 s5, s5, 27
	s_ashr_i32 s4, s14, 5
	s_add_i32 s5, s9, s5
	s_ashr_i32 s16, s5, 5
	s_mul_i32 s5, s4, s6
	v_mul_lo_u32 v68, s4, v1
	s_mul_hi_i32 s7, s5, 22
	s_mul_i32 s5, s5, 22
	s_waitcnt lgkmcnt(0)
	s_add_u32 s5, s0, s5
	s_addc_u32 s7, s1, s7
	s_lshl_b32 s1, s4, 3
	v_add_u32_e32 v70, s1, v68
	v_add_u32_e32 v72, s1, v70
	v_add_u32_e32 v74, s1, v72
	v_add_u32_e32 v76, s1, v74
	v_add_u32_e32 v78, s1, v76
	v_add_u32_e32 v81, s1, v78
	v_add_u32_e32 v83, s1, v81
	v_add_u32_e32 v85, s1, v83
	v_add_u32_e32 v87, s1, v85
	v_add_u32_e32 v89, s1, v87
	v_add_u32_e32 v91, s1, v89
	v_add_u32_e32 v93, s1, v91
	v_lshlrev_b32_e32 v3, 3, v0
	s_movk_i32 s0, 0x104
	v_add_u32_e32 v95, s1, v93
	v_lshrrev_b32_e32 v103, 3, v0
	v_mad_u32_u24 v69, v1, s0, v3
	v_add_u32_e32 v97, s1, v95
	v_and_b32_e32 v102, 7, v0
	v_lshl_add_u32 v3, v1, 2, v103
	v_add_u32_e32 v100, s1, v97
	v_and_b32_e32 v4, 0x7fc, v3
	v_lshlrev_b32_e32 v5, 2, v102
	s_mov_b32 s1, 0xa200
	v_add3_u32 v16, v4, v5, s1
	v_add_u32_e32 v4, 32, v3
	v_mul_lo_u32 v104, s4, v3
	v_lshlrev_b32_e32 v17, 5, v3
	v_and_b32_e32 v6, 0xffc, v4
	v_lshlrev_b32_e32 v19, 5, v4
	v_add_u32_e32 v4, 64, v3
	v_add_u32_e32 v3, 0x60, v3
	v_add3_u32 v18, v6, v5, s1
	v_and_b32_e32 v6, 0xffc, v4
	v_lshlrev_b32_e32 v21, 5, v4
	v_and_b32_e32 v4, 0xffc, v3
	v_add3_u32 v20, v6, v5, s1
	v_add3_u32 v22, v4, v5, s1
	s_add_i32 s1, s8, -1
	v_lshlrev_b32_e32 v6, 2, v0
	v_lshrrev_b32_e32 v65, 2, v0
	v_lshlrev_b32_e32 v23, 5, v3
	v_cvt_f64_i32_e32 v[4:5], s1
	v_and_b32_e32 v3, 31, v0
	v_and_b32_e32 v24, 28, v6
	v_mov_b32_e32 v8, 0x8200
	v_cvt_f64_u32_e32 v[6:7], v58
	v_lshl_or_b32 v110, v3, 2, v8
	v_lshl_add_u32 v3, v1, 3, v65
	v_and_b32_e32 v12, 63, v3
	v_add_u32_e32 v3, 8, v58
	v_cvt_f64_u32_e32 v[8:9], v3
	v_add_u32_e32 v3, 16, v58
	v_min_f64 v[6:7], v[6:7], v[4:5]
	v_cvt_f64_u32_e32 v[10:11], v3
	v_min_f64 v[8:9], v[8:9], v[4:5]
	s_andn2_b32 s14, s14, 31
	v_add_u32_e32 v105, s14, v104
	v_min_f64 v[10:11], v[10:11], v[4:5]
	v_or_b32_e32 v3, s11, v12
	v_and_b32_e32 v2, 3, v0
	v_add_u32_e32 v107, s14, v105
	v_min_i32_e32 v3, s1, v3
	v_cvt_i32_f64_e32 v6, v[6:7]
	v_lshlrev_b32_e32 v67, 2, v2
	v_add_u32_e32 v108, s14, v107
	v_mad_u64_u32 v[2:3], s[14:15], v3, s16, v[2:3]
	v_lshl_or_b32 v3, v12, 4, v67
	v_add_u32_e32 v111, 0xb280, v3
	v_cvt_i32_f64_e32 v3, v[8:9]
	v_mul_lo_u32 v112, s16, v6
	v_cvt_i32_f64_e32 v6, v[10:11]
	v_lshlrev_b32_e32 v113, 7, v1
	v_mul_lo_u32 v114, s16, v3
	v_add_u32_e32 v3, 24, v58
	v_mul_lo_u32 v115, s16, v6
	v_cvt_f64_u32_e32 v[6:7], v3
	v_add_u32_e32 v3, 32, v58
	v_cvt_f64_u32_e32 v[8:9], v3
	v_add_u32_e32 v3, 40, v58
	v_min_f64 v[6:7], v[6:7], v[4:5]
	v_cvt_f64_u32_e32 v[10:11], v3
	v_add_u32_e32 v3, 48, v58
	v_cvt_f64_u32_e32 v[12:13], v3
	v_add_u32_e32 v3, 56, v58
	v_cvt_f64_u32_e32 v[14:15], v3
	v_min_f64 v[8:9], v[8:9], v[4:5]
	v_min_f64 v[10:11], v[10:11], v[4:5]
	v_cvt_i32_f64_e32 v27, v[6:7]
	v_min_f64 v[6:7], v[12:13], v[4:5]
	v_min_f64 v[3:4], v[14:15], v[4:5]
	v_add_u32_e32 v12, 0x60, v0
	v_mul_lo_u32 v116, s16, v27
	v_lshlrev_b32_e32 v13, 5, v0
	v_cvt_i32_f64_e32 v8, v[8:9]
	v_cvt_i32_f64_e32 v9, v[10:11]
	v_add_u32_e32 v10, 32, v0
	v_cvt_i32_f64_e32 v6, v[6:7]
	v_cvt_i32_f64_e32 v3, v[3:4]
	v_mul_lo_u32 v117, s16, v8
	v_mul_lo_u32 v118, s16, v9
	v_mul_lo_u32 v119, s16, v6
	v_mul_lo_u32 v120, s16, v3
	v_add_u32_e32 v11, 64, v0
	v_lshrrev_b32_e32 v122, 3, v10
	v_and_b32_e32 v10, 0x1fc, v10
	v_and_b32_e32 v12, 0x1fc, v12
	;; [unrolled: 1-line block ×3, first 2 shown]
	v_add_u32_e32 v10, v13, v10
	v_and_b32_e32 v14, 0xfc, v0
	v_add_u32_e32 v25, 0x400, v113
	v_add_u32_e32 v26, 0x800, v113
	;; [unrolled: 1-line block ×7, first 2 shown]
	v_mov_b32_e32 v4, s3
	v_add_co_u32_e32 v3, vcc, s2, v24
	v_add_u32_e32 v12, v13, v12
	v_add_u32_e32 v11, v13, v11
	;; [unrolled: 1-line block ×4, first 2 shown]
	v_mov_b32_e32 v14, 0xb280
	v_add_u32_e32 v131, 0xa610, v10
	v_mov_b32_e32 v10, 0x80
	v_mov_b32_e32 v59, 0
	v_add_u32_e32 v71, 0x820, v69
	v_add_u32_e32 v73, 0x1040, v69
	;; [unrolled: 1-line block ×15, first 2 shown]
	s_add_i32 s9, s4, 3
	v_mul_u32_u24_e32 v121, 0x104, v0
	v_addc_co_u32_e32 v4, vcc, 0, v4, vcc
	v_add_u32_e32 v123, 0xae00, v12
	v_add_u32_e32 v124, 0xaa00, v11
	;; [unrolled: 1-line block ×3, first 2 shown]
	v_lshl_add_u32 v127, v1, 4, v14
	v_add_u32_e32 v128, 0x8200, v113
	v_add_u32_e32 v129, 0xae10, v12
	;; [unrolled: 1-line block ×4, first 2 shown]
	v_mad_u32_u24 v133, v0, s0, v10
	s_mov_b32 s14, 0
	s_movk_i32 s15, 0x1f00
	s_mov_b32 s16, 0xc0c0105
	v_add_u32_e32 v134, v16, v17
	v_add_u32_e32 v135, v18, v19
	v_add_u32_e32 v136, v20, v21
	v_add_u32_e32 v137, v22, v23
	v_mov_b32_e32 v138, 8
	v_add_u32_e32 v139, v110, v25
	v_add_u32_e32 v140, v110, v26
	;; [unrolled: 1-line block ×7, first 2 shown]
	v_mov_b32_e32 v79, 0
	v_mov_b32_e32 v62, 0
	;; [unrolled: 1-line block ×31, first 2 shown]
	s_branch .LBB121_6
.LBB121_5:                              ;   in Loop: Header=BB121_6 Depth=1
	s_add_i32 s14, s14, 8
	s_add_i32 s9, s9, -8
	s_cmp_ge_i32 s14, s4
	s_cbranch_scc1 .LBB121_13
.LBB121_6:                              ; =>This Loop Header: Depth=1
                                        ;     Child Loop BB121_8 Depth 2
                                        ;     Child Loop BB121_11 Depth 2
	s_mul_i32 s0, s14, 22
	s_mul_hi_u32 s1, s14, 22
	s_add_u32 s0, s5, s0
	s_addc_u32 s1, s7, s1
	v_mad_u64_u32 v[5:6], s[18:19], v65, 22, s[0:1]
	s_cmp_gt_u32 s9, 3
	v_mad_u64_u32 v[7:8], s[18:19], v68, 22, v[5:6]
	v_mad_u64_u32 v[13:14], s[18:19], v74, 22, v[5:6]
	v_add_co_u32_e32 v9, vcc, v7, v67
	v_addc_co_u32_e32 v10, vcc, 0, v8, vcc
	v_mad_u64_u32 v[11:12], s[18:19], v72, 22, v[5:6]
	v_mad_u64_u32 v[15:16], s[18:19], v70, 22, v[5:6]
	global_load_dword v17, v[9:10], off offset:6
	global_load_dword v23, v[13:14], off offset:2
                                        ; kill: killed $vgpr9 killed $vgpr10
	global_load_dword v18, v[11:12], off offset:2
	global_load_dword v19, v[15:16], off offset:2
	;; [unrolled: 1-line block ×3, first 2 shown]
	v_add_co_u32_e32 v7, vcc, v15, v67
	v_addc_co_u32_e32 v8, vcc, 0, v16, vcc
	global_load_dword v15, v[7:8], off offset:6
	v_add_co_u32_e32 v7, vcc, v11, v67
	v_addc_co_u32_e32 v8, vcc, 0, v12, vcc
	v_add_co_u32_e32 v9, vcc, v13, v67
	v_addc_co_u32_e32 v10, vcc, 0, v14, vcc
	global_load_dword v24, v[7:8], off offset:6
	global_load_dword v25, v[9:10], off offset:6
	s_waitcnt vmcnt(7)
	v_and_b32_e32 v8, 0xf0f0f0f, v17
	v_lshrrev_b32_e32 v9, 4, v17
	v_and_b32_e32 v9, 0xf0f0f0f, v9
	s_waitcnt vmcnt(4)
	v_ashrrev_i32_e32 v10, v67, v19
	s_waitcnt vmcnt(3)
	v_ashrrev_i32_e32 v7, v67, v20
	v_lshlrev_b32_e32 v12, 4, v7
	v_lshlrev_b32_e32 v13, 11, v7
	;; [unrolled: 1-line block ×4, first 2 shown]
	v_lshrrev_b32_e32 v17, 12, v7
	v_lshrrev_b32_e32 v19, 5, v7
	v_lshlrev_b32_e32 v20, 2, v7
	v_lshlrev_b32_e32 v7, 9, v7
	v_and_b32_e32 v12, 16, v12
	v_and_b32_e32 v13, 0x1000, v13
	;; [unrolled: 1-line block ×8, first 2 shown]
	v_or3_b32 v12, v12, v8, v13
	v_or3_b32 v8, v8, v14, v16
	;; [unrolled: 1-line block ×4, first 2 shown]
	v_and_b32_e32 v14, 0x1f00, v12
	v_lshlrev_b16_e32 v12, 8, v12
	v_and_b32_sdwa v16, v8, s15 dst_sel:DWORD dst_unused:UNUSED_PAD src0_sel:WORD_1 src1_sel:DWORD
	v_lshlrev_b16_sdwa v8, v138, v8 dst_sel:DWORD dst_unused:UNUSED_PAD src0_sel:DWORD src1_sel:WORD_1
	v_and_b32_e32 v19, 0x1f00, v13
	v_lshlrev_b16_e32 v13, 8, v13
	v_and_b32_sdwa v17, v7, s15 dst_sel:DWORD dst_unused:UNUSED_PAD src0_sel:WORD_1 src1_sel:DWORD
	v_lshlrev_b16_sdwa v7, v138, v7 dst_sel:DWORD dst_unused:UNUSED_PAD src0_sel:DWORD src1_sel:WORD_1
	v_add_u16_e32 v14, 0xf000, v14
	v_add_u16_e32 v12, 0xf000, v12
	;; [unrolled: 1-line block ×5, first 2 shown]
	v_lshlrev_b32_e32 v21, 4, v10
	v_lshlrev_b32_e32 v22, 11, v10
	v_add_u16_e32 v17, 0xf000, v17
	v_add_u16_e32 v7, 0xf000, v7
	v_perm_b32 v12, v12, v14, s16
	v_perm_b32 v8, v8, v16, s16
	v_or_b32_sdwa v13, v19, v13 dst_sel:DWORD dst_unused:UNUSED_PAD src0_sel:DWORD src1_sel:BYTE_1
	s_waitcnt vmcnt(2)
	v_and_b32_e32 v11, 0xf0f0f0f, v15
	v_lshlrev_b32_e32 v26, 18, v10
	v_lshlrev_b32_e32 v27, 25, v10
	v_and_b32_e32 v21, 16, v21
	v_and_b32_e32 v22, 0x1000, v22
	v_perm_b32 v7, v7, v17, s16
	v_lshl_or_b32 v8, v8, 16, v12
	v_add_u16_e32 v12, 0xf000, v13
	v_and_b32_e32 v26, 0x100000, v26
	v_and_b32_e32 v27, 0x10000000, v27
	v_or3_b32 v9, v21, v11, v22
	v_lshl_or_b32 v7, v7, 16, v12
	v_or3_b32 v11, v11, v26, v27
	ds_write2_b32 v69, v8, v7 offset1:1
	v_lshlrev_b16_e32 v8, 8, v9
	v_and_b32_sdwa v20, v11, s15 dst_sel:DWORD dst_unused:UNUSED_PAD src0_sel:WORD_1 src1_sel:DWORD
	v_lshlrev_b16_sdwa v11, v138, v11 dst_sel:DWORD dst_unused:UNUSED_PAD src0_sel:DWORD src1_sel:WORD_1
	v_and_b32_e32 v7, 0x1f00, v9
	v_add_u16_e32 v8, 0xf000, v8
	v_add_u16_e32 v20, 0xf000, v20
	;; [unrolled: 1-line block ×3, first 2 shown]
	v_or_b32_sdwa v7, v7, v8 dst_sel:DWORD dst_unused:UNUSED_PAD src0_sel:DWORD src1_sel:BYTE_1
	v_perm_b32 v11, v11, v20, s16
	v_add_u16_e32 v7, 0xf000, v7
	v_lshl_or_b32 v7, v11, 16, v7
	v_lshrrev_b32_e32 v8, 4, v15
	v_lshrrev_b32_e32 v9, 12, v10
	;; [unrolled: 1-line block ×3, first 2 shown]
	v_and_b32_e32 v8, 0xf0f0f0f, v8
	v_and_b32_e32 v9, 16, v9
	;; [unrolled: 1-line block ×3, first 2 shown]
	v_or3_b32 v9, v9, v8, v11
	v_lshlrev_b32_e32 v11, 2, v10
	v_lshlrev_b32_e32 v10, 9, v10
	v_and_b32_e32 v11, 0x100000, v11
	v_and_b32_e32 v10, 0x10000000, v10
	v_or3_b32 v8, v8, v11, v10
	v_and_b32_e32 v10, 0x1f00, v9
	v_lshlrev_b16_e32 v9, 8, v9
	v_add_u16_e32 v10, 0xf000, v10
	v_add_u16_e32 v9, 0xf000, v9
	v_perm_b32 v9, v9, v10, s16
	v_and_b32_sdwa v10, v8, s15 dst_sel:DWORD dst_unused:UNUSED_PAD src0_sel:WORD_1 src1_sel:DWORD
	v_lshlrev_b16_sdwa v8, v138, v8 dst_sel:DWORD dst_unused:UNUSED_PAD src0_sel:DWORD src1_sel:WORD_1
	v_add_u16_e32 v10, 0xf000, v10
	v_add_u16_e32 v8, 0xf000, v8
	v_perm_b32 v8, v8, v10, s16
	v_lshl_or_b32 v8, v8, 16, v9
	v_ashrrev_i32_e32 v26, v67, v18
	ds_write2_b32 v71, v7, v8 offset1:1
	v_lshlrev_b32_e32 v8, 4, v26
	v_lshlrev_b32_e32 v9, 11, v26
	s_waitcnt vmcnt(1)
	v_and_b32_e32 v7, 0xf0f0f0f, v24
	v_and_b32_e32 v8, 16, v8
	;; [unrolled: 1-line block ×3, first 2 shown]
	v_or3_b32 v27, v8, v7, v9
	v_lshlrev_b32_e32 v8, 18, v26
	v_lshlrev_b32_e32 v9, 25, v26
	v_and_b32_e32 v8, 0x100000, v8
	v_and_b32_e32 v9, 0x10000000, v9
	v_or3_b32 v7, v7, v8, v9
	v_and_b32_sdwa v8, v7, s15 dst_sel:DWORD dst_unused:UNUSED_PAD src0_sel:WORD_1 src1_sel:DWORD
	v_add_u16_e32 v28, 0xf000, v8
	v_lshlrev_b16_sdwa v29, v138, v7 dst_sel:DWORD dst_unused:UNUSED_PAD src0_sel:DWORD src1_sel:WORD_1
	v_mad_u64_u32 v[7:8], s[18:19], v76, 22, v[5:6]
	v_mad_u64_u32 v[9:10], s[18:19], v78, 22, v[5:6]
	v_add_co_u32_e32 v11, vcc, v7, v67
	v_mad_u64_u32 v[15:16], s[18:19], v81, 22, v[5:6]
	v_addc_co_u32_e32 v12, vcc, 0, v8, vcc
	v_add_co_u32_e32 v13, vcc, v9, v67
	v_mad_u64_u32 v[17:18], s[18:19], v83, 22, v[5:6]
	v_addc_co_u32_e32 v14, vcc, 0, v10, vcc
	v_add_co_u32_e32 v19, vcc, v15, v67
	v_addc_co_u32_e32 v20, vcc, 0, v16, vcc
	v_add_co_u32_e32 v21, vcc, v17, v67
	v_addc_co_u32_e32 v22, vcc, 0, v18, vcc
	global_load_dword v11, v[11:12], off offset:6
	s_nop 0
	global_load_dword v12, v[13:14], off offset:6
	global_load_dword v30, v[19:20], off offset:6
	global_load_dword v31, v[21:22], off offset:6
	global_load_dword v32, v[17:18], off offset:2
	s_nop 0
	global_load_dword v13, v[15:16], off offset:2
	s_nop 0
	global_load_dword v9, v[9:10], off offset:2
	;; [unrolled: 2-line block ×3, first 2 shown]
	v_lshlrev_b16_e32 v14, 8, v27
	v_and_b32_e32 v10, 0x1f00, v27
	v_add_u16_e32 v14, 0xf000, v14
	v_add_u16_e32 v8, 0xf000, v29
	v_or_b32_sdwa v10, v10, v14 dst_sel:DWORD dst_unused:UNUSED_PAD src0_sel:DWORD src1_sel:BYTE_1
	v_perm_b32 v8, v8, v28, s16
	v_add_u16_e32 v10, 0xf000, v10
	v_lshl_or_b32 v8, v8, 16, v10
	v_lshrrev_b32_e32 v10, 4, v24
	v_lshrrev_b32_e32 v14, 12, v26
	;; [unrolled: 1-line block ×3, first 2 shown]
	v_and_b32_e32 v10, 0xf0f0f0f, v10
	v_and_b32_e32 v14, 16, v14
	;; [unrolled: 1-line block ×3, first 2 shown]
	v_or3_b32 v14, v14, v10, v15
	v_lshlrev_b32_e32 v15, 2, v26
	v_lshlrev_b32_e32 v16, 9, v26
	v_and_b32_e32 v15, 0x100000, v15
	v_and_b32_e32 v16, 0x10000000, v16
	v_or3_b32 v10, v10, v15, v16
	v_and_b32_e32 v15, 0x1f00, v14
	v_lshlrev_b16_e32 v14, 8, v14
	v_add_u16_e32 v15, 0xf000, v15
	v_add_u16_e32 v14, 0xf000, v14
	v_perm_b32 v14, v14, v15, s16
	v_and_b32_sdwa v15, v10, s15 dst_sel:DWORD dst_unused:UNUSED_PAD src0_sel:WORD_1 src1_sel:DWORD
	v_lshlrev_b16_sdwa v10, v138, v10 dst_sel:DWORD dst_unused:UNUSED_PAD src0_sel:DWORD src1_sel:WORD_1
	v_add_u16_e32 v15, 0xf000, v15
	v_add_u16_e32 v10, 0xf000, v10
	v_perm_b32 v10, v10, v15, s16
	v_lshl_or_b32 v10, v10, 16, v14
	ds_write2_b32 v73, v8, v10 offset1:1
	v_ashrrev_i32_e32 v8, v67, v23
	v_lshlrev_b32_e32 v14, 4, v8
	v_lshlrev_b32_e32 v15, 11, v8
	s_waitcnt vmcnt(8)
	v_and_b32_e32 v10, 0xf0f0f0f, v25
	v_and_b32_e32 v14, 16, v14
	;; [unrolled: 1-line block ×3, first 2 shown]
	v_or3_b32 v14, v14, v10, v15
	v_lshlrev_b32_e32 v15, 18, v8
	v_lshlrev_b32_e32 v16, 25, v8
	v_and_b32_e32 v15, 0x100000, v15
	v_and_b32_e32 v16, 0x10000000, v16
	v_or3_b32 v10, v10, v15, v16
	v_and_b32_sdwa v15, v10, s15 dst_sel:DWORD dst_unused:UNUSED_PAD src0_sel:WORD_1 src1_sel:DWORD
	v_lshlrev_b16_sdwa v10, v138, v10 dst_sel:DWORD dst_unused:UNUSED_PAD src0_sel:DWORD src1_sel:WORD_1
	v_add_u16_e32 v15, 0xf000, v15
	v_add_u16_e32 v10, 0xf000, v10
	v_perm_b32 v10, v10, v15, s16
	v_and_b32_e32 v15, 0x1f00, v14
	v_lshlrev_b16_e32 v14, 8, v14
	v_add_u16_e32 v14, 0xf000, v14
	v_or_b32_sdwa v14, v15, v14 dst_sel:DWORD dst_unused:UNUSED_PAD src0_sel:DWORD src1_sel:BYTE_1
	v_add_u16_e32 v14, 0xf000, v14
	v_lshl_or_b32 v10, v10, 16, v14
	v_lshrrev_b32_e32 v14, 4, v25
	v_lshrrev_b32_e32 v15, 12, v8
	;; [unrolled: 1-line block ×3, first 2 shown]
	v_and_b32_e32 v14, 0xf0f0f0f, v14
	v_and_b32_e32 v15, 16, v15
	;; [unrolled: 1-line block ×3, first 2 shown]
	v_or3_b32 v15, v15, v14, v16
	v_lshlrev_b32_e32 v16, 2, v8
	v_lshlrev_b32_e32 v8, 9, v8
	v_and_b32_e32 v16, 0x100000, v16
	v_and_b32_e32 v8, 0x10000000, v8
	v_or3_b32 v8, v14, v16, v8
	v_and_b32_e32 v14, 0x1f00, v15
	v_lshlrev_b16_e32 v15, 8, v15
	v_add_u16_e32 v14, 0xf000, v14
	v_add_u16_e32 v15, 0xf000, v15
	v_perm_b32 v14, v15, v14, s16
	v_and_b32_sdwa v15, v8, s15 dst_sel:DWORD dst_unused:UNUSED_PAD src0_sel:WORD_1 src1_sel:DWORD
	v_lshlrev_b16_sdwa v8, v138, v8 dst_sel:DWORD dst_unused:UNUSED_PAD src0_sel:DWORD src1_sel:WORD_1
	v_add_u16_e32 v15, 0xf000, v15
	v_add_u16_e32 v8, 0xf000, v8
	v_perm_b32 v8, v8, v15, s16
	v_lshl_or_b32 v8, v8, 16, v14
	ds_write2_b32 v75, v10, v8 offset1:1
	s_waitcnt vmcnt(0)
	v_ashrrev_i32_e32 v7, v67, v7
	v_lshlrev_b32_e32 v10, 4, v7
	v_lshlrev_b32_e32 v14, 11, v7
	v_and_b32_e32 v8, 0xf0f0f0f, v11
	v_and_b32_e32 v10, 16, v10
	;; [unrolled: 1-line block ×3, first 2 shown]
	v_or3_b32 v10, v10, v8, v14
	v_lshlrev_b32_e32 v14, 18, v7
	v_lshlrev_b32_e32 v15, 25, v7
	v_and_b32_e32 v14, 0x100000, v14
	v_and_b32_e32 v15, 0x10000000, v15
	v_or3_b32 v8, v8, v14, v15
	v_and_b32_sdwa v14, v8, s15 dst_sel:DWORD dst_unused:UNUSED_PAD src0_sel:WORD_1 src1_sel:DWORD
	v_lshlrev_b16_sdwa v8, v138, v8 dst_sel:DWORD dst_unused:UNUSED_PAD src0_sel:DWORD src1_sel:WORD_1
	v_add_u16_e32 v14, 0xf000, v14
	v_add_u16_e32 v8, 0xf000, v8
	v_perm_b32 v8, v8, v14, s16
	v_and_b32_e32 v14, 0x1f00, v10
	v_lshlrev_b16_e32 v10, 8, v10
	v_add_u16_e32 v10, 0xf000, v10
	v_or_b32_sdwa v10, v14, v10 dst_sel:DWORD dst_unused:UNUSED_PAD src0_sel:DWORD src1_sel:BYTE_1
	v_add_u16_e32 v10, 0xf000, v10
	v_lshl_or_b32 v8, v8, 16, v10
	v_lshrrev_b32_e32 v10, 4, v11
	v_lshrrev_b32_e32 v11, 12, v7
	;; [unrolled: 1-line block ×3, first 2 shown]
	v_and_b32_e32 v10, 0xf0f0f0f, v10
	v_and_b32_e32 v11, 16, v11
	;; [unrolled: 1-line block ×3, first 2 shown]
	v_or3_b32 v11, v11, v10, v14
	v_lshlrev_b32_e32 v14, 2, v7
	v_lshlrev_b32_e32 v7, 9, v7
	v_and_b32_e32 v14, 0x100000, v14
	v_and_b32_e32 v7, 0x10000000, v7
	v_or3_b32 v7, v10, v14, v7
	v_and_b32_e32 v10, 0x1f00, v11
	v_lshlrev_b16_e32 v11, 8, v11
	v_add_u16_e32 v10, 0xf000, v10
	v_add_u16_e32 v11, 0xf000, v11
	v_perm_b32 v10, v11, v10, s16
	v_and_b32_sdwa v11, v7, s15 dst_sel:DWORD dst_unused:UNUSED_PAD src0_sel:WORD_1 src1_sel:DWORD
	v_lshlrev_b16_sdwa v7, v138, v7 dst_sel:DWORD dst_unused:UNUSED_PAD src0_sel:DWORD src1_sel:WORD_1
	v_add_u16_e32 v11, 0xf000, v11
	v_add_u16_e32 v7, 0xf000, v7
	v_perm_b32 v7, v7, v11, s16
	v_lshl_or_b32 v7, v7, 16, v10
	ds_write2_b32 v77, v8, v7 offset1:1
	v_ashrrev_i32_e32 v7, v67, v9
	v_lshlrev_b32_e32 v9, 4, v7
	v_lshlrev_b32_e32 v10, 11, v7
	v_and_b32_e32 v8, 0xf0f0f0f, v12
	v_and_b32_e32 v9, 16, v9
	;; [unrolled: 1-line block ×3, first 2 shown]
	v_or3_b32 v9, v9, v8, v10
	v_lshlrev_b32_e32 v10, 18, v7
	v_lshlrev_b32_e32 v11, 25, v7
	v_and_b32_e32 v10, 0x100000, v10
	v_and_b32_e32 v11, 0x10000000, v11
	v_or3_b32 v8, v8, v10, v11
	v_and_b32_sdwa v10, v8, s15 dst_sel:DWORD dst_unused:UNUSED_PAD src0_sel:WORD_1 src1_sel:DWORD
	v_lshlrev_b16_sdwa v8, v138, v8 dst_sel:DWORD dst_unused:UNUSED_PAD src0_sel:DWORD src1_sel:WORD_1
	v_add_u16_e32 v10, 0xf000, v10
	v_add_u16_e32 v8, 0xf000, v8
	v_perm_b32 v8, v8, v10, s16
	v_and_b32_e32 v10, 0x1f00, v9
	v_lshlrev_b16_e32 v9, 8, v9
	v_add_u16_e32 v9, 0xf000, v9
	v_or_b32_sdwa v9, v10, v9 dst_sel:DWORD dst_unused:UNUSED_PAD src0_sel:DWORD src1_sel:BYTE_1
	v_add_u16_e32 v9, 0xf000, v9
	v_lshl_or_b32 v8, v8, 16, v9
	v_lshrrev_b32_e32 v9, 4, v12
	v_lshrrev_b32_e32 v10, 12, v7
	;; [unrolled: 1-line block ×3, first 2 shown]
	v_and_b32_e32 v9, 0xf0f0f0f, v9
	v_and_b32_e32 v10, 16, v10
	v_and_b32_e32 v11, 0x1000, v11
	v_or3_b32 v10, v10, v9, v11
	v_lshlrev_b32_e32 v11, 2, v7
	v_lshlrev_b32_e32 v7, 9, v7
	v_and_b32_e32 v11, 0x100000, v11
	v_and_b32_e32 v7, 0x10000000, v7
	v_or3_b32 v7, v9, v11, v7
	v_and_b32_e32 v9, 0x1f00, v10
	v_lshlrev_b16_e32 v10, 8, v10
	v_add_u16_e32 v9, 0xf000, v9
	v_add_u16_e32 v10, 0xf000, v10
	v_perm_b32 v9, v10, v9, s16
	v_and_b32_sdwa v10, v7, s15 dst_sel:DWORD dst_unused:UNUSED_PAD src0_sel:WORD_1 src1_sel:DWORD
	v_lshlrev_b16_sdwa v7, v138, v7 dst_sel:DWORD dst_unused:UNUSED_PAD src0_sel:DWORD src1_sel:WORD_1
	v_add_u16_e32 v10, 0xf000, v10
	v_add_u16_e32 v7, 0xf000, v7
	v_perm_b32 v7, v7, v10, s16
	v_lshl_or_b32 v7, v7, 16, v9
	v_ashrrev_i32_e32 v23, v67, v13
	ds_write2_b32 v80, v8, v7 offset1:1
	v_lshlrev_b32_e32 v8, 4, v23
	v_lshlrev_b32_e32 v9, 11, v23
	v_and_b32_e32 v7, 0xf0f0f0f, v30
	v_and_b32_e32 v8, 16, v8
	;; [unrolled: 1-line block ×3, first 2 shown]
	v_or3_b32 v8, v8, v7, v9
	v_lshlrev_b32_e32 v9, 18, v23
	v_lshlrev_b32_e32 v10, 25, v23
	v_and_b32_e32 v9, 0x100000, v9
	v_and_b32_e32 v10, 0x10000000, v10
	v_or3_b32 v24, v7, v9, v10
	v_and_b32_e32 v7, 0x1f00, v8
	v_add_u16_e32 v25, 0xf000, v7
	v_lshlrev_b16_e32 v26, 8, v8
	v_mad_u64_u32 v[7:8], s[18:19], v85, 22, v[5:6]
	v_mad_u64_u32 v[9:10], s[18:19], v87, 22, v[5:6]
	v_add_co_u32_e32 v11, vcc, v7, v67
	v_mad_u64_u32 v[15:16], s[18:19], v89, 22, v[5:6]
	v_addc_co_u32_e32 v12, vcc, 0, v8, vcc
	v_add_co_u32_e32 v13, vcc, v9, v67
	v_mad_u64_u32 v[17:18], s[18:19], v91, 22, v[5:6]
	v_addc_co_u32_e32 v14, vcc, 0, v10, vcc
	v_add_co_u32_e32 v19, vcc, v15, v67
	v_addc_co_u32_e32 v20, vcc, 0, v16, vcc
	v_add_co_u32_e32 v21, vcc, v17, v67
	v_addc_co_u32_e32 v22, vcc, 0, v18, vcc
	global_load_dword v11, v[11:12], off offset:6
	s_nop 0
	global_load_dword v12, v[13:14], off offset:6
	global_load_dword v27, v[19:20], off offset:6
	s_nop 0
	global_load_dword v21, v[21:22], off offset:6
	s_nop 0
	global_load_dword v22, v[17:18], off offset:2
	global_load_dword v13, v[15:16], off offset:2
	s_nop 0
	global_load_dword v9, v[9:10], off offset:2
	s_nop 0
	global_load_dword v7, v[7:8], off offset:2
	v_and_b32_sdwa v10, v24, s15 dst_sel:DWORD dst_unused:UNUSED_PAD src0_sel:WORD_1 src1_sel:DWORD
	v_lshlrev_b16_sdwa v14, v138, v24 dst_sel:DWORD dst_unused:UNUSED_PAD src0_sel:DWORD src1_sel:WORD_1
	v_add_u16_e32 v8, 0xf000, v26
	v_add_u16_e32 v10, 0xf000, v10
	;; [unrolled: 1-line block ×3, first 2 shown]
	v_perm_b32 v8, v8, v25, s16
	v_perm_b32 v10, v14, v10, s16
	v_lshl_or_b32 v8, v10, 16, v8
	v_lshrrev_b32_e32 v10, 4, v30
	v_lshrrev_b32_e32 v14, 12, v23
	;; [unrolled: 1-line block ×3, first 2 shown]
	v_and_b32_e32 v10, 0xf0f0f0f, v10
	v_and_b32_e32 v14, 16, v14
	;; [unrolled: 1-line block ×3, first 2 shown]
	v_or3_b32 v14, v14, v10, v15
	v_lshlrev_b32_e32 v15, 2, v23
	v_lshlrev_b32_e32 v16, 9, v23
	v_and_b32_e32 v15, 0x100000, v15
	v_and_b32_e32 v16, 0x10000000, v16
	v_or3_b32 v10, v10, v15, v16
	v_and_b32_sdwa v15, v10, s15 dst_sel:DWORD dst_unused:UNUSED_PAD src0_sel:WORD_1 src1_sel:DWORD
	v_lshlrev_b16_sdwa v10, v138, v10 dst_sel:DWORD dst_unused:UNUSED_PAD src0_sel:DWORD src1_sel:WORD_1
	v_add_u16_e32 v15, 0xf000, v15
	v_add_u16_e32 v10, 0xf000, v10
	v_perm_b32 v10, v10, v15, s16
	v_and_b32_e32 v15, 0x1f00, v14
	v_lshlrev_b16_e32 v14, 8, v14
	v_add_u16_e32 v14, 0xf000, v14
	v_or_b32_sdwa v14, v15, v14 dst_sel:DWORD dst_unused:UNUSED_PAD src0_sel:DWORD src1_sel:BYTE_1
	v_add_u16_e32 v14, 0xf000, v14
	v_lshl_or_b32 v10, v10, 16, v14
	ds_write2_b32 v82, v8, v10 offset1:1
	v_ashrrev_i32_e32 v8, v67, v32
	v_lshlrev_b32_e32 v14, 4, v8
	v_lshlrev_b32_e32 v15, 11, v8
	v_and_b32_e32 v10, 0xf0f0f0f, v31
	v_and_b32_e32 v14, 16, v14
	;; [unrolled: 1-line block ×3, first 2 shown]
	v_or3_b32 v14, v14, v10, v15
	v_lshlrev_b32_e32 v15, 18, v8
	v_lshlrev_b32_e32 v16, 25, v8
	v_and_b32_e32 v15, 0x100000, v15
	v_and_b32_e32 v16, 0x10000000, v16
	v_or3_b32 v10, v10, v15, v16
	v_and_b32_e32 v15, 0x1f00, v14
	v_lshlrev_b16_e32 v14, 8, v14
	v_add_u16_e32 v15, 0xf000, v15
	v_add_u16_e32 v14, 0xf000, v14
	v_perm_b32 v14, v14, v15, s16
	v_and_b32_sdwa v15, v10, s15 dst_sel:DWORD dst_unused:UNUSED_PAD src0_sel:WORD_1 src1_sel:DWORD
	v_lshlrev_b16_sdwa v10, v138, v10 dst_sel:DWORD dst_unused:UNUSED_PAD src0_sel:DWORD src1_sel:WORD_1
	v_add_u16_e32 v15, 0xf000, v15
	v_add_u16_e32 v10, 0xf000, v10
	v_perm_b32 v10, v10, v15, s16
	v_lshl_or_b32 v10, v10, 16, v14
	v_lshrrev_b32_e32 v14, 4, v31
	v_lshrrev_b32_e32 v15, 12, v8
	;; [unrolled: 1-line block ×3, first 2 shown]
	v_and_b32_e32 v14, 0xf0f0f0f, v14
	v_and_b32_e32 v15, 16, v15
	;; [unrolled: 1-line block ×3, first 2 shown]
	v_or3_b32 v15, v15, v14, v16
	v_lshlrev_b32_e32 v16, 2, v8
	v_lshlrev_b32_e32 v8, 9, v8
	v_and_b32_e32 v16, 0x100000, v16
	v_and_b32_e32 v8, 0x10000000, v8
	v_or3_b32 v8, v14, v16, v8
	v_and_b32_sdwa v14, v8, s15 dst_sel:DWORD dst_unused:UNUSED_PAD src0_sel:WORD_1 src1_sel:DWORD
	v_lshlrev_b16_sdwa v8, v138, v8 dst_sel:DWORD dst_unused:UNUSED_PAD src0_sel:DWORD src1_sel:WORD_1
	v_add_u16_e32 v14, 0xf000, v14
	v_add_u16_e32 v8, 0xf000, v8
	v_perm_b32 v8, v8, v14, s16
	v_and_b32_e32 v14, 0x1f00, v15
	v_lshlrev_b16_e32 v15, 8, v15
	v_add_u16_e32 v15, 0xf000, v15
	v_or_b32_sdwa v14, v14, v15 dst_sel:DWORD dst_unused:UNUSED_PAD src0_sel:DWORD src1_sel:BYTE_1
	v_add_u16_e32 v14, 0xf000, v14
	v_lshl_or_b32 v8, v8, 16, v14
	ds_write2_b32 v84, v10, v8 offset1:1
	s_waitcnt vmcnt(0)
	v_ashrrev_i32_e32 v7, v67, v7
	v_lshlrev_b32_e32 v10, 4, v7
	v_lshlrev_b32_e32 v14, 11, v7
	v_and_b32_e32 v8, 0xf0f0f0f, v11
	v_and_b32_e32 v10, 16, v10
	;; [unrolled: 1-line block ×3, first 2 shown]
	v_or3_b32 v10, v10, v8, v14
	v_lshlrev_b32_e32 v14, 18, v7
	v_lshlrev_b32_e32 v15, 25, v7
	v_and_b32_e32 v14, 0x100000, v14
	v_and_b32_e32 v15, 0x10000000, v15
	v_or3_b32 v8, v8, v14, v15
	v_and_b32_e32 v14, 0x1f00, v10
	v_lshlrev_b16_e32 v10, 8, v10
	v_add_u16_e32 v14, 0xf000, v14
	v_add_u16_e32 v10, 0xf000, v10
	v_perm_b32 v10, v10, v14, s16
	v_and_b32_sdwa v14, v8, s15 dst_sel:DWORD dst_unused:UNUSED_PAD src0_sel:WORD_1 src1_sel:DWORD
	v_lshlrev_b16_sdwa v8, v138, v8 dst_sel:DWORD dst_unused:UNUSED_PAD src0_sel:DWORD src1_sel:WORD_1
	v_add_u16_e32 v14, 0xf000, v14
	v_add_u16_e32 v8, 0xf000, v8
	v_perm_b32 v8, v8, v14, s16
	v_lshl_or_b32 v8, v8, 16, v10
	v_lshrrev_b32_e32 v10, 4, v11
	v_lshrrev_b32_e32 v11, 12, v7
	;; [unrolled: 1-line block ×3, first 2 shown]
	v_and_b32_e32 v10, 0xf0f0f0f, v10
	v_and_b32_e32 v11, 16, v11
	;; [unrolled: 1-line block ×3, first 2 shown]
	v_or3_b32 v11, v11, v10, v14
	v_lshlrev_b32_e32 v14, 2, v7
	v_lshlrev_b32_e32 v7, 9, v7
	v_and_b32_e32 v14, 0x100000, v14
	v_and_b32_e32 v7, 0x10000000, v7
	v_or3_b32 v7, v10, v14, v7
	v_and_b32_sdwa v10, v7, s15 dst_sel:DWORD dst_unused:UNUSED_PAD src0_sel:WORD_1 src1_sel:DWORD
	v_lshlrev_b16_sdwa v7, v138, v7 dst_sel:DWORD dst_unused:UNUSED_PAD src0_sel:DWORD src1_sel:WORD_1
	v_add_u16_e32 v10, 0xf000, v10
	v_add_u16_e32 v7, 0xf000, v7
	v_perm_b32 v7, v7, v10, s16
	v_and_b32_e32 v10, 0x1f00, v11
	v_lshlrev_b16_e32 v11, 8, v11
	v_add_u16_e32 v11, 0xf000, v11
	v_or_b32_sdwa v10, v10, v11 dst_sel:DWORD dst_unused:UNUSED_PAD src0_sel:DWORD src1_sel:BYTE_1
	v_add_u16_e32 v10, 0xf000, v10
	v_lshl_or_b32 v7, v7, 16, v10
	ds_write2_b32 v86, v8, v7 offset1:1
	v_ashrrev_i32_e32 v7, v67, v9
	v_lshlrev_b32_e32 v9, 4, v7
	v_lshlrev_b32_e32 v10, 11, v7
	v_and_b32_e32 v8, 0xf0f0f0f, v12
	v_and_b32_e32 v9, 16, v9
	;; [unrolled: 1-line block ×3, first 2 shown]
	v_or3_b32 v9, v9, v8, v10
	v_lshlrev_b32_e32 v10, 18, v7
	v_lshlrev_b32_e32 v11, 25, v7
	v_and_b32_e32 v10, 0x100000, v10
	v_and_b32_e32 v11, 0x10000000, v11
	v_or3_b32 v8, v8, v10, v11
	v_and_b32_e32 v10, 0x1f00, v9
	v_lshlrev_b16_e32 v9, 8, v9
	v_add_u16_e32 v10, 0xf000, v10
	v_add_u16_e32 v9, 0xf000, v9
	v_perm_b32 v9, v9, v10, s16
	v_and_b32_sdwa v10, v8, s15 dst_sel:DWORD dst_unused:UNUSED_PAD src0_sel:WORD_1 src1_sel:DWORD
	v_lshlrev_b16_sdwa v8, v138, v8 dst_sel:DWORD dst_unused:UNUSED_PAD src0_sel:DWORD src1_sel:WORD_1
	v_add_u16_e32 v10, 0xf000, v10
	v_add_u16_e32 v8, 0xf000, v8
	v_perm_b32 v8, v8, v10, s16
	v_lshl_or_b32 v8, v8, 16, v9
	v_lshrrev_b32_e32 v9, 4, v12
	v_lshrrev_b32_e32 v10, 12, v7
	;; [unrolled: 1-line block ×3, first 2 shown]
	v_and_b32_e32 v9, 0xf0f0f0f, v9
	v_and_b32_e32 v10, 16, v10
	;; [unrolled: 1-line block ×3, first 2 shown]
	v_or3_b32 v10, v10, v9, v11
	v_lshlrev_b32_e32 v11, 2, v7
	v_lshlrev_b32_e32 v7, 9, v7
	v_and_b32_e32 v11, 0x100000, v11
	v_and_b32_e32 v7, 0x10000000, v7
	v_or3_b32 v7, v9, v11, v7
	v_and_b32_sdwa v9, v7, s15 dst_sel:DWORD dst_unused:UNUSED_PAD src0_sel:WORD_1 src1_sel:DWORD
	v_lshlrev_b16_sdwa v7, v138, v7 dst_sel:DWORD dst_unused:UNUSED_PAD src0_sel:DWORD src1_sel:WORD_1
	v_add_u16_e32 v9, 0xf000, v9
	v_add_u16_e32 v7, 0xf000, v7
	v_perm_b32 v7, v7, v9, s16
	v_and_b32_e32 v9, 0x1f00, v10
	v_lshlrev_b16_e32 v10, 8, v10
	v_add_u16_e32 v10, 0xf000, v10
	v_or_b32_sdwa v9, v9, v10 dst_sel:DWORD dst_unused:UNUSED_PAD src0_sel:DWORD src1_sel:BYTE_1
	v_add_u16_e32 v9, 0xf000, v9
	v_lshl_or_b32 v7, v7, 16, v9
	v_ashrrev_i32_e32 v23, v67, v13
	ds_write2_b32 v88, v8, v7 offset1:1
	v_lshlrev_b32_e32 v8, 4, v23
	v_lshlrev_b32_e32 v9, 11, v23
	v_and_b32_e32 v7, 0xf0f0f0f, v27
	v_and_b32_e32 v8, 16, v8
	;; [unrolled: 1-line block ×3, first 2 shown]
	v_or3_b32 v8, v8, v7, v9
	v_lshlrev_b32_e32 v9, 18, v23
	v_lshlrev_b32_e32 v10, 25, v23
	v_and_b32_e32 v9, 0x100000, v9
	v_and_b32_e32 v10, 0x10000000, v10
	v_or3_b32 v24, v7, v9, v10
	v_and_b32_e32 v7, 0x1f00, v8
	v_add_u16_e32 v25, 0xf000, v7
	v_lshlrev_b16_e32 v26, 8, v8
	v_mad_u64_u32 v[7:8], s[18:19], v93, 22, v[5:6]
	v_mad_u64_u32 v[9:10], s[18:19], v95, 22, v[5:6]
	v_add_co_u32_e32 v11, vcc, v7, v67
	v_mad_u64_u32 v[15:16], s[18:19], v97, 22, v[5:6]
	v_addc_co_u32_e32 v12, vcc, 0, v8, vcc
	v_add_co_u32_e32 v13, vcc, v9, v67
	v_mad_u64_u32 v[5:6], s[18:19], v100, 22, v[5:6]
	v_addc_co_u32_e32 v14, vcc, 0, v10, vcc
	v_add_co_u32_e32 v17, vcc, v15, v67
	v_addc_co_u32_e32 v18, vcc, 0, v16, vcc
	v_add_co_u32_e32 v19, vcc, v5, v67
	v_addc_co_u32_e32 v20, vcc, 0, v6, vcc
	global_load_dword v11, v[11:12], off offset:6
	s_nop 0
	global_load_dword v12, v[13:14], off offset:6
	s_nop 0
	global_load_dword v13, v[17:18], off offset:6
	global_load_dword v14, v[19:20], off offset:6
	s_nop 0
	global_load_dword v17, v[5:6], off offset:2
	s_nop 0
	global_load_dword v5, v[15:16], off offset:2
	global_load_dword v6, v[9:10], off offset:2
	s_nop 0
	global_load_dword v7, v[7:8], off offset:2
	v_and_b32_sdwa v9, v24, s15 dst_sel:DWORD dst_unused:UNUSED_PAD src0_sel:WORD_1 src1_sel:DWORD
	v_lshlrev_b16_sdwa v10, v138, v24 dst_sel:DWORD dst_unused:UNUSED_PAD src0_sel:DWORD src1_sel:WORD_1
	v_add_u16_e32 v8, 0xf000, v26
	v_add_u16_e32 v9, 0xf000, v9
	;; [unrolled: 1-line block ×3, first 2 shown]
	v_perm_b32 v8, v8, v25, s16
	v_perm_b32 v9, v10, v9, s16
	v_lshl_or_b32 v8, v9, 16, v8
	v_lshrrev_b32_e32 v9, 4, v27
	v_lshrrev_b32_e32 v10, 12, v23
	;; [unrolled: 1-line block ×3, first 2 shown]
	v_and_b32_e32 v9, 0xf0f0f0f, v9
	v_and_b32_e32 v10, 16, v10
	;; [unrolled: 1-line block ×3, first 2 shown]
	v_or3_b32 v10, v10, v9, v15
	v_lshlrev_b32_e32 v15, 2, v23
	v_lshlrev_b32_e32 v16, 9, v23
	v_and_b32_e32 v15, 0x100000, v15
	v_and_b32_e32 v16, 0x10000000, v16
	v_or3_b32 v9, v9, v15, v16
	v_and_b32_sdwa v15, v9, s15 dst_sel:DWORD dst_unused:UNUSED_PAD src0_sel:WORD_1 src1_sel:DWORD
	v_lshlrev_b16_sdwa v9, v138, v9 dst_sel:DWORD dst_unused:UNUSED_PAD src0_sel:DWORD src1_sel:WORD_1
	v_add_u16_e32 v15, 0xf000, v15
	v_add_u16_e32 v9, 0xf000, v9
	v_perm_b32 v9, v9, v15, s16
	v_and_b32_e32 v15, 0x1f00, v10
	v_lshlrev_b16_e32 v10, 8, v10
	v_add_u16_e32 v10, 0xf000, v10
	v_or_b32_sdwa v10, v15, v10 dst_sel:DWORD dst_unused:UNUSED_PAD src0_sel:DWORD src1_sel:BYTE_1
	v_add_u16_e32 v10, 0xf000, v10
	v_lshl_or_b32 v9, v9, 16, v10
	ds_write2_b32 v90, v8, v9 offset1:1
	v_ashrrev_i32_e32 v8, v67, v22
	v_lshlrev_b32_e32 v10, 4, v8
	v_lshlrev_b32_e32 v15, 11, v8
	v_and_b32_e32 v9, 0xf0f0f0f, v21
	v_and_b32_e32 v10, 16, v10
	;; [unrolled: 1-line block ×3, first 2 shown]
	v_or3_b32 v10, v10, v9, v15
	v_lshlrev_b32_e32 v15, 18, v8
	v_lshlrev_b32_e32 v16, 25, v8
	v_and_b32_e32 v15, 0x100000, v15
	v_and_b32_e32 v16, 0x10000000, v16
	v_or3_b32 v9, v9, v15, v16
	v_and_b32_e32 v15, 0x1f00, v10
	v_lshlrev_b16_e32 v10, 8, v10
	v_add_u16_e32 v15, 0xf000, v15
	v_add_u16_e32 v10, 0xf000, v10
	v_perm_b32 v10, v10, v15, s16
	v_and_b32_sdwa v15, v9, s15 dst_sel:DWORD dst_unused:UNUSED_PAD src0_sel:WORD_1 src1_sel:DWORD
	v_lshlrev_b16_sdwa v9, v138, v9 dst_sel:DWORD dst_unused:UNUSED_PAD src0_sel:DWORD src1_sel:WORD_1
	v_add_u16_e32 v15, 0xf000, v15
	v_add_u16_e32 v9, 0xf000, v9
	v_perm_b32 v9, v9, v15, s16
	v_lshl_or_b32 v9, v9, 16, v10
	v_lshrrev_b32_e32 v10, 4, v21
	v_lshrrev_b32_e32 v15, 12, v8
	;; [unrolled: 1-line block ×3, first 2 shown]
	v_and_b32_e32 v10, 0xf0f0f0f, v10
	v_and_b32_e32 v15, 16, v15
	;; [unrolled: 1-line block ×3, first 2 shown]
	v_or3_b32 v15, v15, v10, v16
	v_lshlrev_b32_e32 v16, 2, v8
	v_lshlrev_b32_e32 v8, 9, v8
	v_and_b32_e32 v16, 0x100000, v16
	v_and_b32_e32 v8, 0x10000000, v8
	v_or3_b32 v8, v10, v16, v8
	v_and_b32_sdwa v10, v8, s15 dst_sel:DWORD dst_unused:UNUSED_PAD src0_sel:WORD_1 src1_sel:DWORD
	v_lshlrev_b16_sdwa v8, v138, v8 dst_sel:DWORD dst_unused:UNUSED_PAD src0_sel:DWORD src1_sel:WORD_1
	v_add_u16_e32 v10, 0xf000, v10
	v_add_u16_e32 v8, 0xf000, v8
	v_perm_b32 v8, v8, v10, s16
	v_and_b32_e32 v10, 0x1f00, v15
	v_lshlrev_b16_e32 v15, 8, v15
	v_add_u16_e32 v15, 0xf000, v15
	v_or_b32_sdwa v10, v10, v15 dst_sel:DWORD dst_unused:UNUSED_PAD src0_sel:DWORD src1_sel:BYTE_1
	v_add_u16_e32 v10, 0xf000, v10
	v_lshl_or_b32 v8, v8, 16, v10
	ds_write2_b32 v92, v9, v8 offset1:1
	s_waitcnt vmcnt(0)
	v_ashrrev_i32_e32 v7, v67, v7
	v_lshlrev_b32_e32 v9, 4, v7
	v_lshlrev_b32_e32 v10, 11, v7
	v_and_b32_e32 v8, 0xf0f0f0f, v11
	v_and_b32_e32 v9, 16, v9
	;; [unrolled: 1-line block ×3, first 2 shown]
	v_or3_b32 v9, v9, v8, v10
	v_lshlrev_b32_e32 v10, 18, v7
	v_lshlrev_b32_e32 v15, 25, v7
	v_and_b32_e32 v10, 0x100000, v10
	v_and_b32_e32 v15, 0x10000000, v15
	v_or3_b32 v8, v8, v10, v15
	v_and_b32_e32 v10, 0x1f00, v9
	v_lshlrev_b16_e32 v9, 8, v9
	v_add_u16_e32 v10, 0xf000, v10
	v_add_u16_e32 v9, 0xf000, v9
	v_perm_b32 v9, v9, v10, s16
	v_and_b32_sdwa v10, v8, s15 dst_sel:DWORD dst_unused:UNUSED_PAD src0_sel:WORD_1 src1_sel:DWORD
	v_lshlrev_b16_sdwa v8, v138, v8 dst_sel:DWORD dst_unused:UNUSED_PAD src0_sel:DWORD src1_sel:WORD_1
	v_add_u16_e32 v10, 0xf000, v10
	v_add_u16_e32 v8, 0xf000, v8
	v_perm_b32 v8, v8, v10, s16
	v_lshl_or_b32 v8, v8, 16, v9
	v_lshrrev_b32_e32 v9, 4, v11
	v_lshrrev_b32_e32 v10, 12, v7
	;; [unrolled: 1-line block ×3, first 2 shown]
	v_and_b32_e32 v9, 0xf0f0f0f, v9
	v_and_b32_e32 v10, 16, v10
	;; [unrolled: 1-line block ×3, first 2 shown]
	v_or3_b32 v10, v10, v9, v11
	v_lshlrev_b32_e32 v11, 2, v7
	v_lshlrev_b32_e32 v7, 9, v7
	v_and_b32_e32 v11, 0x100000, v11
	v_and_b32_e32 v7, 0x10000000, v7
	v_or3_b32 v7, v9, v11, v7
	v_and_b32_sdwa v9, v7, s15 dst_sel:DWORD dst_unused:UNUSED_PAD src0_sel:WORD_1 src1_sel:DWORD
	v_lshlrev_b16_sdwa v7, v138, v7 dst_sel:DWORD dst_unused:UNUSED_PAD src0_sel:DWORD src1_sel:WORD_1
	v_add_u16_e32 v9, 0xf000, v9
	v_add_u16_e32 v7, 0xf000, v7
	v_perm_b32 v7, v7, v9, s16
	v_and_b32_e32 v9, 0x1f00, v10
	v_lshlrev_b16_e32 v10, 8, v10
	v_add_u16_e32 v10, 0xf000, v10
	v_or_b32_sdwa v9, v9, v10 dst_sel:DWORD dst_unused:UNUSED_PAD src0_sel:DWORD src1_sel:BYTE_1
	v_add_u16_e32 v9, 0xf000, v9
	v_lshl_or_b32 v7, v7, 16, v9
	v_ashrrev_i32_e32 v6, v67, v6
	ds_write2_b32 v94, v8, v7 offset1:1
	v_lshlrev_b32_e32 v8, 4, v6
	v_lshlrev_b32_e32 v9, 11, v6
	v_and_b32_e32 v7, 0xf0f0f0f, v12
	v_and_b32_e32 v8, 16, v8
	;; [unrolled: 1-line block ×3, first 2 shown]
	v_or3_b32 v8, v8, v7, v9
	v_lshlrev_b32_e32 v9, 18, v6
	v_lshlrev_b32_e32 v10, 25, v6
	v_and_b32_e32 v9, 0x100000, v9
	v_and_b32_e32 v10, 0x10000000, v10
	v_or3_b32 v7, v7, v9, v10
	v_and_b32_e32 v9, 0x1f00, v8
	v_lshlrev_b16_e32 v8, 8, v8
	v_add_u16_e32 v9, 0xf000, v9
	v_add_u16_e32 v8, 0xf000, v8
	v_perm_b32 v8, v8, v9, s16
	v_and_b32_sdwa v9, v7, s15 dst_sel:DWORD dst_unused:UNUSED_PAD src0_sel:WORD_1 src1_sel:DWORD
	v_lshlrev_b16_sdwa v7, v138, v7 dst_sel:DWORD dst_unused:UNUSED_PAD src0_sel:DWORD src1_sel:WORD_1
	v_add_u16_e32 v9, 0xf000, v9
	v_add_u16_e32 v7, 0xf000, v7
	v_perm_b32 v7, v7, v9, s16
	v_lshl_or_b32 v7, v7, 16, v8
	v_lshrrev_b32_e32 v8, 4, v12
	v_lshrrev_b32_e32 v9, 12, v6
	;; [unrolled: 1-line block ×3, first 2 shown]
	v_and_b32_e32 v8, 0xf0f0f0f, v8
	v_and_b32_e32 v9, 16, v9
	;; [unrolled: 1-line block ×3, first 2 shown]
	v_or3_b32 v9, v9, v8, v10
	v_lshlrev_b32_e32 v10, 2, v6
	v_lshlrev_b32_e32 v6, 9, v6
	v_and_b32_e32 v10, 0x100000, v10
	v_and_b32_e32 v6, 0x10000000, v6
	v_or3_b32 v6, v8, v10, v6
	v_and_b32_sdwa v8, v6, s15 dst_sel:DWORD dst_unused:UNUSED_PAD src0_sel:WORD_1 src1_sel:DWORD
	v_lshlrev_b16_sdwa v6, v138, v6 dst_sel:DWORD dst_unused:UNUSED_PAD src0_sel:DWORD src1_sel:WORD_1
	v_add_u16_e32 v8, 0xf000, v8
	v_add_u16_e32 v6, 0xf000, v6
	v_perm_b32 v6, v6, v8, s16
	v_and_b32_e32 v8, 0x1f00, v9
	v_lshlrev_b16_e32 v9, 8, v9
	v_add_u16_e32 v9, 0xf000, v9
	v_or_b32_sdwa v8, v8, v9 dst_sel:DWORD dst_unused:UNUSED_PAD src0_sel:DWORD src1_sel:BYTE_1
	v_add_u16_e32 v8, 0xf000, v8
	v_lshl_or_b32 v6, v6, 16, v8
	v_ashrrev_i32_e32 v11, v67, v5
	ds_write2_b32 v96, v7, v6 offset1:1
	v_lshlrev_b32_e32 v6, 4, v11
	v_lshlrev_b32_e32 v7, 11, v11
	v_and_b32_e32 v5, 0xf0f0f0f, v13
	v_and_b32_e32 v6, 16, v6
	;; [unrolled: 1-line block ×3, first 2 shown]
	v_or3_b32 v7, v6, v5, v7
	v_lshlrev_b32_e32 v6, 18, v11
	v_lshlrev_b32_e32 v8, 25, v11
	v_and_b32_e32 v6, 0x100000, v6
	v_and_b32_e32 v8, 0x10000000, v8
	v_or3_b32 v12, v5, v6, v8
	v_mad_u64_u32 v[5:6], s[0:1], v102, 22, s[0:1]
	v_and_b32_e32 v8, 0x1f00, v7
	v_add_u16_e32 v9, 0xf000, v8
	v_lshlrev_b16_e32 v10, 8, v7
	v_mad_u64_u32 v[7:8], s[0:1], v104, 22, v[5:6]
	v_add_u16_e32 v10, 0xf000, v10
	v_perm_b32 v15, v10, v9, s16
	global_load_ushort v18, v[7:8], off
	v_mad_u64_u32 v[7:8], s[0:1], v105, 22, v[5:6]
	v_mad_u64_u32 v[9:10], s[0:1], v107, 22, v[5:6]
	;; [unrolled: 1-line block ×3, first 2 shown]
	global_load_ushort v7, v[7:8], off
	s_nop 0
	global_load_ushort v8, v[9:10], off
	v_and_b32_sdwa v16, v12, s15 dst_sel:DWORD dst_unused:UNUSED_PAD src0_sel:WORD_1 src1_sel:DWORD
	global_load_ushort v5, v[5:6], off
	v_lshlrev_b16_sdwa v6, v138, v12 dst_sel:DWORD dst_unused:UNUSED_PAD src0_sel:DWORD src1_sel:WORD_1
	v_add_u16_e32 v9, 0xf000, v16
	v_add_u16_e32 v6, 0xf000, v6
	v_perm_b32 v6, v6, v9, s16
	v_lshrrev_b32_e32 v9, 4, v13
	v_lshrrev_b32_e32 v10, 12, v11
	;; [unrolled: 1-line block ×3, first 2 shown]
	v_and_b32_e32 v9, 0xf0f0f0f, v9
	v_and_b32_e32 v10, 16, v10
	;; [unrolled: 1-line block ×3, first 2 shown]
	v_or3_b32 v10, v10, v9, v12
	v_lshlrev_b32_e32 v12, 2, v11
	v_lshlrev_b32_e32 v11, 9, v11
	v_and_b32_e32 v12, 0x100000, v12
	v_and_b32_e32 v11, 0x10000000, v11
	v_or3_b32 v9, v9, v12, v11
	v_and_b32_sdwa v11, v9, s15 dst_sel:DWORD dst_unused:UNUSED_PAD src0_sel:WORD_1 src1_sel:DWORD
	v_lshlrev_b16_sdwa v9, v138, v9 dst_sel:DWORD dst_unused:UNUSED_PAD src0_sel:DWORD src1_sel:WORD_1
	v_add_u16_e32 v11, 0xf000, v11
	v_add_u16_e32 v9, 0xf000, v9
	v_perm_b32 v9, v9, v11, s16
	v_and_b32_e32 v11, 0x1f00, v10
	v_lshlrev_b16_e32 v10, 8, v10
	v_add_u16_e32 v10, 0xf000, v10
	v_or_b32_sdwa v10, v11, v10 dst_sel:DWORD dst_unused:UNUSED_PAD src0_sel:DWORD src1_sel:BYTE_1
	v_add_u16_e32 v10, 0xf000, v10
	v_lshl_or_b32 v6, v6, 16, v15
	v_lshl_or_b32 v9, v9, 16, v10
	ds_write2_b32 v98, v6, v9 offset1:1
	v_ashrrev_i32_e32 v6, v67, v17
	v_lshlrev_b32_e32 v10, 4, v6
	v_lshlrev_b32_e32 v11, 11, v6
	v_and_b32_e32 v9, 0xf0f0f0f, v14
	v_and_b32_e32 v10, 16, v10
	;; [unrolled: 1-line block ×3, first 2 shown]
	v_or3_b32 v10, v10, v9, v11
	v_lshlrev_b32_e32 v11, 18, v6
	v_lshlrev_b32_e32 v12, 25, v6
	v_and_b32_e32 v11, 0x100000, v11
	v_and_b32_e32 v12, 0x10000000, v12
	v_or3_b32 v9, v9, v11, v12
	v_and_b32_e32 v11, 0x1f00, v10
	v_lshlrev_b16_e32 v10, 8, v10
	v_add_u16_e32 v11, 0xf000, v11
	v_add_u16_e32 v10, 0xf000, v10
	v_perm_b32 v10, v10, v11, s16
	v_and_b32_sdwa v11, v9, s15 dst_sel:DWORD dst_unused:UNUSED_PAD src0_sel:WORD_1 src1_sel:DWORD
	v_lshlrev_b16_sdwa v9, v138, v9 dst_sel:DWORD dst_unused:UNUSED_PAD src0_sel:DWORD src1_sel:WORD_1
	v_add_u16_e32 v11, 0xf000, v11
	v_add_u16_e32 v9, 0xf000, v9
	v_perm_b32 v9, v9, v11, s16
	v_lshl_or_b32 v9, v9, 16, v10
	v_lshrrev_b32_e32 v10, 4, v14
	v_lshrrev_b32_e32 v11, 12, v6
	;; [unrolled: 1-line block ×3, first 2 shown]
	v_and_b32_e32 v10, 0xf0f0f0f, v10
	v_and_b32_e32 v11, 16, v11
	;; [unrolled: 1-line block ×3, first 2 shown]
	v_or3_b32 v11, v11, v10, v12
	v_lshlrev_b32_e32 v12, 2, v6
	v_lshlrev_b32_e32 v6, 9, v6
	v_and_b32_e32 v12, 0x100000, v12
	v_and_b32_e32 v6, 0x10000000, v6
	v_or3_b32 v6, v10, v12, v6
	v_and_b32_sdwa v10, v6, s15 dst_sel:DWORD dst_unused:UNUSED_PAD src0_sel:WORD_1 src1_sel:DWORD
	v_lshlrev_b16_sdwa v6, v138, v6 dst_sel:DWORD dst_unused:UNUSED_PAD src0_sel:DWORD src1_sel:WORD_1
	v_add_u16_e32 v10, 0xf000, v10
	v_add_u16_e32 v6, 0xf000, v6
	v_perm_b32 v6, v6, v10, s16
	v_and_b32_e32 v10, 0x1f00, v11
	v_lshlrev_b16_e32 v11, 8, v11
	v_add_u16_e32 v11, 0xf000, v11
	v_or_b32_sdwa v10, v10, v11 dst_sel:DWORD dst_unused:UNUSED_PAD src0_sel:DWORD src1_sel:BYTE_1
	v_add_u16_e32 v10, 0xf000, v10
	v_lshl_or_b32 v6, v6, 16, v10
	s_waitcnt vmcnt(3)
	v_cvt_f32_f16_e32 v10, v18
	ds_write2_b32 v101, v9, v6 offset1:1
	s_waitcnt vmcnt(2)
	v_cvt_f32_f16_e32 v6, v7
	s_waitcnt vmcnt(1)
	v_cvt_f32_f16_e32 v7, v8
	;; [unrolled: 2-line block ×3, first 2 shown]
	ds_write_b32 v134, v10
	ds_write_b32 v135, v6
	ds_write_b32 v136, v7
	ds_write_b32 v137, v5
	s_cbranch_scc0 .LBB121_5
; %bb.7:                                ;   in Loop: Header=BB121_6 Depth=1
	v_add_u32_e32 v146, s14, v2
	v_add_u32_e32 v21, s14, v103
	;; [unrolled: 1-line block ×3, first 2 shown]
	v_mad_u64_u32 v[19:20], s[0:1], v146, 36, s[2:3]
	v_mad_i64_i32 v[5:6], s[0:1], v5, 36, v[3:4]
	v_add_u32_e32 v7, v21, v114
	v_mad_i64_i32 v[7:8], s[0:1], v7, 36, v[3:4]
	v_add_u32_e32 v9, v21, v115
	v_add_u32_e32 v11, v21, v116
	v_mad_i64_i32 v[9:10], s[0:1], v9, 36, v[3:4]
	v_mad_i64_i32 v[11:12], s[0:1], v11, 36, v[3:4]
	v_add_u32_e32 v13, v21, v117
	v_add_u32_e32 v15, v21, v118
	;; [unrolled: 1-line block ×4, first 2 shown]
	v_mad_i64_i32 v[13:14], s[0:1], v13, 36, v[3:4]
	v_mad_i64_i32 v[15:16], s[0:1], v15, 36, v[3:4]
	;; [unrolled: 1-line block ×4, first 2 shown]
	global_load_dword v19, v[19:20], off
	s_nop 0
	global_load_dword v5, v[5:6], off offset:4
	s_nop 0
	global_load_dword v6, v[7:8], off offset:4
	;; [unrolled: 2-line block ×3, first 2 shown]
	global_load_dword v8, v[11:12], off offset:4
	s_nop 0
	global_load_dword v9, v[13:14], off offset:4
	global_load_dword v10, v[15:16], off offset:4
	;; [unrolled: 1-line block ×4, first 2 shown]
	v_add_u32_e32 v147, v110, v113
	s_mov_b32 s0, -4
	v_mov_b32_e32 v148, v128
	v_mov_b32_e32 v149, v121
	;; [unrolled: 1-line block ×7, first 2 shown]
	s_waitcnt vmcnt(8)
	v_cvt_f32_f16_e32 v13, v19
	s_waitcnt vmcnt(7)
	ds_write_b32 v147, v5
	s_waitcnt vmcnt(6)
	ds_write_b32 v139, v6
	;; [unrolled: 2-line block ×8, first 2 shown]
	ds_write_b32 v111, v13
	s_waitcnt lgkmcnt(0)
	s_barrier
.LBB121_8:                              ;   Parent Loop BB121_6 Depth=1
                                        ; =>  This Inner Loop Header: Depth=2
	ds_read_b128 v[159:162], v148
	ds_read_b128 v[163:166], v148 offset:16
	ds_read2_b32 v[167:168], v150 offset1:32
	ds_read_b32 v155, v151
	ds_read2_b32 v[5:6], v149 offset1:1
	s_add_i32 s0, s0, 4
	v_add_u32_e32 v151, 4, v151
	s_cmp_lt_u32 s0, 12
	s_waitcnt lgkmcnt(1)
	v_mul_f32_e32 v14, v167, v155
	s_waitcnt lgkmcnt(0)
	v_dot4_i32_i8 v7, v5, v159, 0
	v_dot4_i32_i8 v9, v6, v163, v7
	ds_read2_b32 v[7:8], v149 offset0:2 offset1:3
	v_mul_f32_e32 v169, v155, v168
	s_waitcnt lgkmcnt(0)
	v_dot4_i32_i8 v9, v7, v160, v9
	v_dot4_i32_i8 v11, v8, v164, v9
	ds_read2_b32 v[9:10], v149 offset0:4 offset1:5
	s_waitcnt lgkmcnt(0)
	v_dot4_i32_i8 v11, v9, v161, v11
	v_dot4_i32_i8 v13, v10, v165, v11
	ds_read2_b32 v[11:12], v149 offset0:6 offset1:7
	s_waitcnt lgkmcnt(0)
	v_dot4_i32_i8 v13, v11, v162, v13
	v_dot4_i32_i8 v13, v12, v166, v13
	v_cvt_f32_i32_e32 v13, v13
	v_fmac_f32_e32 v59, v14, v13
	v_add_u32_e32 v13, 0x2080, v149
	ds_read_b32 v156, v152
	ds_read2_b32 v[13:14], v13 offset1:1
	v_add_u32_e32 v152, 4, v152
	s_waitcnt lgkmcnt(1)
	v_mul_f32_e32 v22, v167, v156
	s_waitcnt lgkmcnt(0)
	v_dot4_i32_i8 v15, v13, v159, 0
	v_dot4_i32_i8 v17, v14, v163, v15
	v_add_u32_e32 v15, 0x2088, v149
	ds_read2_b32 v[15:16], v15 offset1:1
	s_waitcnt lgkmcnt(0)
	v_dot4_i32_i8 v17, v15, v160, v17
	v_dot4_i32_i8 v19, v16, v164, v17
	v_add_u32_e32 v17, 0x2090, v149
	ds_read2_b32 v[17:18], v17 offset1:1
	;; [unrolled: 5-line block ×3, first 2 shown]
	s_waitcnt lgkmcnt(0)
	v_dot4_i32_i8 v21, v19, v162, v21
	v_dot4_i32_i8 v21, v20, v166, v21
	v_cvt_f32_i32_e32 v21, v21
	v_fmac_f32_e32 v109, v22, v21
	v_add_u32_e32 v21, 0x4100, v149
	ds_read_b32 v157, v153
	ds_read2_b32 v[21:22], v21 offset1:1
	v_add_u32_e32 v153, 4, v153
	s_waitcnt lgkmcnt(1)
	v_mul_f32_e32 v30, v167, v157
	s_waitcnt lgkmcnt(0)
	v_dot4_i32_i8 v23, v21, v159, 0
	v_dot4_i32_i8 v25, v22, v163, v23
	v_add_u32_e32 v23, 0x4108, v149
	ds_read2_b32 v[23:24], v23 offset1:1
	s_waitcnt lgkmcnt(0)
	v_dot4_i32_i8 v25, v23, v160, v25
	v_dot4_i32_i8 v27, v24, v164, v25
	v_add_u32_e32 v25, 0x4110, v149
	ds_read2_b32 v[25:26], v25 offset1:1
	;; [unrolled: 5-line block ×3, first 2 shown]
	s_waitcnt lgkmcnt(0)
	v_dot4_i32_i8 v29, v27, v162, v29
	v_dot4_i32_i8 v29, v28, v166, v29
	v_cvt_f32_i32_e32 v29, v29
	v_fmac_f32_e32 v106, v30, v29
	v_add_u32_e32 v29, 0x6180, v149
	ds_read_b32 v158, v154
	ds_read2_b32 v[29:30], v29 offset1:1
	v_add_u32_e32 v154, 4, v154
	s_waitcnt lgkmcnt(0)
	v_dot4_i32_i8 v31, v29, v159, 0
	v_dot4_i32_i8 v33, v30, v163, v31
	v_add_u32_e32 v31, 0x6188, v149
	ds_read2_b32 v[31:32], v31 offset1:1
	s_waitcnt lgkmcnt(0)
	v_dot4_i32_i8 v33, v31, v160, v33
	v_dot4_i32_i8 v35, v32, v164, v33
	v_add_u32_e32 v33, 0x6190, v149
	ds_read2_b32 v[33:34], v33 offset1:1
	v_mul_f32_e32 v160, v167, v158
	s_waitcnt lgkmcnt(0)
	v_dot4_i32_i8 v35, v33, v161, v35
	v_dot4_i32_i8 v159, v34, v165, v35
	v_add_u32_e32 v35, 0x6198, v149
	ds_read2_b32 v[35:36], v35 offset1:1
	v_add_u32_e32 v149, 32, v149
	s_waitcnt lgkmcnt(0)
	v_dot4_i32_i8 v159, v35, v162, v159
	v_dot4_i32_i8 v159, v36, v166, v159
	v_cvt_f32_i32_e32 v159, v159
	v_fmac_f32_e32 v99, v160, v159
	ds_read_b128 v[159:162], v148 offset:1024
	ds_read_b128 v[163:166], v148 offset:1040
	s_waitcnt lgkmcnt(1)
	v_dot4_i32_i8 v167, v5, v159, 0
	s_waitcnt lgkmcnt(0)
	v_dot4_i32_i8 v167, v6, v163, v167
	v_dot4_i32_i8 v167, v7, v160, v167
	;; [unrolled: 1-line block ×7, first 2 shown]
	v_cvt_f32_i32_e32 v167, v167
	v_fmac_f32_e32 v79, v169, v167
	v_dot4_i32_i8 v167, v13, v159, 0
	v_dot4_i32_i8 v167, v14, v163, v167
	;; [unrolled: 1-line block ×8, first 2 shown]
	v_cvt_f32_i32_e32 v167, v167
	v_mul_f32_e32 v169, v156, v168
	v_fmac_f32_e32 v66, v169, v167
	v_dot4_i32_i8 v167, v21, v159, 0
	v_dot4_i32_i8 v159, v29, v159, 0
	v_dot4_i32_i8 v167, v22, v163, v167
	v_dot4_i32_i8 v159, v30, v163, v159
	v_dot4_i32_i8 v167, v23, v160, v167
	v_dot4_i32_i8 v159, v31, v160, v159
	v_dot4_i32_i8 v167, v24, v164, v167
	v_dot4_i32_i8 v159, v32, v164, v159
	v_dot4_i32_i8 v167, v25, v161, v167
	v_dot4_i32_i8 v159, v33, v161, v159
	v_dot4_i32_i8 v167, v26, v165, v167
	v_dot4_i32_i8 v159, v34, v165, v159
	v_dot4_i32_i8 v167, v27, v162, v167
	v_dot4_i32_i8 v159, v35, v162, v159
	v_dot4_i32_i8 v167, v28, v166, v167
	v_dot4_i32_i8 v159, v36, v166, v159
	v_cvt_f32_i32_e32 v167, v167
	v_cvt_f32_i32_e32 v159, v159
	v_mul_f32_e32 v169, v157, v168
	v_mul_f32_e32 v160, v158, v168
	v_fmac_f32_e32 v64, v169, v167
	v_fmac_f32_e32 v63, v160, v159
	ds_read_b128 v[159:162], v148 offset:2048
	ds_read_b128 v[163:166], v148 offset:2064
	ds_read2_b32 v[167:168], v150 offset0:64 offset1:96
	s_waitcnt lgkmcnt(2)
	v_dot4_i32_i8 v169, v5, v159, 0
	s_waitcnt lgkmcnt(1)
	v_dot4_i32_i8 v169, v6, v163, v169
	v_dot4_i32_i8 v169, v7, v160, v169
	;; [unrolled: 1-line block ×7, first 2 shown]
	v_cvt_f32_i32_e32 v169, v169
	s_waitcnt lgkmcnt(0)
	v_mul_f32_e32 v170, v155, v167
	v_fmac_f32_e32 v62, v170, v169
	v_dot4_i32_i8 v169, v13, v159, 0
	v_dot4_i32_i8 v169, v14, v163, v169
	;; [unrolled: 1-line block ×8, first 2 shown]
	v_cvt_f32_i32_e32 v169, v169
	v_mul_f32_e32 v170, v156, v167
	v_fmac_f32_e32 v61, v170, v169
	v_dot4_i32_i8 v169, v21, v159, 0
	v_dot4_i32_i8 v159, v29, v159, 0
	v_dot4_i32_i8 v159, v30, v163, v159
	v_dot4_i32_i8 v159, v31, v160, v159
	v_dot4_i32_i8 v159, v32, v164, v159
	v_dot4_i32_i8 v159, v33, v161, v159
	v_dot4_i32_i8 v159, v34, v165, v159
	v_dot4_i32_i8 v169, v22, v163, v169
	v_dot4_i32_i8 v159, v35, v162, v159
	v_dot4_i32_i8 v169, v23, v160, v169
	v_dot4_i32_i8 v159, v36, v166, v159
	v_dot4_i32_i8 v169, v24, v164, v169
	v_cvt_f32_i32_e32 v159, v159
	v_dot4_i32_i8 v169, v25, v161, v169
	v_dot4_i32_i8 v169, v26, v165, v169
	;; [unrolled: 1-line block ×3, first 2 shown]
	v_mul_f32_e32 v160, v158, v167
	v_dot4_i32_i8 v169, v28, v166, v169
	v_fmac_f32_e32 v57, v160, v159
	ds_read_b128 v[159:162], v148 offset:3072
	ds_read_b128 v[163:166], v148 offset:3088
	v_mul_f32_e32 v170, v157, v167
	v_cvt_f32_i32_e32 v169, v169
	s_waitcnt lgkmcnt(1)
	v_dot4_i32_i8 v167, v5, v159, 0
	s_waitcnt lgkmcnt(0)
	v_dot4_i32_i8 v167, v6, v163, v167
	v_dot4_i32_i8 v167, v7, v160, v167
	;; [unrolled: 1-line block ×7, first 2 shown]
	v_cvt_f32_i32_e32 v167, v167
	v_fmac_f32_e32 v60, v170, v169
	v_mul_f32_e32 v169, v155, v168
	v_fmac_f32_e32 v56, v169, v167
	v_dot4_i32_i8 v167, v13, v159, 0
	v_dot4_i32_i8 v167, v14, v163, v167
	;; [unrolled: 1-line block ×8, first 2 shown]
	v_cvt_f32_i32_e32 v167, v167
	v_mul_f32_e32 v169, v156, v168
	v_fmac_f32_e32 v55, v169, v167
	v_dot4_i32_i8 v167, v21, v159, 0
	v_dot4_i32_i8 v159, v29, v159, 0
	;; [unrolled: 1-line block ×16, first 2 shown]
	v_cvt_f32_i32_e32 v167, v167
	v_cvt_f32_i32_e32 v159, v159
	v_mul_f32_e32 v169, v157, v168
	v_mul_f32_e32 v160, v158, v168
	v_fmac_f32_e32 v54, v169, v167
	v_fmac_f32_e32 v53, v160, v159
	ds_read_b128 v[159:162], v148 offset:4096
	ds_read_b128 v[163:166], v148 offset:4112
	ds_read2_b32 v[167:168], v150 offset0:128 offset1:160
	s_waitcnt lgkmcnt(2)
	v_dot4_i32_i8 v169, v5, v159, 0
	s_waitcnt lgkmcnt(1)
	v_dot4_i32_i8 v169, v6, v163, v169
	v_dot4_i32_i8 v169, v7, v160, v169
	;; [unrolled: 1-line block ×7, first 2 shown]
	v_cvt_f32_i32_e32 v169, v169
	s_waitcnt lgkmcnt(0)
	v_mul_f32_e32 v170, v155, v167
	v_fmac_f32_e32 v52, v170, v169
	v_dot4_i32_i8 v169, v13, v159, 0
	v_dot4_i32_i8 v169, v14, v163, v169
	;; [unrolled: 1-line block ×8, first 2 shown]
	v_cvt_f32_i32_e32 v169, v169
	v_mul_f32_e32 v170, v156, v167
	v_fmac_f32_e32 v51, v170, v169
	v_dot4_i32_i8 v169, v21, v159, 0
	v_dot4_i32_i8 v159, v29, v159, 0
	v_dot4_i32_i8 v159, v30, v163, v159
	v_dot4_i32_i8 v159, v31, v160, v159
	v_dot4_i32_i8 v159, v32, v164, v159
	v_dot4_i32_i8 v159, v33, v161, v159
	v_dot4_i32_i8 v159, v34, v165, v159
	v_dot4_i32_i8 v169, v22, v163, v169
	v_dot4_i32_i8 v159, v35, v162, v159
	v_dot4_i32_i8 v169, v23, v160, v169
	v_dot4_i32_i8 v159, v36, v166, v159
	v_dot4_i32_i8 v169, v24, v164, v169
	v_cvt_f32_i32_e32 v159, v159
	v_dot4_i32_i8 v169, v25, v161, v169
	v_dot4_i32_i8 v169, v26, v165, v169
	;; [unrolled: 1-line block ×3, first 2 shown]
	v_mul_f32_e32 v160, v158, v167
	v_dot4_i32_i8 v169, v28, v166, v169
	v_fmac_f32_e32 v49, v160, v159
	ds_read_b128 v[159:162], v148 offset:5120
	ds_read_b128 v[163:166], v148 offset:5136
	v_mul_f32_e32 v170, v157, v167
	v_cvt_f32_i32_e32 v169, v169
	s_waitcnt lgkmcnt(1)
	v_dot4_i32_i8 v167, v5, v159, 0
	s_waitcnt lgkmcnt(0)
	v_dot4_i32_i8 v167, v6, v163, v167
	v_dot4_i32_i8 v167, v7, v160, v167
	;; [unrolled: 1-line block ×7, first 2 shown]
	v_cvt_f32_i32_e32 v167, v167
	v_fmac_f32_e32 v50, v170, v169
	v_mul_f32_e32 v169, v155, v168
	v_fmac_f32_e32 v48, v169, v167
	v_dot4_i32_i8 v167, v13, v159, 0
	v_dot4_i32_i8 v167, v14, v163, v167
	;; [unrolled: 1-line block ×8, first 2 shown]
	v_cvt_f32_i32_e32 v167, v167
	v_mul_f32_e32 v169, v156, v168
	v_fmac_f32_e32 v47, v169, v167
	v_dot4_i32_i8 v167, v21, v159, 0
	v_dot4_i32_i8 v159, v29, v159, 0
	v_dot4_i32_i8 v167, v22, v163, v167
	v_dot4_i32_i8 v159, v30, v163, v159
	v_dot4_i32_i8 v167, v23, v160, v167
	v_dot4_i32_i8 v159, v31, v160, v159
	v_dot4_i32_i8 v167, v24, v164, v167
	v_dot4_i32_i8 v159, v32, v164, v159
	v_dot4_i32_i8 v167, v25, v161, v167
	v_dot4_i32_i8 v159, v33, v161, v159
	v_dot4_i32_i8 v167, v26, v165, v167
	v_dot4_i32_i8 v159, v34, v165, v159
	v_dot4_i32_i8 v167, v27, v162, v167
	v_dot4_i32_i8 v159, v35, v162, v159
	v_dot4_i32_i8 v167, v28, v166, v167
	v_dot4_i32_i8 v159, v36, v166, v159
	v_cvt_f32_i32_e32 v167, v167
	v_cvt_f32_i32_e32 v159, v159
	v_mul_f32_e32 v169, v157, v168
	v_mul_f32_e32 v160, v158, v168
	v_fmac_f32_e32 v46, v169, v167
	v_fmac_f32_e32 v45, v160, v159
	ds_read_b128 v[159:162], v148 offset:6144
	ds_read_b128 v[163:166], v148 offset:6160
	ds_read2_b32 v[167:168], v150 offset0:192 offset1:224
	v_add_u32_e32 v150, 4, v150
	s_waitcnt lgkmcnt(2)
	v_dot4_i32_i8 v169, v5, v159, 0
	s_waitcnt lgkmcnt(1)
	v_dot4_i32_i8 v169, v6, v163, v169
	v_dot4_i32_i8 v169, v7, v160, v169
	;; [unrolled: 1-line block ×7, first 2 shown]
	v_cvt_f32_i32_e32 v169, v169
	s_waitcnt lgkmcnt(0)
	v_mul_f32_e32 v170, v155, v167
	v_fmac_f32_e32 v44, v170, v169
	v_dot4_i32_i8 v169, v13, v159, 0
	v_dot4_i32_i8 v169, v14, v163, v169
	;; [unrolled: 1-line block ×8, first 2 shown]
	v_cvt_f32_i32_e32 v169, v169
	v_mul_f32_e32 v170, v156, v167
	v_fmac_f32_e32 v43, v170, v169
	v_dot4_i32_i8 v169, v21, v159, 0
	v_dot4_i32_i8 v159, v29, v159, 0
	;; [unrolled: 1-line block ×12, first 2 shown]
	v_cvt_f32_i32_e32 v159, v159
	v_dot4_i32_i8 v169, v25, v161, v169
	v_dot4_i32_i8 v169, v26, v165, v169
	;; [unrolled: 1-line block ×3, first 2 shown]
	v_mul_f32_e32 v160, v158, v167
	v_dot4_i32_i8 v169, v28, v166, v169
	v_fmac_f32_e32 v41, v160, v159
	ds_read_b128 v[159:162], v148 offset:7168
	ds_read_b128 v[163:166], v148 offset:7184
	v_cvt_f32_i32_e32 v169, v169
	v_mul_f32_e32 v170, v157, v167
	v_add_u32_e32 v148, 32, v148
	s_waitcnt lgkmcnt(1)
	v_dot4_i32_i8 v5, v5, v159, 0
	s_waitcnt lgkmcnt(0)
	v_dot4_i32_i8 v5, v6, v163, v5
	v_dot4_i32_i8 v5, v7, v160, v5
	;; [unrolled: 1-line block ×7, first 2 shown]
	v_cvt_f32_i32_e32 v5, v5
	v_mul_f32_e32 v6, v155, v168
	v_fmac_f32_e32 v42, v170, v169
	v_fmac_f32_e32 v40, v6, v5
	v_dot4_i32_i8 v5, v13, v159, 0
	v_dot4_i32_i8 v5, v14, v163, v5
	v_dot4_i32_i8 v5, v15, v160, v5
	v_dot4_i32_i8 v5, v16, v164, v5
	v_dot4_i32_i8 v5, v17, v161, v5
	v_dot4_i32_i8 v5, v18, v165, v5
	v_dot4_i32_i8 v5, v19, v162, v5
	v_dot4_i32_i8 v5, v20, v166, v5
	v_cvt_f32_i32_e32 v5, v5
	v_mul_f32_e32 v6, v156, v168
	v_fmac_f32_e32 v39, v6, v5
	v_dot4_i32_i8 v5, v21, v159, 0
	v_dot4_i32_i8 v5, v22, v163, v5
	v_dot4_i32_i8 v5, v23, v160, v5
	v_dot4_i32_i8 v5, v24, v164, v5
	v_dot4_i32_i8 v5, v25, v161, v5
	v_dot4_i32_i8 v5, v26, v165, v5
	v_dot4_i32_i8 v5, v27, v162, v5
	v_dot4_i32_i8 v5, v28, v166, v5
	v_cvt_f32_i32_e32 v5, v5
	v_mul_f32_e32 v6, v157, v168
	v_fmac_f32_e32 v38, v6, v5
	v_dot4_i32_i8 v5, v29, v159, 0
	v_dot4_i32_i8 v5, v30, v163, v5
	v_dot4_i32_i8 v5, v31, v160, v5
	v_dot4_i32_i8 v5, v32, v164, v5
	v_dot4_i32_i8 v5, v33, v161, v5
	v_dot4_i32_i8 v5, v34, v165, v5
	v_dot4_i32_i8 v5, v35, v162, v5
	v_dot4_i32_i8 v5, v36, v166, v5
	v_cvt_f32_i32_e32 v5, v5
	v_mul_f32_e32 v6, v158, v168
	v_fmac_f32_e32 v37, v6, v5
	s_cbranch_scc1 .LBB121_8
; %bb.9:                                ;   in Loop: Header=BB121_6 Depth=1
	s_and_b32 s0, s9, -4
	s_cmp_eq_u32 s0, 4
	s_barrier
	s_cbranch_scc1 .LBB121_5
; %bb.10:                               ;   in Loop: Header=BB121_6 Depth=1
	v_add_u32_e32 v21, s14, v122
	v_add_u32_e32 v19, 4, v146
	;; [unrolled: 1-line block ×3, first 2 shown]
	v_mad_u64_u32 v[19:20], s[0:1], v19, 36, s[2:3]
	v_mad_i64_i32 v[5:6], s[0:1], v5, 36, v[3:4]
	v_add_u32_e32 v7, v21, v114
	v_mad_i64_i32 v[7:8], s[0:1], v7, 36, v[3:4]
	v_add_u32_e32 v9, v21, v115
	v_add_u32_e32 v11, v21, v116
	v_mad_i64_i32 v[9:10], s[0:1], v9, 36, v[3:4]
	v_mad_i64_i32 v[11:12], s[0:1], v11, 36, v[3:4]
	v_add_u32_e32 v13, v21, v117
	v_add_u32_e32 v15, v21, v118
	;; [unrolled: 1-line block ×4, first 2 shown]
	v_mad_i64_i32 v[13:14], s[0:1], v13, 36, v[3:4]
	v_mad_i64_i32 v[15:16], s[0:1], v15, 36, v[3:4]
	;; [unrolled: 1-line block ×4, first 2 shown]
	global_load_dword v19, v[19:20], off
	s_nop 0
	global_load_dword v5, v[5:6], off offset:4
	s_nop 0
	global_load_dword v6, v[7:8], off offset:4
	;; [unrolled: 2-line block ×3, first 2 shown]
	global_load_dword v8, v[11:12], off offset:4
	s_nop 0
	global_load_dword v9, v[13:14], off offset:4
	global_load_dword v10, v[15:16], off offset:4
	;; [unrolled: 1-line block ×4, first 2 shown]
	s_mov_b32 s0, 12
	v_mov_b32_e32 v146, v127
	v_mov_b32_e32 v148, v128
	;; [unrolled: 1-line block ×6, first 2 shown]
	s_waitcnt vmcnt(8)
	v_cvt_f32_f16_e32 v13, v19
	s_waitcnt vmcnt(7)
	ds_write_b32 v147, v5
	s_waitcnt vmcnt(6)
	ds_write_b32 v139, v6
	;; [unrolled: 2-line block ×8, first 2 shown]
	ds_write_b32 v111, v13
	v_mov_b32_e32 v147, v129
	s_waitcnt lgkmcnt(0)
	s_barrier
.LBB121_11:                             ;   Parent Loop BB121_6 Depth=1
                                        ; =>  This Inner Loop Header: Depth=2
	ds_read_b128 v[157:160], v148
	ds_read_b128 v[161:164], v148 offset:16
	ds_read2_b32 v[165:166], v146 offset1:32
	ds_read_b32 v153, v150
	ds_read2_b32 v[5:6], v149 offset1:1
	s_add_i32 s0, s0, 4
	v_add_u32_e32 v150, 4, v150
	s_cmp_lt_u32 s0, 28
	s_waitcnt lgkmcnt(1)
	v_mul_f32_e32 v14, v165, v153
	s_waitcnt lgkmcnt(0)
	v_dot4_i32_i8 v7, v5, v157, 0
	v_dot4_i32_i8 v9, v6, v161, v7
	ds_read2_b32 v[7:8], v149 offset0:2 offset1:3
	v_mul_f32_e32 v167, v153, v166
	s_waitcnt lgkmcnt(0)
	v_dot4_i32_i8 v9, v7, v158, v9
	v_dot4_i32_i8 v11, v8, v162, v9
	ds_read2_b32 v[9:10], v149 offset0:4 offset1:5
	s_waitcnt lgkmcnt(0)
	v_dot4_i32_i8 v11, v9, v159, v11
	v_dot4_i32_i8 v13, v10, v163, v11
	ds_read2_b32 v[11:12], v149 offset0:6 offset1:7
	s_waitcnt lgkmcnt(0)
	v_dot4_i32_i8 v13, v11, v160, v13
	v_dot4_i32_i8 v13, v12, v164, v13
	v_cvt_f32_i32_e32 v13, v13
	v_fmac_f32_e32 v59, v14, v13
	v_add_u32_e32 v13, 0x2080, v149
	ds_read_b32 v154, v151
	ds_read2_b32 v[13:14], v13 offset1:1
	v_add_u32_e32 v151, 4, v151
	s_waitcnt lgkmcnt(1)
	v_mul_f32_e32 v22, v165, v154
	s_waitcnt lgkmcnt(0)
	v_dot4_i32_i8 v15, v13, v157, 0
	v_dot4_i32_i8 v17, v14, v161, v15
	v_add_u32_e32 v15, 0x2088, v149
	ds_read2_b32 v[15:16], v15 offset1:1
	s_waitcnt lgkmcnt(0)
	v_dot4_i32_i8 v17, v15, v158, v17
	v_dot4_i32_i8 v19, v16, v162, v17
	v_add_u32_e32 v17, 0x2090, v149
	ds_read2_b32 v[17:18], v17 offset1:1
	;; [unrolled: 5-line block ×3, first 2 shown]
	s_waitcnt lgkmcnt(0)
	v_dot4_i32_i8 v21, v19, v160, v21
	v_dot4_i32_i8 v21, v20, v164, v21
	v_cvt_f32_i32_e32 v21, v21
	v_fmac_f32_e32 v109, v22, v21
	v_add_u32_e32 v21, 0x4100, v149
	ds_read_b32 v155, v152
	ds_read2_b32 v[21:22], v21 offset1:1
	v_add_u32_e32 v152, 4, v152
	s_waitcnt lgkmcnt(1)
	v_mul_f32_e32 v30, v165, v155
	s_waitcnt lgkmcnt(0)
	v_dot4_i32_i8 v23, v21, v157, 0
	v_dot4_i32_i8 v25, v22, v161, v23
	v_add_u32_e32 v23, 0x4108, v149
	ds_read2_b32 v[23:24], v23 offset1:1
	s_waitcnt lgkmcnt(0)
	v_dot4_i32_i8 v25, v23, v158, v25
	v_dot4_i32_i8 v27, v24, v162, v25
	v_add_u32_e32 v25, 0x4110, v149
	ds_read2_b32 v[25:26], v25 offset1:1
	;; [unrolled: 5-line block ×3, first 2 shown]
	s_waitcnt lgkmcnt(0)
	v_dot4_i32_i8 v29, v27, v160, v29
	v_dot4_i32_i8 v29, v28, v164, v29
	v_cvt_f32_i32_e32 v29, v29
	v_fmac_f32_e32 v106, v30, v29
	v_add_u32_e32 v29, 0x6180, v149
	ds_read_b32 v156, v147
	ds_read2_b32 v[29:30], v29 offset1:1
	v_add_u32_e32 v147, 4, v147
	s_waitcnt lgkmcnt(0)
	v_dot4_i32_i8 v31, v29, v157, 0
	v_dot4_i32_i8 v33, v30, v161, v31
	v_add_u32_e32 v31, 0x6188, v149
	ds_read2_b32 v[31:32], v31 offset1:1
	s_waitcnt lgkmcnt(0)
	v_dot4_i32_i8 v33, v31, v158, v33
	v_dot4_i32_i8 v35, v32, v162, v33
	v_add_u32_e32 v33, 0x6190, v149
	ds_read2_b32 v[33:34], v33 offset1:1
	v_mul_f32_e32 v158, v165, v156
	s_waitcnt lgkmcnt(0)
	v_dot4_i32_i8 v35, v33, v159, v35
	v_dot4_i32_i8 v157, v34, v163, v35
	v_add_u32_e32 v35, 0x6198, v149
	ds_read2_b32 v[35:36], v35 offset1:1
	v_add_u32_e32 v149, 32, v149
	s_waitcnt lgkmcnt(0)
	v_dot4_i32_i8 v157, v35, v160, v157
	v_dot4_i32_i8 v157, v36, v164, v157
	v_cvt_f32_i32_e32 v157, v157
	v_fmac_f32_e32 v99, v158, v157
	ds_read_b128 v[157:160], v148 offset:1024
	ds_read_b128 v[161:164], v148 offset:1040
	s_waitcnt lgkmcnt(1)
	v_dot4_i32_i8 v165, v5, v157, 0
	s_waitcnt lgkmcnt(0)
	v_dot4_i32_i8 v165, v6, v161, v165
	v_dot4_i32_i8 v165, v7, v158, v165
	;; [unrolled: 1-line block ×7, first 2 shown]
	v_cvt_f32_i32_e32 v165, v165
	v_fmac_f32_e32 v79, v167, v165
	v_dot4_i32_i8 v165, v13, v157, 0
	v_dot4_i32_i8 v165, v14, v161, v165
	;; [unrolled: 1-line block ×8, first 2 shown]
	v_cvt_f32_i32_e32 v165, v165
	v_mul_f32_e32 v167, v154, v166
	v_fmac_f32_e32 v66, v167, v165
	v_dot4_i32_i8 v165, v21, v157, 0
	v_dot4_i32_i8 v157, v29, v157, 0
	;; [unrolled: 1-line block ×16, first 2 shown]
	v_cvt_f32_i32_e32 v165, v165
	v_cvt_f32_i32_e32 v157, v157
	v_mul_f32_e32 v167, v155, v166
	v_mul_f32_e32 v158, v156, v166
	v_fmac_f32_e32 v64, v167, v165
	v_fmac_f32_e32 v63, v158, v157
	ds_read_b128 v[157:160], v148 offset:2048
	ds_read_b128 v[161:164], v148 offset:2064
	ds_read2_b32 v[165:166], v146 offset0:64 offset1:96
	s_waitcnt lgkmcnt(2)
	v_dot4_i32_i8 v167, v5, v157, 0
	s_waitcnt lgkmcnt(1)
	v_dot4_i32_i8 v167, v6, v161, v167
	v_dot4_i32_i8 v167, v7, v158, v167
	;; [unrolled: 1-line block ×7, first 2 shown]
	v_cvt_f32_i32_e32 v167, v167
	s_waitcnt lgkmcnt(0)
	v_mul_f32_e32 v168, v153, v165
	v_fmac_f32_e32 v62, v168, v167
	v_dot4_i32_i8 v167, v13, v157, 0
	v_dot4_i32_i8 v167, v14, v161, v167
	;; [unrolled: 1-line block ×8, first 2 shown]
	v_cvt_f32_i32_e32 v167, v167
	v_mul_f32_e32 v168, v154, v165
	v_fmac_f32_e32 v61, v168, v167
	v_dot4_i32_i8 v167, v21, v157, 0
	v_dot4_i32_i8 v157, v29, v157, 0
	;; [unrolled: 1-line block ×12, first 2 shown]
	v_cvt_f32_i32_e32 v157, v157
	v_dot4_i32_i8 v167, v25, v159, v167
	v_dot4_i32_i8 v167, v26, v163, v167
	v_dot4_i32_i8 v167, v27, v160, v167
	v_mul_f32_e32 v158, v156, v165
	v_dot4_i32_i8 v167, v28, v164, v167
	v_fmac_f32_e32 v57, v158, v157
	ds_read_b128 v[157:160], v148 offset:3072
	ds_read_b128 v[161:164], v148 offset:3088
	v_mul_f32_e32 v168, v155, v165
	v_cvt_f32_i32_e32 v167, v167
	s_waitcnt lgkmcnt(1)
	v_dot4_i32_i8 v165, v5, v157, 0
	s_waitcnt lgkmcnt(0)
	v_dot4_i32_i8 v165, v6, v161, v165
	v_dot4_i32_i8 v165, v7, v158, v165
	;; [unrolled: 1-line block ×7, first 2 shown]
	v_cvt_f32_i32_e32 v165, v165
	v_fmac_f32_e32 v60, v168, v167
	v_mul_f32_e32 v167, v153, v166
	v_fmac_f32_e32 v56, v167, v165
	v_dot4_i32_i8 v165, v13, v157, 0
	v_dot4_i32_i8 v165, v14, v161, v165
	;; [unrolled: 1-line block ×8, first 2 shown]
	v_cvt_f32_i32_e32 v165, v165
	v_mul_f32_e32 v167, v154, v166
	v_fmac_f32_e32 v55, v167, v165
	v_dot4_i32_i8 v165, v21, v157, 0
	v_dot4_i32_i8 v157, v29, v157, 0
	;; [unrolled: 1-line block ×16, first 2 shown]
	v_cvt_f32_i32_e32 v165, v165
	v_cvt_f32_i32_e32 v157, v157
	v_mul_f32_e32 v167, v155, v166
	v_mul_f32_e32 v158, v156, v166
	v_fmac_f32_e32 v54, v167, v165
	v_fmac_f32_e32 v53, v158, v157
	ds_read_b128 v[157:160], v148 offset:4096
	ds_read_b128 v[161:164], v148 offset:4112
	ds_read2_b32 v[165:166], v146 offset0:128 offset1:160
	s_waitcnt lgkmcnt(2)
	v_dot4_i32_i8 v167, v5, v157, 0
	s_waitcnt lgkmcnt(1)
	v_dot4_i32_i8 v167, v6, v161, v167
	v_dot4_i32_i8 v167, v7, v158, v167
	;; [unrolled: 1-line block ×7, first 2 shown]
	v_cvt_f32_i32_e32 v167, v167
	s_waitcnt lgkmcnt(0)
	v_mul_f32_e32 v168, v153, v165
	v_fmac_f32_e32 v52, v168, v167
	v_dot4_i32_i8 v167, v13, v157, 0
	v_dot4_i32_i8 v167, v14, v161, v167
	;; [unrolled: 1-line block ×8, first 2 shown]
	v_cvt_f32_i32_e32 v167, v167
	v_mul_f32_e32 v168, v154, v165
	v_fmac_f32_e32 v51, v168, v167
	v_dot4_i32_i8 v167, v21, v157, 0
	v_dot4_i32_i8 v157, v29, v157, 0
	;; [unrolled: 1-line block ×12, first 2 shown]
	v_cvt_f32_i32_e32 v157, v157
	v_dot4_i32_i8 v167, v25, v159, v167
	v_dot4_i32_i8 v167, v26, v163, v167
	;; [unrolled: 1-line block ×3, first 2 shown]
	v_mul_f32_e32 v158, v156, v165
	v_dot4_i32_i8 v167, v28, v164, v167
	v_fmac_f32_e32 v49, v158, v157
	ds_read_b128 v[157:160], v148 offset:5120
	ds_read_b128 v[161:164], v148 offset:5136
	v_mul_f32_e32 v168, v155, v165
	v_cvt_f32_i32_e32 v167, v167
	s_waitcnt lgkmcnt(1)
	v_dot4_i32_i8 v165, v5, v157, 0
	s_waitcnt lgkmcnt(0)
	v_dot4_i32_i8 v165, v6, v161, v165
	v_dot4_i32_i8 v165, v7, v158, v165
	;; [unrolled: 1-line block ×7, first 2 shown]
	v_cvt_f32_i32_e32 v165, v165
	v_fmac_f32_e32 v50, v168, v167
	v_mul_f32_e32 v167, v153, v166
	v_fmac_f32_e32 v48, v167, v165
	v_dot4_i32_i8 v165, v13, v157, 0
	v_dot4_i32_i8 v165, v14, v161, v165
	;; [unrolled: 1-line block ×8, first 2 shown]
	v_cvt_f32_i32_e32 v165, v165
	v_mul_f32_e32 v167, v154, v166
	v_fmac_f32_e32 v47, v167, v165
	v_dot4_i32_i8 v165, v21, v157, 0
	v_dot4_i32_i8 v157, v29, v157, 0
	;; [unrolled: 1-line block ×16, first 2 shown]
	v_cvt_f32_i32_e32 v165, v165
	v_cvt_f32_i32_e32 v157, v157
	v_mul_f32_e32 v167, v155, v166
	v_mul_f32_e32 v158, v156, v166
	v_fmac_f32_e32 v46, v167, v165
	v_fmac_f32_e32 v45, v158, v157
	ds_read_b128 v[157:160], v148 offset:6144
	ds_read_b128 v[161:164], v148 offset:6160
	ds_read2_b32 v[165:166], v146 offset0:192 offset1:224
	v_add_u32_e32 v146, 4, v146
	s_waitcnt lgkmcnt(2)
	v_dot4_i32_i8 v167, v5, v157, 0
	s_waitcnt lgkmcnt(1)
	v_dot4_i32_i8 v167, v6, v161, v167
	v_dot4_i32_i8 v167, v7, v158, v167
	;; [unrolled: 1-line block ×7, first 2 shown]
	v_cvt_f32_i32_e32 v167, v167
	s_waitcnt lgkmcnt(0)
	v_mul_f32_e32 v168, v153, v165
	v_fmac_f32_e32 v44, v168, v167
	v_dot4_i32_i8 v167, v13, v157, 0
	v_dot4_i32_i8 v167, v14, v161, v167
	;; [unrolled: 1-line block ×8, first 2 shown]
	v_cvt_f32_i32_e32 v167, v167
	v_mul_f32_e32 v168, v154, v165
	v_fmac_f32_e32 v43, v168, v167
	v_dot4_i32_i8 v167, v21, v157, 0
	v_dot4_i32_i8 v157, v29, v157, 0
	v_dot4_i32_i8 v157, v30, v161, v157
	v_dot4_i32_i8 v157, v31, v158, v157
	v_dot4_i32_i8 v157, v32, v162, v157
	v_dot4_i32_i8 v157, v33, v159, v157
	v_dot4_i32_i8 v157, v34, v163, v157
	v_dot4_i32_i8 v167, v22, v161, v167
	v_dot4_i32_i8 v157, v35, v160, v157
	v_dot4_i32_i8 v167, v23, v158, v167
	v_dot4_i32_i8 v157, v36, v164, v157
	v_dot4_i32_i8 v167, v24, v162, v167
	v_cvt_f32_i32_e32 v157, v157
	v_dot4_i32_i8 v167, v25, v159, v167
	v_dot4_i32_i8 v167, v26, v163, v167
	;; [unrolled: 1-line block ×3, first 2 shown]
	v_mul_f32_e32 v158, v156, v165
	v_dot4_i32_i8 v167, v28, v164, v167
	v_fmac_f32_e32 v41, v158, v157
	ds_read_b128 v[157:160], v148 offset:7168
	ds_read_b128 v[161:164], v148 offset:7184
	v_cvt_f32_i32_e32 v167, v167
	v_mul_f32_e32 v168, v155, v165
	v_add_u32_e32 v148, 32, v148
	s_waitcnt lgkmcnt(1)
	v_dot4_i32_i8 v5, v5, v157, 0
	s_waitcnt lgkmcnt(0)
	v_dot4_i32_i8 v5, v6, v161, v5
	v_dot4_i32_i8 v5, v7, v158, v5
	;; [unrolled: 1-line block ×7, first 2 shown]
	v_cvt_f32_i32_e32 v5, v5
	v_mul_f32_e32 v6, v153, v166
	v_fmac_f32_e32 v42, v168, v167
	v_fmac_f32_e32 v40, v6, v5
	v_dot4_i32_i8 v5, v13, v157, 0
	v_dot4_i32_i8 v5, v14, v161, v5
	v_dot4_i32_i8 v5, v15, v158, v5
	v_dot4_i32_i8 v5, v16, v162, v5
	v_dot4_i32_i8 v5, v17, v159, v5
	v_dot4_i32_i8 v5, v18, v163, v5
	v_dot4_i32_i8 v5, v19, v160, v5
	v_dot4_i32_i8 v5, v20, v164, v5
	v_cvt_f32_i32_e32 v5, v5
	v_mul_f32_e32 v6, v154, v166
	v_fmac_f32_e32 v39, v6, v5
	v_dot4_i32_i8 v5, v21, v157, 0
	v_dot4_i32_i8 v5, v22, v161, v5
	v_dot4_i32_i8 v5, v23, v158, v5
	v_dot4_i32_i8 v5, v24, v162, v5
	v_dot4_i32_i8 v5, v25, v159, v5
	v_dot4_i32_i8 v5, v26, v163, v5
	v_dot4_i32_i8 v5, v27, v160, v5
	v_dot4_i32_i8 v5, v28, v164, v5
	v_cvt_f32_i32_e32 v5, v5
	v_mul_f32_e32 v6, v155, v166
	;; [unrolled: 11-line block ×3, first 2 shown]
	v_fmac_f32_e32 v37, v6, v5
	s_cbranch_scc1 .LBB121_11
; %bb.12:                               ;   in Loop: Header=BB121_6 Depth=1
	s_barrier
	s_branch .LBB121_5
.LBB121_13:
	v_mov_b32_e32 v2, v58
.LBB121_14:
	v_cmp_gt_u32_e32 vcc, s8, v2
	s_and_saveexec_b64 s[0:1], vcc
	s_cbranch_execz .LBB121_65
; %bb.15:
	v_mul_lo_u32 v5, v2, s10
	v_add_u32_e32 v0, s6, v0
	v_cmp_gt_u32_e32 vcc, s10, v0
	s_and_saveexec_b64 s[2:3], vcc
	s_cbranch_execz .LBB121_17
; %bb.16:
	v_add_u32_e32 v2, v0, v5
	v_mov_b32_e32 v3, 0
	v_lshlrev_b64 v[2:3], 2, v[2:3]
	s_waitcnt lgkmcnt(0)
	v_mov_b32_e32 v4, s13
	v_add_co_u32_e64 v2, s[0:1], s12, v2
	v_addc_co_u32_e64 v3, s[0:1], v4, v3, s[0:1]
	global_store_dword v[2:3], v59, off
.LBB121_17:
	s_or_b64 exec, exec, s[2:3]
	v_add_u32_e32 v2, 32, v0
	v_cmp_gt_u32_e64 s[0:1], s10, v2
	s_and_saveexec_b64 s[4:5], s[0:1]
	s_cbranch_execz .LBB121_19
; %bb.18:
	v_add_u32_e32 v3, v2, v5
	v_mov_b32_e32 v4, 0
	v_lshlrev_b64 v[3:4], 2, v[3:4]
	s_waitcnt lgkmcnt(0)
	v_mov_b32_e32 v6, s13
	v_add_co_u32_e64 v3, s[2:3], s12, v3
	v_addc_co_u32_e64 v4, s[2:3], v6, v4, s[2:3]
	global_store_dword v[3:4], v109, off
.LBB121_19:
	s_or_b64 exec, exec, s[4:5]
	v_add_u32_e32 v3, 64, v0
	v_cmp_gt_u32_e64 s[2:3], s10, v3
	s_and_saveexec_b64 s[6:7], s[2:3]
	;; [unrolled: 15-line block ×3, first 2 shown]
	s_cbranch_execz .LBB121_23
; %bb.22:
	v_add_u32_e32 v5, v4, v5
	v_mov_b32_e32 v6, 0
	v_lshlrev_b64 v[5:6], 2, v[5:6]
	s_waitcnt lgkmcnt(0)
	v_mov_b32_e32 v7, s13
	v_add_co_u32_e64 v5, s[6:7], s12, v5
	v_addc_co_u32_e64 v6, s[6:7], v7, v6, s[6:7]
	global_store_dword v[5:6], v99, off
.LBB121_23:
	s_or_b64 exec, exec, s[14:15]
	v_add3_u32 v5, v1, s11, 8
	v_cmp_gt_u32_e64 s[6:7], s8, v5
	s_and_b64 exec, exec, s[6:7]
	s_cbranch_execz .LBB121_65
; %bb.24:
	v_mul_lo_u32 v5, v5, s10
	s_and_saveexec_b64 s[14:15], vcc
	s_cbranch_execnz .LBB121_66
; %bb.25:
	s_or_b64 exec, exec, s[14:15]
	s_and_saveexec_b64 s[14:15], s[0:1]
	s_cbranch_execnz .LBB121_67
.LBB121_26:
	s_or_b64 exec, exec, s[14:15]
	s_and_saveexec_b64 s[14:15], s[2:3]
	s_cbranch_execnz .LBB121_68
.LBB121_27:
	s_or_b64 exec, exec, s[14:15]
	s_and_saveexec_b64 s[14:15], s[4:5]
	s_cbranch_execz .LBB121_29
.LBB121_28:
	v_add_u32_e32 v5, v5, v4
	v_mov_b32_e32 v6, 0
	v_lshlrev_b64 v[5:6], 2, v[5:6]
	s_waitcnt lgkmcnt(0)
	v_mov_b32_e32 v7, s13
	v_add_co_u32_e64 v5, s[6:7], s12, v5
	v_addc_co_u32_e64 v6, s[6:7], v7, v6, s[6:7]
	global_store_dword v[5:6], v63, off
.LBB121_29:
	s_or_b64 exec, exec, s[14:15]
	v_add3_u32 v5, v1, s11, 16
	v_cmp_gt_u32_e64 s[6:7], s8, v5
	s_and_b64 exec, exec, s[6:7]
	s_cbranch_execz .LBB121_65
; %bb.30:
	v_mul_lo_u32 v5, v5, s10
	s_and_saveexec_b64 s[14:15], vcc
	s_cbranch_execnz .LBB121_69
; %bb.31:
	s_or_b64 exec, exec, s[14:15]
	s_and_saveexec_b64 s[14:15], s[0:1]
	s_cbranch_execnz .LBB121_70
.LBB121_32:
	s_or_b64 exec, exec, s[14:15]
	s_and_saveexec_b64 s[14:15], s[2:3]
	s_cbranch_execnz .LBB121_71
.LBB121_33:
	s_or_b64 exec, exec, s[14:15]
	s_and_saveexec_b64 s[14:15], s[4:5]
	s_cbranch_execz .LBB121_35
.LBB121_34:
	v_add_u32_e32 v5, v5, v4
	v_mov_b32_e32 v6, 0
	v_lshlrev_b64 v[5:6], 2, v[5:6]
	s_waitcnt lgkmcnt(0)
	v_mov_b32_e32 v7, s13
	v_add_co_u32_e64 v5, s[6:7], s12, v5
	v_addc_co_u32_e64 v6, s[6:7], v7, v6, s[6:7]
	global_store_dword v[5:6], v57, off
.LBB121_35:
	s_or_b64 exec, exec, s[14:15]
	v_add3_u32 v5, v1, s11, 24
	v_cmp_gt_u32_e64 s[6:7], s8, v5
	s_and_b64 exec, exec, s[6:7]
	s_cbranch_execz .LBB121_65
; %bb.36:
	v_mul_lo_u32 v5, v5, s10
	s_and_saveexec_b64 s[14:15], vcc
	s_cbranch_execnz .LBB121_72
; %bb.37:
	s_or_b64 exec, exec, s[14:15]
	s_and_saveexec_b64 s[14:15], s[0:1]
	s_cbranch_execnz .LBB121_73
.LBB121_38:
	s_or_b64 exec, exec, s[14:15]
	s_and_saveexec_b64 s[14:15], s[2:3]
	s_cbranch_execnz .LBB121_74
.LBB121_39:
	s_or_b64 exec, exec, s[14:15]
	s_and_saveexec_b64 s[14:15], s[4:5]
	s_cbranch_execz .LBB121_41
.LBB121_40:
	v_add_u32_e32 v5, v5, v4
	v_mov_b32_e32 v6, 0
	v_lshlrev_b64 v[5:6], 2, v[5:6]
	s_waitcnt lgkmcnt(0)
	v_mov_b32_e32 v7, s13
	v_add_co_u32_e64 v5, s[6:7], s12, v5
	v_addc_co_u32_e64 v6, s[6:7], v7, v6, s[6:7]
	global_store_dword v[5:6], v53, off
.LBB121_41:
	s_or_b64 exec, exec, s[14:15]
	v_add3_u32 v5, v1, s11, 32
	v_cmp_gt_u32_e64 s[6:7], s8, v5
	s_and_b64 exec, exec, s[6:7]
	s_cbranch_execz .LBB121_65
; %bb.42:
	v_mul_lo_u32 v5, v5, s10
	s_and_saveexec_b64 s[14:15], vcc
	s_cbranch_execnz .LBB121_75
; %bb.43:
	s_or_b64 exec, exec, s[14:15]
	s_and_saveexec_b64 s[14:15], s[0:1]
	s_cbranch_execnz .LBB121_76
.LBB121_44:
	s_or_b64 exec, exec, s[14:15]
	s_and_saveexec_b64 s[14:15], s[2:3]
	s_cbranch_execnz .LBB121_77
.LBB121_45:
	s_or_b64 exec, exec, s[14:15]
	s_and_saveexec_b64 s[14:15], s[4:5]
	s_cbranch_execz .LBB121_47
.LBB121_46:
	v_add_u32_e32 v5, v5, v4
	v_mov_b32_e32 v6, 0
	v_lshlrev_b64 v[5:6], 2, v[5:6]
	s_waitcnt lgkmcnt(0)
	v_mov_b32_e32 v7, s13
	v_add_co_u32_e64 v5, s[6:7], s12, v5
	v_addc_co_u32_e64 v6, s[6:7], v7, v6, s[6:7]
	global_store_dword v[5:6], v49, off
.LBB121_47:
	s_or_b64 exec, exec, s[14:15]
	v_add3_u32 v5, v1, s11, 40
	v_cmp_gt_u32_e64 s[6:7], s8, v5
	s_and_b64 exec, exec, s[6:7]
	s_cbranch_execz .LBB121_65
; %bb.48:
	v_mul_lo_u32 v5, v5, s10
	s_and_saveexec_b64 s[14:15], vcc
	s_cbranch_execnz .LBB121_78
; %bb.49:
	s_or_b64 exec, exec, s[14:15]
	s_and_saveexec_b64 s[14:15], s[0:1]
	s_cbranch_execnz .LBB121_79
.LBB121_50:
	s_or_b64 exec, exec, s[14:15]
	s_and_saveexec_b64 s[14:15], s[2:3]
	s_cbranch_execnz .LBB121_80
.LBB121_51:
	s_or_b64 exec, exec, s[14:15]
	s_and_saveexec_b64 s[14:15], s[4:5]
	s_cbranch_execz .LBB121_53
.LBB121_52:
	v_add_u32_e32 v5, v5, v4
	v_mov_b32_e32 v6, 0
	v_lshlrev_b64 v[5:6], 2, v[5:6]
	s_waitcnt lgkmcnt(0)
	v_mov_b32_e32 v7, s13
	v_add_co_u32_e64 v5, s[6:7], s12, v5
	v_addc_co_u32_e64 v6, s[6:7], v7, v6, s[6:7]
	global_store_dword v[5:6], v45, off
.LBB121_53:
	s_or_b64 exec, exec, s[14:15]
	v_add3_u32 v5, v1, s11, 48
	v_cmp_gt_u32_e64 s[6:7], s8, v5
	s_and_b64 exec, exec, s[6:7]
	s_cbranch_execz .LBB121_65
; %bb.54:
	v_mul_lo_u32 v5, v5, s10
	s_and_saveexec_b64 s[14:15], vcc
	s_cbranch_execnz .LBB121_81
; %bb.55:
	s_or_b64 exec, exec, s[14:15]
	s_and_saveexec_b64 s[14:15], s[0:1]
	s_cbranch_execnz .LBB121_82
.LBB121_56:
	s_or_b64 exec, exec, s[14:15]
	s_and_saveexec_b64 s[14:15], s[2:3]
	s_cbranch_execnz .LBB121_83
.LBB121_57:
	s_or_b64 exec, exec, s[14:15]
	s_and_saveexec_b64 s[14:15], s[4:5]
	s_cbranch_execz .LBB121_59
.LBB121_58:
	v_add_u32_e32 v5, v5, v4
	v_mov_b32_e32 v6, 0
	v_lshlrev_b64 v[5:6], 2, v[5:6]
	s_waitcnt lgkmcnt(0)
	v_mov_b32_e32 v7, s13
	v_add_co_u32_e64 v5, s[6:7], s12, v5
	v_addc_co_u32_e64 v6, s[6:7], v7, v6, s[6:7]
	global_store_dword v[5:6], v41, off
.LBB121_59:
	s_or_b64 exec, exec, s[14:15]
	v_add3_u32 v1, v1, s11, 56
	v_cmp_gt_u32_e64 s[6:7], s8, v1
	s_and_b64 exec, exec, s[6:7]
	s_cbranch_execz .LBB121_65
; %bb.60:
	v_mul_lo_u32 v1, v1, s10
	s_and_saveexec_b64 s[6:7], vcc
	s_cbranch_execnz .LBB121_84
; %bb.61:
	s_or_b64 exec, exec, s[6:7]
	s_and_saveexec_b64 s[6:7], s[0:1]
	s_cbranch_execnz .LBB121_85
.LBB121_62:
	s_or_b64 exec, exec, s[6:7]
	s_and_saveexec_b64 s[0:1], s[2:3]
	s_cbranch_execnz .LBB121_86
.LBB121_63:
	s_or_b64 exec, exec, s[0:1]
	s_and_b64 exec, exec, s[4:5]
	s_cbranch_execz .LBB121_65
.LBB121_64:
	v_add_u32_e32 v0, v1, v4
	v_mov_b32_e32 v1, 0
	v_lshlrev_b64 v[0:1], 2, v[0:1]
	s_waitcnt lgkmcnt(0)
	v_mov_b32_e32 v2, s13
	v_add_co_u32_e32 v0, vcc, s12, v0
	v_addc_co_u32_e32 v1, vcc, v2, v1, vcc
	global_store_dword v[0:1], v37, off
.LBB121_65:
	s_endpgm
.LBB121_66:
	v_add_u32_e32 v6, v5, v0
	v_mov_b32_e32 v7, 0
	v_lshlrev_b64 v[6:7], 2, v[6:7]
	s_waitcnt lgkmcnt(0)
	v_mov_b32_e32 v8, s13
	v_add_co_u32_e64 v6, s[6:7], s12, v6
	v_addc_co_u32_e64 v7, s[6:7], v8, v7, s[6:7]
	global_store_dword v[6:7], v79, off
	s_or_b64 exec, exec, s[14:15]
	s_and_saveexec_b64 s[14:15], s[0:1]
	s_cbranch_execz .LBB121_26
.LBB121_67:
	v_add_u32_e32 v6, v5, v2
	v_mov_b32_e32 v7, 0
	v_lshlrev_b64 v[6:7], 2, v[6:7]
	s_waitcnt lgkmcnt(0)
	v_mov_b32_e32 v8, s13
	v_add_co_u32_e64 v6, s[6:7], s12, v6
	v_addc_co_u32_e64 v7, s[6:7], v8, v7, s[6:7]
	global_store_dword v[6:7], v66, off
	s_or_b64 exec, exec, s[14:15]
	s_and_saveexec_b64 s[14:15], s[2:3]
	s_cbranch_execz .LBB121_27
.LBB121_68:
	v_add_u32_e32 v6, v5, v3
	v_mov_b32_e32 v7, 0
	v_lshlrev_b64 v[6:7], 2, v[6:7]
	s_waitcnt lgkmcnt(0)
	v_mov_b32_e32 v8, s13
	v_add_co_u32_e64 v6, s[6:7], s12, v6
	v_addc_co_u32_e64 v7, s[6:7], v8, v7, s[6:7]
	global_store_dword v[6:7], v64, off
	s_or_b64 exec, exec, s[14:15]
	s_and_saveexec_b64 s[14:15], s[4:5]
	s_cbranch_execnz .LBB121_28
	s_branch .LBB121_29
.LBB121_69:
	v_add_u32_e32 v6, v5, v0
	v_mov_b32_e32 v7, 0
	v_lshlrev_b64 v[6:7], 2, v[6:7]
	s_waitcnt lgkmcnt(0)
	v_mov_b32_e32 v8, s13
	v_add_co_u32_e64 v6, s[6:7], s12, v6
	v_addc_co_u32_e64 v7, s[6:7], v8, v7, s[6:7]
	global_store_dword v[6:7], v62, off
	s_or_b64 exec, exec, s[14:15]
	s_and_saveexec_b64 s[14:15], s[0:1]
	s_cbranch_execz .LBB121_32
.LBB121_70:
	v_add_u32_e32 v6, v5, v2
	v_mov_b32_e32 v7, 0
	v_lshlrev_b64 v[6:7], 2, v[6:7]
	s_waitcnt lgkmcnt(0)
	v_mov_b32_e32 v8, s13
	v_add_co_u32_e64 v6, s[6:7], s12, v6
	v_addc_co_u32_e64 v7, s[6:7], v8, v7, s[6:7]
	global_store_dword v[6:7], v61, off
	s_or_b64 exec, exec, s[14:15]
	s_and_saveexec_b64 s[14:15], s[2:3]
	s_cbranch_execz .LBB121_33
.LBB121_71:
	v_add_u32_e32 v6, v5, v3
	v_mov_b32_e32 v7, 0
	v_lshlrev_b64 v[6:7], 2, v[6:7]
	s_waitcnt lgkmcnt(0)
	v_mov_b32_e32 v8, s13
	v_add_co_u32_e64 v6, s[6:7], s12, v6
	v_addc_co_u32_e64 v7, s[6:7], v8, v7, s[6:7]
	global_store_dword v[6:7], v60, off
	s_or_b64 exec, exec, s[14:15]
	s_and_saveexec_b64 s[14:15], s[4:5]
	s_cbranch_execnz .LBB121_34
	s_branch .LBB121_35
.LBB121_72:
	v_add_u32_e32 v6, v5, v0
	v_mov_b32_e32 v7, 0
	v_lshlrev_b64 v[6:7], 2, v[6:7]
	s_waitcnt lgkmcnt(0)
	v_mov_b32_e32 v8, s13
	v_add_co_u32_e64 v6, s[6:7], s12, v6
	v_addc_co_u32_e64 v7, s[6:7], v8, v7, s[6:7]
	global_store_dword v[6:7], v56, off
	s_or_b64 exec, exec, s[14:15]
	s_and_saveexec_b64 s[14:15], s[0:1]
	s_cbranch_execz .LBB121_38
.LBB121_73:
	v_add_u32_e32 v6, v5, v2
	v_mov_b32_e32 v7, 0
	v_lshlrev_b64 v[6:7], 2, v[6:7]
	s_waitcnt lgkmcnt(0)
	v_mov_b32_e32 v8, s13
	v_add_co_u32_e64 v6, s[6:7], s12, v6
	v_addc_co_u32_e64 v7, s[6:7], v8, v7, s[6:7]
	global_store_dword v[6:7], v55, off
	s_or_b64 exec, exec, s[14:15]
	s_and_saveexec_b64 s[14:15], s[2:3]
	s_cbranch_execz .LBB121_39
.LBB121_74:
	v_add_u32_e32 v6, v5, v3
	v_mov_b32_e32 v7, 0
	v_lshlrev_b64 v[6:7], 2, v[6:7]
	s_waitcnt lgkmcnt(0)
	v_mov_b32_e32 v8, s13
	v_add_co_u32_e64 v6, s[6:7], s12, v6
	v_addc_co_u32_e64 v7, s[6:7], v8, v7, s[6:7]
	global_store_dword v[6:7], v54, off
	s_or_b64 exec, exec, s[14:15]
	s_and_saveexec_b64 s[14:15], s[4:5]
	s_cbranch_execnz .LBB121_40
	s_branch .LBB121_41
.LBB121_75:
	v_add_u32_e32 v6, v5, v0
	v_mov_b32_e32 v7, 0
	v_lshlrev_b64 v[6:7], 2, v[6:7]
	s_waitcnt lgkmcnt(0)
	v_mov_b32_e32 v8, s13
	v_add_co_u32_e64 v6, s[6:7], s12, v6
	v_addc_co_u32_e64 v7, s[6:7], v8, v7, s[6:7]
	global_store_dword v[6:7], v52, off
	s_or_b64 exec, exec, s[14:15]
	s_and_saveexec_b64 s[14:15], s[0:1]
	s_cbranch_execz .LBB121_44
.LBB121_76:
	v_add_u32_e32 v6, v5, v2
	v_mov_b32_e32 v7, 0
	v_lshlrev_b64 v[6:7], 2, v[6:7]
	s_waitcnt lgkmcnt(0)
	v_mov_b32_e32 v8, s13
	v_add_co_u32_e64 v6, s[6:7], s12, v6
	v_addc_co_u32_e64 v7, s[6:7], v8, v7, s[6:7]
	global_store_dword v[6:7], v51, off
	s_or_b64 exec, exec, s[14:15]
	s_and_saveexec_b64 s[14:15], s[2:3]
	s_cbranch_execz .LBB121_45
.LBB121_77:
	v_add_u32_e32 v6, v5, v3
	v_mov_b32_e32 v7, 0
	v_lshlrev_b64 v[6:7], 2, v[6:7]
	s_waitcnt lgkmcnt(0)
	v_mov_b32_e32 v8, s13
	v_add_co_u32_e64 v6, s[6:7], s12, v6
	v_addc_co_u32_e64 v7, s[6:7], v8, v7, s[6:7]
	global_store_dword v[6:7], v50, off
	s_or_b64 exec, exec, s[14:15]
	s_and_saveexec_b64 s[14:15], s[4:5]
	s_cbranch_execnz .LBB121_46
	s_branch .LBB121_47
.LBB121_78:
	v_add_u32_e32 v6, v5, v0
	v_mov_b32_e32 v7, 0
	v_lshlrev_b64 v[6:7], 2, v[6:7]
	s_waitcnt lgkmcnt(0)
	v_mov_b32_e32 v8, s13
	v_add_co_u32_e64 v6, s[6:7], s12, v6
	v_addc_co_u32_e64 v7, s[6:7], v8, v7, s[6:7]
	global_store_dword v[6:7], v48, off
	s_or_b64 exec, exec, s[14:15]
	s_and_saveexec_b64 s[14:15], s[0:1]
	s_cbranch_execz .LBB121_50
.LBB121_79:
	v_add_u32_e32 v6, v5, v2
	v_mov_b32_e32 v7, 0
	v_lshlrev_b64 v[6:7], 2, v[6:7]
	s_waitcnt lgkmcnt(0)
	v_mov_b32_e32 v8, s13
	v_add_co_u32_e64 v6, s[6:7], s12, v6
	v_addc_co_u32_e64 v7, s[6:7], v8, v7, s[6:7]
	global_store_dword v[6:7], v47, off
	s_or_b64 exec, exec, s[14:15]
	s_and_saveexec_b64 s[14:15], s[2:3]
	s_cbranch_execz .LBB121_51
.LBB121_80:
	v_add_u32_e32 v6, v5, v3
	v_mov_b32_e32 v7, 0
	v_lshlrev_b64 v[6:7], 2, v[6:7]
	s_waitcnt lgkmcnt(0)
	v_mov_b32_e32 v8, s13
	v_add_co_u32_e64 v6, s[6:7], s12, v6
	v_addc_co_u32_e64 v7, s[6:7], v8, v7, s[6:7]
	global_store_dword v[6:7], v46, off
	s_or_b64 exec, exec, s[14:15]
	s_and_saveexec_b64 s[14:15], s[4:5]
	s_cbranch_execnz .LBB121_52
	s_branch .LBB121_53
.LBB121_81:
	v_add_u32_e32 v6, v5, v0
	v_mov_b32_e32 v7, 0
	v_lshlrev_b64 v[6:7], 2, v[6:7]
	s_waitcnt lgkmcnt(0)
	v_mov_b32_e32 v8, s13
	v_add_co_u32_e64 v6, s[6:7], s12, v6
	v_addc_co_u32_e64 v7, s[6:7], v8, v7, s[6:7]
	global_store_dword v[6:7], v44, off
	s_or_b64 exec, exec, s[14:15]
	s_and_saveexec_b64 s[14:15], s[0:1]
	s_cbranch_execz .LBB121_56
.LBB121_82:
	v_add_u32_e32 v6, v5, v2
	v_mov_b32_e32 v7, 0
	v_lshlrev_b64 v[6:7], 2, v[6:7]
	s_waitcnt lgkmcnt(0)
	v_mov_b32_e32 v8, s13
	v_add_co_u32_e64 v6, s[6:7], s12, v6
	v_addc_co_u32_e64 v7, s[6:7], v8, v7, s[6:7]
	global_store_dword v[6:7], v43, off
	s_or_b64 exec, exec, s[14:15]
	s_and_saveexec_b64 s[14:15], s[2:3]
	s_cbranch_execz .LBB121_57
.LBB121_83:
	v_add_u32_e32 v6, v5, v3
	v_mov_b32_e32 v7, 0
	v_lshlrev_b64 v[6:7], 2, v[6:7]
	s_waitcnt lgkmcnt(0)
	v_mov_b32_e32 v8, s13
	v_add_co_u32_e64 v6, s[6:7], s12, v6
	v_addc_co_u32_e64 v7, s[6:7], v8, v7, s[6:7]
	global_store_dword v[6:7], v42, off
	s_or_b64 exec, exec, s[14:15]
	s_and_saveexec_b64 s[14:15], s[4:5]
	s_cbranch_execnz .LBB121_58
	s_branch .LBB121_59
.LBB121_84:
	v_add_u32_e32 v5, v1, v0
	v_mov_b32_e32 v6, 0
	v_lshlrev_b64 v[5:6], 2, v[5:6]
	s_waitcnt lgkmcnt(0)
	v_mov_b32_e32 v0, s13
	v_add_co_u32_e32 v5, vcc, s12, v5
	v_addc_co_u32_e32 v6, vcc, v0, v6, vcc
	global_store_dword v[5:6], v40, off
	s_or_b64 exec, exec, s[6:7]
	s_and_saveexec_b64 s[6:7], s[0:1]
	s_cbranch_execz .LBB121_62
.LBB121_85:
	v_add_u32_e32 v5, v1, v2
	v_mov_b32_e32 v6, 0
	v_lshlrev_b64 v[5:6], 2, v[5:6]
	s_waitcnt lgkmcnt(0)
	v_mov_b32_e32 v0, s13
	v_add_co_u32_e32 v5, vcc, s12, v5
	v_addc_co_u32_e32 v6, vcc, v0, v6, vcc
	global_store_dword v[5:6], v39, off
	s_or_b64 exec, exec, s[6:7]
	s_and_saveexec_b64 s[0:1], s[2:3]
	s_cbranch_execz .LBB121_63
.LBB121_86:
	v_add_u32_e32 v2, v1, v3
	v_mov_b32_e32 v3, 0
	v_lshlrev_b64 v[2:3], 2, v[2:3]
	s_waitcnt lgkmcnt(0)
	v_mov_b32_e32 v0, s13
	v_add_co_u32_e32 v2, vcc, s12, v2
	v_addc_co_u32_e32 v3, vcc, v0, v3, vcc
	global_store_dword v[2:3], v38, off
	s_or_b64 exec, exec, s[0:1]
	s_and_b64 exec, exec, s[4:5]
	s_cbranch_execnz .LBB121_64
	s_branch .LBB121_65
	.section	.rodata,"a",@progbits
	.p2align	6, 0x0
	.amdhsa_kernel _ZL12mul_mat_q5_0IfLb0EEvPKvS1_PT_iiiii
		.amdhsa_group_segment_fixed_size 46720
		.amdhsa_private_segment_fixed_size 0
		.amdhsa_kernarg_size 44
		.amdhsa_user_sgpr_count 6
		.amdhsa_user_sgpr_private_segment_buffer 1
		.amdhsa_user_sgpr_dispatch_ptr 0
		.amdhsa_user_sgpr_queue_ptr 0
		.amdhsa_user_sgpr_kernarg_segment_ptr 1
		.amdhsa_user_sgpr_dispatch_id 0
		.amdhsa_user_sgpr_flat_scratch_init 0
		.amdhsa_user_sgpr_private_segment_size 0
		.amdhsa_uses_dynamic_stack 0
		.amdhsa_system_sgpr_private_segment_wavefront_offset 0
		.amdhsa_system_sgpr_workgroup_id_x 1
		.amdhsa_system_sgpr_workgroup_id_y 1
		.amdhsa_system_sgpr_workgroup_id_z 0
		.amdhsa_system_sgpr_workgroup_info 0
		.amdhsa_system_vgpr_workitem_id 1
		.amdhsa_next_free_vgpr 171
		.amdhsa_next_free_sgpr 98
		.amdhsa_reserve_vcc 1
		.amdhsa_reserve_flat_scratch 0
		.amdhsa_float_round_mode_32 0
		.amdhsa_float_round_mode_16_64 0
		.amdhsa_float_denorm_mode_32 3
		.amdhsa_float_denorm_mode_16_64 3
		.amdhsa_dx10_clamp 1
		.amdhsa_ieee_mode 1
		.amdhsa_fp16_overflow 0
		.amdhsa_exception_fp_ieee_invalid_op 0
		.amdhsa_exception_fp_denorm_src 0
		.amdhsa_exception_fp_ieee_div_zero 0
		.amdhsa_exception_fp_ieee_overflow 0
		.amdhsa_exception_fp_ieee_underflow 0
		.amdhsa_exception_fp_ieee_inexact 0
		.amdhsa_exception_int_div_zero 0
	.end_amdhsa_kernel
	.section	.text._ZL12mul_mat_q5_0IfLb0EEvPKvS1_PT_iiiii,"axG",@progbits,_ZL12mul_mat_q5_0IfLb0EEvPKvS1_PT_iiiii,comdat
.Lfunc_end121:
	.size	_ZL12mul_mat_q5_0IfLb0EEvPKvS1_PT_iiiii, .Lfunc_end121-_ZL12mul_mat_q5_0IfLb0EEvPKvS1_PT_iiiii
                                        ; -- End function
	.set _ZL12mul_mat_q5_0IfLb0EEvPKvS1_PT_iiiii.num_vgpr, 171
	.set _ZL12mul_mat_q5_0IfLb0EEvPKvS1_PT_iiiii.num_agpr, 0
	.set _ZL12mul_mat_q5_0IfLb0EEvPKvS1_PT_iiiii.numbered_sgpr, 20
	.set _ZL12mul_mat_q5_0IfLb0EEvPKvS1_PT_iiiii.num_named_barrier, 0
	.set _ZL12mul_mat_q5_0IfLb0EEvPKvS1_PT_iiiii.private_seg_size, 0
	.set _ZL12mul_mat_q5_0IfLb0EEvPKvS1_PT_iiiii.uses_vcc, 1
	.set _ZL12mul_mat_q5_0IfLb0EEvPKvS1_PT_iiiii.uses_flat_scratch, 0
	.set _ZL12mul_mat_q5_0IfLb0EEvPKvS1_PT_iiiii.has_dyn_sized_stack, 0
	.set _ZL12mul_mat_q5_0IfLb0EEvPKvS1_PT_iiiii.has_recursion, 0
	.set _ZL12mul_mat_q5_0IfLb0EEvPKvS1_PT_iiiii.has_indirect_call, 0
	.section	.AMDGPU.csdata,"",@progbits
; Kernel info:
; codeLenInByte = 16560
; TotalNumSgprs: 24
; NumVgprs: 171
; ScratchSize: 0
; MemoryBound: 0
; FloatMode: 240
; IeeeMode: 1
; LDSByteSize: 46720 bytes/workgroup (compile time only)
; SGPRBlocks: 12
; VGPRBlocks: 42
; NumSGPRsForWavesPerEU: 102
; NumVGPRsForWavesPerEU: 171
; Occupancy: 1
; WaveLimiterHint : 0
; COMPUTE_PGM_RSRC2:SCRATCH_EN: 0
; COMPUTE_PGM_RSRC2:USER_SGPR: 6
; COMPUTE_PGM_RSRC2:TRAP_HANDLER: 0
; COMPUTE_PGM_RSRC2:TGID_X_EN: 1
; COMPUTE_PGM_RSRC2:TGID_Y_EN: 1
; COMPUTE_PGM_RSRC2:TGID_Z_EN: 0
; COMPUTE_PGM_RSRC2:TIDIG_COMP_CNT: 1
	.section	.text._ZL12mul_mat_q5_0IfLb1EEvPKvS1_PT_iiiii,"axG",@progbits,_ZL12mul_mat_q5_0IfLb1EEvPKvS1_PT_iiiii,comdat
	.globl	_ZL12mul_mat_q5_0IfLb1EEvPKvS1_PT_iiiii ; -- Begin function _ZL12mul_mat_q5_0IfLb1EEvPKvS1_PT_iiiii
	.p2align	8
	.type	_ZL12mul_mat_q5_0IfLb1EEvPKvS1_PT_iiiii,@function
_ZL12mul_mat_q5_0IfLb1EEvPKvS1_PT_iiiii: ; @_ZL12mul_mat_q5_0IfLb1EEvPKvS1_PT_iiiii
; %bb.0:
	s_load_dwordx4 s[8:11], s[4:5], 0x18
	s_load_dword s14, s[4:5], 0x28
	s_lshl_b32 s15, s7, 6
	v_add_u32_e32 v72, s15, v1
	s_waitcnt lgkmcnt(0)
	s_cmp_gt_i32 s8, 31
	s_cbranch_scc1 .LBB122_2
; %bb.1:
	v_add_u32_e32 v2, s15, v1
	s_mov_b64 s[0:1], 0
	s_branch .LBB122_3
.LBB122_2:
	s_mov_b64 s[0:1], -1
                                        ; implicit-def: $vgpr2
.LBB122_3:
	s_load_dwordx2 s[12:13], s[4:5], 0x10
	s_lshl_b32 s6, s6, 7
	v_mov_b32_e32 v53, 0
	s_andn2_b64 vcc, exec, s[0:1]
	v_mov_b32_e32 v57, 0
	v_mov_b32_e32 v61, 0
	;; [unrolled: 1-line block ×31, first 2 shown]
	s_cbranch_vccnz .LBB122_14
; %bb.4:
	s_load_dwordx4 s[0:3], s[4:5], 0x0
	s_ashr_i32 s4, s8, 31
	s_lshr_b32 s4, s4, 27
	s_ashr_i32 s5, s11, 31
	s_add_i32 s4, s8, s4
	s_lshr_b32 s5, s5, 27
	s_ashr_i32 s4, s4, 5
	s_add_i32 s5, s11, s5
	s_ashr_i32 s11, s5, 5
	s_mul_i32 s5, s4, s6
	s_mul_hi_i32 s7, s5, 22
	s_mul_i32 s5, s5, 22
	s_waitcnt lgkmcnt(0)
	s_add_u32 s5, s0, s5
	s_addc_u32 s7, s1, s7
	s_not_b32 s0, s6
	s_add_i32 s1, s9, s0
	v_and_b32_e32 v19, 3, v0
	v_min_i32_e32 v2, s1, v1
	v_lshlrev_b32_e32 v18, 3, v0
	s_movk_i32 s0, 0x104
	v_mul_lo_u32 v81, v2, s4
	v_mad_u64_u32 v[2:3], s[8:9], v2, s0, v[18:19]
	v_add_u32_e32 v28, 8, v1
	v_min_i32_e32 v3, s1, v28
	v_mul_lo_u32 v83, v3, s4
	v_mad_u64_u32 v[3:4], s[8:9], v3, s0, v[18:19]
	v_add_u32_e32 v29, 16, v1
	v_min_i32_e32 v4, s1, v29
	;; [unrolled: 4-line block ×15, first 2 shown]
	v_mul_lo_u32 v100, v17, s4
	v_mad_u64_u32 v[17:18], s[8:9], v17, s0, v[18:19]
	v_lshrrev_b32_e32 v102, 3, v0
	v_lshl_add_u32 v18, v1, 2, v102
	v_min_i32_e32 v20, s1, v18
	v_ashrrev_i32_e32 v21, 31, v20
	v_lshrrev_b32_e32 v21, 30, v21
	v_and_b32_e32 v101, 7, v0
	v_mul_lo_u32 v103, v20, s4
	v_add_u32_e32 v21, v20, v21
	v_lshlrev_b32_e32 v38, 5, v20
	v_add_u32_e32 v20, 32, v18
	v_and_b32_e32 v21, -4, v21
	v_lshlrev_b32_e32 v22, 2, v101
	s_mov_b32 s8, 0xa200
	v_min_i32_e32 v20, s1, v20
	v_add3_u32 v37, v21, v22, s8
	v_ashrrev_i32_e32 v21, 31, v20
	v_lshrrev_b32_e32 v21, 30, v21
	v_mul_lo_u32 v105, v20, s4
	v_add_u32_e32 v21, v20, v21
	v_lshlrev_b32_e32 v40, 5, v20
	v_add_u32_e32 v20, 64, v18
	v_and_b32_e32 v21, -4, v21
	v_min_i32_e32 v20, s1, v20
	v_add3_u32 v39, v21, v22, s8
	v_ashrrev_i32_e32 v21, 31, v20
	v_add_u32_e32 v18, 0x60, v18
	v_lshrrev_b32_e32 v21, 30, v21
	v_min_i32_e32 v18, s1, v18
	v_mul_lo_u32 v106, v20, s4
	v_add_u32_e32 v21, v20, v21
	v_lshlrev_b32_e32 v42, 5, v20
	v_ashrrev_i32_e32 v20, 31, v18
	v_lshrrev_b32_e32 v20, 30, v20
	v_add_u32_e32 v20, v18, v20
	v_and_b32_e32 v21, -4, v21
	v_and_b32_e32 v20, -4, v20
	v_add3_u32 v41, v21, v22, s8
	v_add3_u32 v43, v20, v22, s8
	s_add_i32 s1, s10, -1
	v_lshlrev_b32_e32 v22, 2, v0
	v_lshrrev_b32_e32 v79, 2, v0
	v_mul_lo_u32 v108, v18, s4
	v_lshlrev_b32_e32 v44, 5, v18
	v_cvt_f64_i32_e32 v[20:21], s1
	v_and_b32_e32 v18, 31, v0
	v_and_b32_e32 v45, 28, v22
	v_mov_b32_e32 v24, 0x8200
	v_cvt_f64_u32_e32 v[22:23], v72
	v_lshl_or_b32 v110, v18, 2, v24
	v_lshl_add_u32 v18, v1, 3, v79
	v_and_b32_e32 v30, 63, v18
	v_add_u32_e32 v18, 8, v72
	v_cvt_f64_u32_e32 v[24:25], v18
	v_add_u32_e32 v18, 16, v72
	v_min_f64 v[22:23], v[22:23], v[20:21]
	v_cvt_f64_u32_e32 v[26:27], v18
	v_min_f64 v[24:25], v[24:25], v[20:21]
	v_or_b32_e32 v18, s15, v30
	v_min_i32_e32 v18, s1, v18
	v_min_f64 v[26:27], v[26:27], v[20:21]
	v_lshlrev_b32_e32 v80, 2, v19
	v_mad_u64_u32 v[18:19], s[8:9], v18, s11, v[19:20]
	v_cvt_i32_f64_e32 v22, v[22:23]
	v_lshl_or_b32 v19, v30, 4, v80
	v_add_u32_e32 v111, 0xb280, v19
	v_cvt_i32_f64_e32 v19, v[24:25]
	v_mul_lo_u32 v112, s11, v22
	v_cvt_i32_f64_e32 v22, v[26:27]
	v_lshlrev_b32_e32 v46, 7, v28
	v_mul_lo_u32 v114, s11, v19
	v_add_u32_e32 v19, 24, v72
	v_mul_lo_u32 v115, s11, v22
	v_cvt_f64_u32_e32 v[22:23], v19
	v_add_u32_e32 v19, 32, v72
	v_cvt_f64_u32_e32 v[24:25], v19
	v_add_u32_e32 v19, 40, v72
	v_min_f64 v[22:23], v[22:23], v[20:21]
	v_cvt_f64_u32_e32 v[26:27], v19
	v_add_u32_e32 v19, 48, v72
	v_lshlrev_b32_e32 v47, 7, v29
	v_cvt_f64_u32_e32 v[28:29], v19
	v_add_u32_e32 v19, 56, v72
	v_cvt_f64_u32_e32 v[30:31], v19
	v_min_f64 v[24:25], v[24:25], v[20:21]
	v_min_f64 v[26:27], v[26:27], v[20:21]
	v_cvt_i32_f64_e32 v48, v[22:23]
	v_min_f64 v[22:23], v[28:29], v[20:21]
	v_min_f64 v[19:20], v[30:31], v[20:21]
	v_add_u32_e32 v28, 0x60, v0
	v_mul_lo_u32 v116, s11, v48
	v_lshlrev_b32_e32 v29, 5, v0
	v_cvt_i32_f64_e32 v24, v[24:25]
	v_cvt_i32_f64_e32 v25, v[26:27]
	v_add_u32_e32 v26, 32, v0
	v_cvt_i32_f64_e32 v22, v[22:23]
	v_cvt_i32_f64_e32 v19, v[19:20]
	v_mul_lo_u32 v117, s11, v24
	v_mul_lo_u32 v118, s11, v25
	;; [unrolled: 1-line block ×4, first 2 shown]
	v_add_u32_e32 v27, 64, v0
	v_lshrrev_b32_e32 v122, 3, v26
	v_and_b32_e32 v26, 0x1fc, v26
	v_and_b32_e32 v28, 0x1fc, v28
	;; [unrolled: 1-line block ×3, first 2 shown]
	v_add_u32_e32 v26, v29, v26
	v_and_b32_e32 v30, 0xfc, v0
	v_lshlrev_b32_e32 v113, 7, v1
	v_lshlrev_b32_e32 v21, 7, v32
	;; [unrolled: 1-line block ×6, first 2 shown]
	v_mov_b32_e32 v20, s3
	v_add_co_u32_e32 v19, vcc, s2, v45
	v_add_u32_e32 v28, v29, v28
	v_add_u32_e32 v27, v29, v27
	;; [unrolled: 1-line block ×4, first 2 shown]
	v_mov_b32_e32 v30, 0xb280
	v_add_u32_e32 v131, 0xa610, v26
	v_mov_b32_e32 v26, 0x80
	v_mov_b32_e32 v74, 0
	s_add_i32 s8, s4, 3
	v_mul_u32_u24_e32 v121, 0x104, v0
	v_addc_co_u32_e32 v20, vcc, 0, v20, vcc
	v_add_u32_e32 v123, 0xae00, v28
	v_add_u32_e32 v124, 0xaa00, v27
	;; [unrolled: 1-line block ×3, first 2 shown]
	v_lshl_add_u32 v127, v1, 4, v30
	v_add_u32_e32 v128, 0x8200, v113
	v_add_u32_e32 v129, 0xae10, v28
	;; [unrolled: 1-line block ×4, first 2 shown]
	v_mad_u32_u24 v133, v0, s0, v26
	s_mov_b32 s9, 0
	s_movk_i32 s11, 0x1f00
	s_mov_b32 s16, 0xc0c0105
	v_add_u32_e32 v134, v37, v38
	v_add_u32_e32 v135, v39, v40
	;; [unrolled: 1-line block ×4, first 2 shown]
	v_mov_b32_e32 v138, 8
	v_add_u32_e32 v139, v110, v46
	v_add_u32_e32 v140, v110, v47
	;; [unrolled: 1-line block ×7, first 2 shown]
	v_mov_b32_e32 v97, 0
	v_mov_b32_e32 v78, 0
	;; [unrolled: 1-line block ×31, first 2 shown]
	s_branch .LBB122_6
.LBB122_5:                              ;   in Loop: Header=BB122_6 Depth=1
	s_add_i32 s9, s9, 8
	s_add_i32 s8, s8, -8
	s_cmp_ge_i32 s9, s4
	s_cbranch_scc1 .LBB122_13
.LBB122_6:                              ; =>This Loop Header: Depth=1
                                        ;     Child Loop BB122_8 Depth 2
                                        ;     Child Loop BB122_11 Depth 2
	s_mul_i32 s0, s9, 22
	s_mul_hi_u32 s1, s9, 22
	s_add_u32 s0, s5, s0
	s_addc_u32 s1, s7, s1
	v_mad_u64_u32 v[21:22], s[18:19], v79, 22, s[0:1]
	s_cmp_gt_u32 s8, 3
	v_mad_i64_i32 v[23:24], s[18:19], v81, 22, v[21:22]
	v_mad_i64_i32 v[29:30], s[18:19], v85, 22, v[21:22]
	v_add_co_u32_e32 v25, vcc, v23, v80
	v_addc_co_u32_e32 v26, vcc, 0, v24, vcc
	v_mad_i64_i32 v[27:28], s[18:19], v84, 22, v[21:22]
	v_mad_i64_i32 v[31:32], s[18:19], v83, 22, v[21:22]
	global_load_dword v33, v[25:26], off offset:6
	global_load_dword v39, v[29:30], off offset:2
                                        ; kill: killed $vgpr25 killed $vgpr26
	global_load_dword v34, v[27:28], off offset:2
	global_load_dword v35, v[31:32], off offset:2
	;; [unrolled: 1-line block ×3, first 2 shown]
	v_add_co_u32_e32 v23, vcc, v31, v80
	v_addc_co_u32_e32 v24, vcc, 0, v32, vcc
	global_load_dword v31, v[23:24], off offset:6
	v_add_co_u32_e32 v23, vcc, v27, v80
	v_addc_co_u32_e32 v24, vcc, 0, v28, vcc
	v_add_co_u32_e32 v25, vcc, v29, v80
	v_addc_co_u32_e32 v26, vcc, 0, v30, vcc
	global_load_dword v40, v[23:24], off offset:6
	global_load_dword v41, v[25:26], off offset:6
	s_waitcnt vmcnt(7)
	v_and_b32_e32 v24, 0xf0f0f0f, v33
	v_lshrrev_b32_e32 v25, 4, v33
	v_and_b32_e32 v25, 0xf0f0f0f, v25
	s_waitcnt vmcnt(4)
	v_ashrrev_i32_e32 v26, v80, v35
	s_waitcnt vmcnt(3)
	v_ashrrev_i32_e32 v23, v80, v36
	v_lshlrev_b32_e32 v28, 4, v23
	v_lshlrev_b32_e32 v29, 11, v23
	;; [unrolled: 1-line block ×4, first 2 shown]
	v_lshrrev_b32_e32 v33, 12, v23
	v_lshrrev_b32_e32 v35, 5, v23
	v_lshlrev_b32_e32 v36, 2, v23
	v_lshlrev_b32_e32 v23, 9, v23
	v_and_b32_e32 v28, 16, v28
	v_and_b32_e32 v29, 0x1000, v29
	;; [unrolled: 1-line block ×8, first 2 shown]
	v_or3_b32 v28, v28, v24, v29
	v_or3_b32 v24, v24, v30, v32
	;; [unrolled: 1-line block ×4, first 2 shown]
	v_and_b32_e32 v30, 0x1f00, v28
	v_lshlrev_b16_e32 v28, 8, v28
	v_and_b32_sdwa v32, v24, s11 dst_sel:DWORD dst_unused:UNUSED_PAD src0_sel:WORD_1 src1_sel:DWORD
	v_lshlrev_b16_sdwa v24, v138, v24 dst_sel:DWORD dst_unused:UNUSED_PAD src0_sel:DWORD src1_sel:WORD_1
	v_and_b32_e32 v35, 0x1f00, v29
	v_lshlrev_b16_e32 v29, 8, v29
	v_and_b32_sdwa v33, v23, s11 dst_sel:DWORD dst_unused:UNUSED_PAD src0_sel:WORD_1 src1_sel:DWORD
	v_lshlrev_b16_sdwa v23, v138, v23 dst_sel:DWORD dst_unused:UNUSED_PAD src0_sel:DWORD src1_sel:WORD_1
	v_add_u16_e32 v30, 0xf000, v30
	v_add_u16_e32 v28, 0xf000, v28
	;; [unrolled: 1-line block ×5, first 2 shown]
	v_lshlrev_b32_e32 v37, 4, v26
	v_lshlrev_b32_e32 v38, 11, v26
	v_add_u16_e32 v33, 0xf000, v33
	v_add_u16_e32 v23, 0xf000, v23
	v_perm_b32 v28, v28, v30, s16
	v_perm_b32 v24, v24, v32, s16
	v_or_b32_sdwa v29, v35, v29 dst_sel:DWORD dst_unused:UNUSED_PAD src0_sel:DWORD src1_sel:BYTE_1
	s_waitcnt vmcnt(2)
	v_and_b32_e32 v27, 0xf0f0f0f, v31
	v_lshlrev_b32_e32 v42, 18, v26
	v_lshlrev_b32_e32 v43, 25, v26
	v_and_b32_e32 v37, 16, v37
	v_and_b32_e32 v38, 0x1000, v38
	v_perm_b32 v23, v23, v33, s16
	v_lshl_or_b32 v24, v24, 16, v28
	v_add_u16_e32 v28, 0xf000, v29
	v_and_b32_e32 v42, 0x100000, v42
	v_and_b32_e32 v43, 0x10000000, v43
	v_or3_b32 v25, v37, v27, v38
	v_lshl_or_b32 v23, v23, 16, v28
	v_or3_b32 v27, v27, v42, v43
	ds_write2_b32 v2, v24, v23 offset1:1
	v_lshlrev_b16_e32 v24, 8, v25
	v_and_b32_sdwa v36, v27, s11 dst_sel:DWORD dst_unused:UNUSED_PAD src0_sel:WORD_1 src1_sel:DWORD
	v_lshlrev_b16_sdwa v27, v138, v27 dst_sel:DWORD dst_unused:UNUSED_PAD src0_sel:DWORD src1_sel:WORD_1
	v_and_b32_e32 v23, 0x1f00, v25
	v_add_u16_e32 v24, 0xf000, v24
	v_add_u16_e32 v36, 0xf000, v36
	;; [unrolled: 1-line block ×3, first 2 shown]
	v_or_b32_sdwa v23, v23, v24 dst_sel:DWORD dst_unused:UNUSED_PAD src0_sel:DWORD src1_sel:BYTE_1
	v_perm_b32 v27, v27, v36, s16
	v_add_u16_e32 v23, 0xf000, v23
	v_lshl_or_b32 v23, v27, 16, v23
	v_lshrrev_b32_e32 v24, 4, v31
	v_lshrrev_b32_e32 v25, 12, v26
	;; [unrolled: 1-line block ×3, first 2 shown]
	v_and_b32_e32 v24, 0xf0f0f0f, v24
	v_and_b32_e32 v25, 16, v25
	;; [unrolled: 1-line block ×3, first 2 shown]
	v_or3_b32 v25, v25, v24, v27
	v_lshlrev_b32_e32 v27, 2, v26
	v_lshlrev_b32_e32 v26, 9, v26
	v_and_b32_e32 v27, 0x100000, v27
	v_and_b32_e32 v26, 0x10000000, v26
	v_or3_b32 v24, v24, v27, v26
	v_and_b32_e32 v26, 0x1f00, v25
	v_lshlrev_b16_e32 v25, 8, v25
	v_add_u16_e32 v26, 0xf000, v26
	v_add_u16_e32 v25, 0xf000, v25
	v_perm_b32 v25, v25, v26, s16
	v_and_b32_sdwa v26, v24, s11 dst_sel:DWORD dst_unused:UNUSED_PAD src0_sel:WORD_1 src1_sel:DWORD
	v_lshlrev_b16_sdwa v24, v138, v24 dst_sel:DWORD dst_unused:UNUSED_PAD src0_sel:DWORD src1_sel:WORD_1
	v_add_u16_e32 v26, 0xf000, v26
	v_add_u16_e32 v24, 0xf000, v24
	v_perm_b32 v24, v24, v26, s16
	v_lshl_or_b32 v24, v24, 16, v25
	v_ashrrev_i32_e32 v42, v80, v34
	ds_write2_b32 v3, v23, v24 offset1:1
	v_lshlrev_b32_e32 v24, 4, v42
	v_lshlrev_b32_e32 v25, 11, v42
	s_waitcnt vmcnt(1)
	v_and_b32_e32 v23, 0xf0f0f0f, v40
	v_and_b32_e32 v24, 16, v24
	;; [unrolled: 1-line block ×3, first 2 shown]
	v_or3_b32 v43, v24, v23, v25
	v_lshlrev_b32_e32 v24, 18, v42
	v_lshlrev_b32_e32 v25, 25, v42
	v_and_b32_e32 v24, 0x100000, v24
	v_and_b32_e32 v25, 0x10000000, v25
	v_or3_b32 v23, v23, v24, v25
	v_and_b32_sdwa v24, v23, s11 dst_sel:DWORD dst_unused:UNUSED_PAD src0_sel:WORD_1 src1_sel:DWORD
	v_add_u16_e32 v44, 0xf000, v24
	v_lshlrev_b16_sdwa v45, v138, v23 dst_sel:DWORD dst_unused:UNUSED_PAD src0_sel:DWORD src1_sel:WORD_1
	v_mad_i64_i32 v[23:24], s[18:19], v87, 22, v[21:22]
	v_mad_i64_i32 v[25:26], s[18:19], v88, 22, v[21:22]
	v_add_co_u32_e32 v27, vcc, v23, v80
	v_mad_i64_i32 v[31:32], s[18:19], v89, 22, v[21:22]
	v_addc_co_u32_e32 v28, vcc, 0, v24, vcc
	v_add_co_u32_e32 v29, vcc, v25, v80
	v_mad_i64_i32 v[33:34], s[18:19], v90, 22, v[21:22]
	v_addc_co_u32_e32 v30, vcc, 0, v26, vcc
	v_add_co_u32_e32 v35, vcc, v31, v80
	v_addc_co_u32_e32 v36, vcc, 0, v32, vcc
	v_add_co_u32_e32 v37, vcc, v33, v80
	v_addc_co_u32_e32 v38, vcc, 0, v34, vcc
	global_load_dword v27, v[27:28], off offset:6
	s_nop 0
	global_load_dword v28, v[29:30], off offset:6
	global_load_dword v46, v[35:36], off offset:6
	;; [unrolled: 1-line block ×4, first 2 shown]
	s_nop 0
	global_load_dword v29, v[31:32], off offset:2
	s_nop 0
	global_load_dword v25, v[25:26], off offset:2
	;; [unrolled: 2-line block ×3, first 2 shown]
	v_lshlrev_b16_e32 v30, 8, v43
	v_and_b32_e32 v26, 0x1f00, v43
	v_add_u16_e32 v30, 0xf000, v30
	v_add_u16_e32 v24, 0xf000, v45
	v_or_b32_sdwa v26, v26, v30 dst_sel:DWORD dst_unused:UNUSED_PAD src0_sel:DWORD src1_sel:BYTE_1
	v_perm_b32 v24, v24, v44, s16
	v_add_u16_e32 v26, 0xf000, v26
	v_lshl_or_b32 v24, v24, 16, v26
	v_lshrrev_b32_e32 v26, 4, v40
	v_lshrrev_b32_e32 v30, 12, v42
	;; [unrolled: 1-line block ×3, first 2 shown]
	v_and_b32_e32 v26, 0xf0f0f0f, v26
	v_and_b32_e32 v30, 16, v30
	v_and_b32_e32 v31, 0x1000, v31
	v_or3_b32 v30, v30, v26, v31
	v_lshlrev_b32_e32 v31, 2, v42
	v_lshlrev_b32_e32 v32, 9, v42
	v_and_b32_e32 v31, 0x100000, v31
	v_and_b32_e32 v32, 0x10000000, v32
	v_or3_b32 v26, v26, v31, v32
	v_and_b32_e32 v31, 0x1f00, v30
	v_lshlrev_b16_e32 v30, 8, v30
	v_add_u16_e32 v31, 0xf000, v31
	v_add_u16_e32 v30, 0xf000, v30
	v_perm_b32 v30, v30, v31, s16
	v_and_b32_sdwa v31, v26, s11 dst_sel:DWORD dst_unused:UNUSED_PAD src0_sel:WORD_1 src1_sel:DWORD
	v_lshlrev_b16_sdwa v26, v138, v26 dst_sel:DWORD dst_unused:UNUSED_PAD src0_sel:DWORD src1_sel:WORD_1
	v_add_u16_e32 v31, 0xf000, v31
	v_add_u16_e32 v26, 0xf000, v26
	v_perm_b32 v26, v26, v31, s16
	v_lshl_or_b32 v26, v26, 16, v30
	ds_write2_b32 v4, v24, v26 offset1:1
	v_ashrrev_i32_e32 v24, v80, v39
	v_lshlrev_b32_e32 v30, 4, v24
	v_lshlrev_b32_e32 v31, 11, v24
	s_waitcnt vmcnt(8)
	v_and_b32_e32 v26, 0xf0f0f0f, v41
	v_and_b32_e32 v30, 16, v30
	;; [unrolled: 1-line block ×3, first 2 shown]
	v_or3_b32 v30, v30, v26, v31
	v_lshlrev_b32_e32 v31, 18, v24
	v_lshlrev_b32_e32 v32, 25, v24
	v_and_b32_e32 v31, 0x100000, v31
	v_and_b32_e32 v32, 0x10000000, v32
	v_or3_b32 v26, v26, v31, v32
	v_and_b32_sdwa v31, v26, s11 dst_sel:DWORD dst_unused:UNUSED_PAD src0_sel:WORD_1 src1_sel:DWORD
	v_lshlrev_b16_sdwa v26, v138, v26 dst_sel:DWORD dst_unused:UNUSED_PAD src0_sel:DWORD src1_sel:WORD_1
	v_add_u16_e32 v31, 0xf000, v31
	v_add_u16_e32 v26, 0xf000, v26
	v_perm_b32 v26, v26, v31, s16
	v_and_b32_e32 v31, 0x1f00, v30
	v_lshlrev_b16_e32 v30, 8, v30
	v_add_u16_e32 v30, 0xf000, v30
	v_or_b32_sdwa v30, v31, v30 dst_sel:DWORD dst_unused:UNUSED_PAD src0_sel:DWORD src1_sel:BYTE_1
	v_add_u16_e32 v30, 0xf000, v30
	v_lshl_or_b32 v26, v26, 16, v30
	v_lshrrev_b32_e32 v30, 4, v41
	v_lshrrev_b32_e32 v31, 12, v24
	v_lshrrev_b32_e32 v32, 5, v24
	v_and_b32_e32 v30, 0xf0f0f0f, v30
	v_and_b32_e32 v31, 16, v31
	;; [unrolled: 1-line block ×3, first 2 shown]
	v_or3_b32 v31, v31, v30, v32
	v_lshlrev_b32_e32 v32, 2, v24
	v_lshlrev_b32_e32 v24, 9, v24
	v_and_b32_e32 v32, 0x100000, v32
	v_and_b32_e32 v24, 0x10000000, v24
	v_or3_b32 v24, v30, v32, v24
	v_and_b32_e32 v30, 0x1f00, v31
	v_lshlrev_b16_e32 v31, 8, v31
	v_add_u16_e32 v30, 0xf000, v30
	v_add_u16_e32 v31, 0xf000, v31
	v_perm_b32 v30, v31, v30, s16
	v_and_b32_sdwa v31, v24, s11 dst_sel:DWORD dst_unused:UNUSED_PAD src0_sel:WORD_1 src1_sel:DWORD
	v_lshlrev_b16_sdwa v24, v138, v24 dst_sel:DWORD dst_unused:UNUSED_PAD src0_sel:DWORD src1_sel:WORD_1
	v_add_u16_e32 v31, 0xf000, v31
	v_add_u16_e32 v24, 0xf000, v24
	v_perm_b32 v24, v24, v31, s16
	v_lshl_or_b32 v24, v24, 16, v30
	ds_write2_b32 v5, v26, v24 offset1:1
	s_waitcnt vmcnt(0)
	v_ashrrev_i32_e32 v23, v80, v23
	v_lshlrev_b32_e32 v26, 4, v23
	v_lshlrev_b32_e32 v30, 11, v23
	v_and_b32_e32 v24, 0xf0f0f0f, v27
	v_and_b32_e32 v26, 16, v26
	;; [unrolled: 1-line block ×3, first 2 shown]
	v_or3_b32 v26, v26, v24, v30
	v_lshlrev_b32_e32 v30, 18, v23
	v_lshlrev_b32_e32 v31, 25, v23
	v_and_b32_e32 v30, 0x100000, v30
	v_and_b32_e32 v31, 0x10000000, v31
	v_or3_b32 v24, v24, v30, v31
	v_and_b32_sdwa v30, v24, s11 dst_sel:DWORD dst_unused:UNUSED_PAD src0_sel:WORD_1 src1_sel:DWORD
	v_lshlrev_b16_sdwa v24, v138, v24 dst_sel:DWORD dst_unused:UNUSED_PAD src0_sel:DWORD src1_sel:WORD_1
	v_add_u16_e32 v30, 0xf000, v30
	v_add_u16_e32 v24, 0xf000, v24
	v_perm_b32 v24, v24, v30, s16
	v_and_b32_e32 v30, 0x1f00, v26
	v_lshlrev_b16_e32 v26, 8, v26
	v_add_u16_e32 v26, 0xf000, v26
	v_or_b32_sdwa v26, v30, v26 dst_sel:DWORD dst_unused:UNUSED_PAD src0_sel:DWORD src1_sel:BYTE_1
	v_add_u16_e32 v26, 0xf000, v26
	v_lshl_or_b32 v24, v24, 16, v26
	v_lshrrev_b32_e32 v26, 4, v27
	v_lshrrev_b32_e32 v27, 12, v23
	;; [unrolled: 1-line block ×3, first 2 shown]
	v_and_b32_e32 v26, 0xf0f0f0f, v26
	v_and_b32_e32 v27, 16, v27
	;; [unrolled: 1-line block ×3, first 2 shown]
	v_or3_b32 v27, v27, v26, v30
	v_lshlrev_b32_e32 v30, 2, v23
	v_lshlrev_b32_e32 v23, 9, v23
	v_and_b32_e32 v30, 0x100000, v30
	v_and_b32_e32 v23, 0x10000000, v23
	v_or3_b32 v23, v26, v30, v23
	v_and_b32_e32 v26, 0x1f00, v27
	v_lshlrev_b16_e32 v27, 8, v27
	v_add_u16_e32 v26, 0xf000, v26
	v_add_u16_e32 v27, 0xf000, v27
	v_perm_b32 v26, v27, v26, s16
	v_and_b32_sdwa v27, v23, s11 dst_sel:DWORD dst_unused:UNUSED_PAD src0_sel:WORD_1 src1_sel:DWORD
	v_lshlrev_b16_sdwa v23, v138, v23 dst_sel:DWORD dst_unused:UNUSED_PAD src0_sel:DWORD src1_sel:WORD_1
	v_add_u16_e32 v27, 0xf000, v27
	v_add_u16_e32 v23, 0xf000, v23
	v_perm_b32 v23, v23, v27, s16
	v_lshl_or_b32 v23, v23, 16, v26
	ds_write2_b32 v6, v24, v23 offset1:1
	v_ashrrev_i32_e32 v23, v80, v25
	v_lshlrev_b32_e32 v25, 4, v23
	v_lshlrev_b32_e32 v26, 11, v23
	v_and_b32_e32 v24, 0xf0f0f0f, v28
	v_and_b32_e32 v25, 16, v25
	;; [unrolled: 1-line block ×3, first 2 shown]
	v_or3_b32 v25, v25, v24, v26
	v_lshlrev_b32_e32 v26, 18, v23
	v_lshlrev_b32_e32 v27, 25, v23
	v_and_b32_e32 v26, 0x100000, v26
	v_and_b32_e32 v27, 0x10000000, v27
	v_or3_b32 v24, v24, v26, v27
	v_and_b32_e32 v26, 0x1f00, v25
	v_lshlrev_b16_e32 v25, 8, v25
	v_add_u16_e32 v26, 0xf000, v26
	v_add_u16_e32 v25, 0xf000, v25
	v_perm_b32 v25, v25, v26, s16
	v_and_b32_sdwa v26, v24, s11 dst_sel:DWORD dst_unused:UNUSED_PAD src0_sel:WORD_1 src1_sel:DWORD
	v_lshlrev_b16_sdwa v24, v138, v24 dst_sel:DWORD dst_unused:UNUSED_PAD src0_sel:DWORD src1_sel:WORD_1
	v_add_u16_e32 v26, 0xf000, v26
	v_add_u16_e32 v24, 0xf000, v24
	v_perm_b32 v24, v24, v26, s16
	v_lshl_or_b32 v24, v24, 16, v25
	v_lshrrev_b32_e32 v25, 4, v28
	v_lshrrev_b32_e32 v26, 12, v23
	;; [unrolled: 1-line block ×3, first 2 shown]
	v_and_b32_e32 v25, 0xf0f0f0f, v25
	v_and_b32_e32 v26, 16, v26
	;; [unrolled: 1-line block ×3, first 2 shown]
	v_or3_b32 v26, v26, v25, v27
	v_lshlrev_b32_e32 v27, 2, v23
	v_lshlrev_b32_e32 v23, 9, v23
	v_and_b32_e32 v27, 0x100000, v27
	v_and_b32_e32 v23, 0x10000000, v23
	v_or3_b32 v23, v25, v27, v23
	v_and_b32_sdwa v25, v23, s11 dst_sel:DWORD dst_unused:UNUSED_PAD src0_sel:WORD_1 src1_sel:DWORD
	v_lshlrev_b16_sdwa v23, v138, v23 dst_sel:DWORD dst_unused:UNUSED_PAD src0_sel:DWORD src1_sel:WORD_1
	v_add_u16_e32 v25, 0xf000, v25
	v_add_u16_e32 v23, 0xf000, v23
	v_perm_b32 v23, v23, v25, s16
	v_and_b32_e32 v25, 0x1f00, v26
	v_lshlrev_b16_e32 v26, 8, v26
	v_add_u16_e32 v26, 0xf000, v26
	v_or_b32_sdwa v25, v25, v26 dst_sel:DWORD dst_unused:UNUSED_PAD src0_sel:DWORD src1_sel:BYTE_1
	v_add_u16_e32 v25, 0xf000, v25
	v_lshl_or_b32 v23, v23, 16, v25
	v_ashrrev_i32_e32 v39, v80, v29
	ds_write2_b32 v7, v24, v23 offset1:1
	v_lshlrev_b32_e32 v24, 4, v39
	v_lshlrev_b32_e32 v25, 11, v39
	v_and_b32_e32 v23, 0xf0f0f0f, v46
	v_and_b32_e32 v24, 16, v24
	;; [unrolled: 1-line block ×3, first 2 shown]
	v_or3_b32 v24, v24, v23, v25
	v_lshlrev_b32_e32 v25, 18, v39
	v_lshlrev_b32_e32 v26, 25, v39
	v_and_b32_e32 v25, 0x100000, v25
	v_and_b32_e32 v26, 0x10000000, v26
	v_or3_b32 v40, v23, v25, v26
	v_and_b32_e32 v23, 0x1f00, v24
	v_add_u16_e32 v41, 0xf000, v23
	v_lshlrev_b16_e32 v42, 8, v24
	v_mad_i64_i32 v[23:24], s[18:19], v92, 22, v[21:22]
	v_mad_i64_i32 v[25:26], s[18:19], v93, 22, v[21:22]
	v_add_co_u32_e32 v27, vcc, v23, v80
	v_mad_i64_i32 v[31:32], s[18:19], v94, 22, v[21:22]
	v_addc_co_u32_e32 v28, vcc, 0, v24, vcc
	v_add_co_u32_e32 v29, vcc, v25, v80
	v_mad_i64_i32 v[33:34], s[18:19], v95, 22, v[21:22]
	v_addc_co_u32_e32 v30, vcc, 0, v26, vcc
	v_add_co_u32_e32 v35, vcc, v31, v80
	v_addc_co_u32_e32 v36, vcc, 0, v32, vcc
	v_add_co_u32_e32 v37, vcc, v33, v80
	v_addc_co_u32_e32 v38, vcc, 0, v34, vcc
	global_load_dword v27, v[27:28], off offset:6
	s_nop 0
	global_load_dword v28, v[29:30], off offset:6
	global_load_dword v43, v[35:36], off offset:6
	s_nop 0
	global_load_dword v37, v[37:38], off offset:6
	s_nop 0
	global_load_dword v38, v[33:34], off offset:2
	global_load_dword v29, v[31:32], off offset:2
	s_nop 0
	global_load_dword v25, v[25:26], off offset:2
	s_nop 0
	global_load_dword v23, v[23:24], off offset:2
	v_and_b32_sdwa v26, v40, s11 dst_sel:DWORD dst_unused:UNUSED_PAD src0_sel:WORD_1 src1_sel:DWORD
	v_lshlrev_b16_sdwa v30, v138, v40 dst_sel:DWORD dst_unused:UNUSED_PAD src0_sel:DWORD src1_sel:WORD_1
	v_add_u16_e32 v24, 0xf000, v42
	v_add_u16_e32 v26, 0xf000, v26
	;; [unrolled: 1-line block ×3, first 2 shown]
	v_perm_b32 v24, v24, v41, s16
	v_perm_b32 v26, v30, v26, s16
	v_lshl_or_b32 v24, v26, 16, v24
	v_lshrrev_b32_e32 v26, 4, v46
	v_lshrrev_b32_e32 v30, 12, v39
	;; [unrolled: 1-line block ×3, first 2 shown]
	v_and_b32_e32 v26, 0xf0f0f0f, v26
	v_and_b32_e32 v30, 16, v30
	;; [unrolled: 1-line block ×3, first 2 shown]
	v_or3_b32 v30, v30, v26, v31
	v_lshlrev_b32_e32 v31, 2, v39
	v_lshlrev_b32_e32 v32, 9, v39
	v_and_b32_e32 v31, 0x100000, v31
	v_and_b32_e32 v32, 0x10000000, v32
	v_or3_b32 v26, v26, v31, v32
	v_and_b32_sdwa v31, v26, s11 dst_sel:DWORD dst_unused:UNUSED_PAD src0_sel:WORD_1 src1_sel:DWORD
	v_lshlrev_b16_sdwa v26, v138, v26 dst_sel:DWORD dst_unused:UNUSED_PAD src0_sel:DWORD src1_sel:WORD_1
	v_add_u16_e32 v31, 0xf000, v31
	v_add_u16_e32 v26, 0xf000, v26
	v_perm_b32 v26, v26, v31, s16
	v_and_b32_e32 v31, 0x1f00, v30
	v_lshlrev_b16_e32 v30, 8, v30
	v_add_u16_e32 v30, 0xf000, v30
	v_or_b32_sdwa v30, v31, v30 dst_sel:DWORD dst_unused:UNUSED_PAD src0_sel:DWORD src1_sel:BYTE_1
	v_add_u16_e32 v30, 0xf000, v30
	v_lshl_or_b32 v26, v26, 16, v30
	ds_write2_b32 v8, v24, v26 offset1:1
	v_ashrrev_i32_e32 v24, v80, v48
	v_lshlrev_b32_e32 v30, 4, v24
	v_lshlrev_b32_e32 v31, 11, v24
	v_and_b32_e32 v26, 0xf0f0f0f, v47
	v_and_b32_e32 v30, 16, v30
	v_and_b32_e32 v31, 0x1000, v31
	v_or3_b32 v30, v30, v26, v31
	v_lshlrev_b32_e32 v31, 18, v24
	v_lshlrev_b32_e32 v32, 25, v24
	v_and_b32_e32 v31, 0x100000, v31
	v_and_b32_e32 v32, 0x10000000, v32
	v_or3_b32 v26, v26, v31, v32
	v_and_b32_e32 v31, 0x1f00, v30
	v_lshlrev_b16_e32 v30, 8, v30
	v_add_u16_e32 v31, 0xf000, v31
	v_add_u16_e32 v30, 0xf000, v30
	v_perm_b32 v30, v30, v31, s16
	v_and_b32_sdwa v31, v26, s11 dst_sel:DWORD dst_unused:UNUSED_PAD src0_sel:WORD_1 src1_sel:DWORD
	v_lshlrev_b16_sdwa v26, v138, v26 dst_sel:DWORD dst_unused:UNUSED_PAD src0_sel:DWORD src1_sel:WORD_1
	v_add_u16_e32 v31, 0xf000, v31
	v_add_u16_e32 v26, 0xf000, v26
	v_perm_b32 v26, v26, v31, s16
	v_lshl_or_b32 v26, v26, 16, v30
	v_lshrrev_b32_e32 v30, 4, v47
	v_lshrrev_b32_e32 v31, 12, v24
	;; [unrolled: 1-line block ×3, first 2 shown]
	v_and_b32_e32 v30, 0xf0f0f0f, v30
	v_and_b32_e32 v31, 16, v31
	;; [unrolled: 1-line block ×3, first 2 shown]
	v_or3_b32 v31, v31, v30, v32
	v_lshlrev_b32_e32 v32, 2, v24
	v_lshlrev_b32_e32 v24, 9, v24
	v_and_b32_e32 v32, 0x100000, v32
	v_and_b32_e32 v24, 0x10000000, v24
	v_or3_b32 v24, v30, v32, v24
	v_and_b32_sdwa v30, v24, s11 dst_sel:DWORD dst_unused:UNUSED_PAD src0_sel:WORD_1 src1_sel:DWORD
	v_lshlrev_b16_sdwa v24, v138, v24 dst_sel:DWORD dst_unused:UNUSED_PAD src0_sel:DWORD src1_sel:WORD_1
	v_add_u16_e32 v30, 0xf000, v30
	v_add_u16_e32 v24, 0xf000, v24
	v_perm_b32 v24, v24, v30, s16
	v_and_b32_e32 v30, 0x1f00, v31
	v_lshlrev_b16_e32 v31, 8, v31
	v_add_u16_e32 v31, 0xf000, v31
	v_or_b32_sdwa v30, v30, v31 dst_sel:DWORD dst_unused:UNUSED_PAD src0_sel:DWORD src1_sel:BYTE_1
	v_add_u16_e32 v30, 0xf000, v30
	v_lshl_or_b32 v24, v24, 16, v30
	ds_write2_b32 v9, v26, v24 offset1:1
	s_waitcnt vmcnt(0)
	v_ashrrev_i32_e32 v23, v80, v23
	v_lshlrev_b32_e32 v26, 4, v23
	v_lshlrev_b32_e32 v30, 11, v23
	v_and_b32_e32 v24, 0xf0f0f0f, v27
	v_and_b32_e32 v26, 16, v26
	;; [unrolled: 1-line block ×3, first 2 shown]
	v_or3_b32 v26, v26, v24, v30
	v_lshlrev_b32_e32 v30, 18, v23
	v_lshlrev_b32_e32 v31, 25, v23
	v_and_b32_e32 v30, 0x100000, v30
	v_and_b32_e32 v31, 0x10000000, v31
	v_or3_b32 v24, v24, v30, v31
	v_and_b32_e32 v30, 0x1f00, v26
	v_lshlrev_b16_e32 v26, 8, v26
	v_add_u16_e32 v30, 0xf000, v30
	v_add_u16_e32 v26, 0xf000, v26
	v_perm_b32 v26, v26, v30, s16
	v_and_b32_sdwa v30, v24, s11 dst_sel:DWORD dst_unused:UNUSED_PAD src0_sel:WORD_1 src1_sel:DWORD
	v_lshlrev_b16_sdwa v24, v138, v24 dst_sel:DWORD dst_unused:UNUSED_PAD src0_sel:DWORD src1_sel:WORD_1
	v_add_u16_e32 v30, 0xf000, v30
	v_add_u16_e32 v24, 0xf000, v24
	v_perm_b32 v24, v24, v30, s16
	v_lshl_or_b32 v24, v24, 16, v26
	v_lshrrev_b32_e32 v26, 4, v27
	v_lshrrev_b32_e32 v27, 12, v23
	;; [unrolled: 1-line block ×3, first 2 shown]
	v_and_b32_e32 v26, 0xf0f0f0f, v26
	v_and_b32_e32 v27, 16, v27
	;; [unrolled: 1-line block ×3, first 2 shown]
	v_or3_b32 v27, v27, v26, v30
	v_lshlrev_b32_e32 v30, 2, v23
	v_lshlrev_b32_e32 v23, 9, v23
	v_and_b32_e32 v30, 0x100000, v30
	v_and_b32_e32 v23, 0x10000000, v23
	v_or3_b32 v23, v26, v30, v23
	v_and_b32_sdwa v26, v23, s11 dst_sel:DWORD dst_unused:UNUSED_PAD src0_sel:WORD_1 src1_sel:DWORD
	v_lshlrev_b16_sdwa v23, v138, v23 dst_sel:DWORD dst_unused:UNUSED_PAD src0_sel:DWORD src1_sel:WORD_1
	v_add_u16_e32 v26, 0xf000, v26
	v_add_u16_e32 v23, 0xf000, v23
	v_perm_b32 v23, v23, v26, s16
	v_and_b32_e32 v26, 0x1f00, v27
	v_lshlrev_b16_e32 v27, 8, v27
	v_add_u16_e32 v27, 0xf000, v27
	v_or_b32_sdwa v26, v26, v27 dst_sel:DWORD dst_unused:UNUSED_PAD src0_sel:DWORD src1_sel:BYTE_1
	v_add_u16_e32 v26, 0xf000, v26
	v_lshl_or_b32 v23, v23, 16, v26
	ds_write2_b32 v10, v24, v23 offset1:1
	v_ashrrev_i32_e32 v23, v80, v25
	v_lshlrev_b32_e32 v25, 4, v23
	v_lshlrev_b32_e32 v26, 11, v23
	v_and_b32_e32 v24, 0xf0f0f0f, v28
	v_and_b32_e32 v25, 16, v25
	;; [unrolled: 1-line block ×3, first 2 shown]
	v_or3_b32 v25, v25, v24, v26
	v_lshlrev_b32_e32 v26, 18, v23
	v_lshlrev_b32_e32 v27, 25, v23
	v_and_b32_e32 v26, 0x100000, v26
	v_and_b32_e32 v27, 0x10000000, v27
	v_or3_b32 v24, v24, v26, v27
	v_and_b32_e32 v26, 0x1f00, v25
	v_lshlrev_b16_e32 v25, 8, v25
	v_add_u16_e32 v26, 0xf000, v26
	v_add_u16_e32 v25, 0xf000, v25
	v_perm_b32 v25, v25, v26, s16
	v_and_b32_sdwa v26, v24, s11 dst_sel:DWORD dst_unused:UNUSED_PAD src0_sel:WORD_1 src1_sel:DWORD
	v_lshlrev_b16_sdwa v24, v138, v24 dst_sel:DWORD dst_unused:UNUSED_PAD src0_sel:DWORD src1_sel:WORD_1
	v_add_u16_e32 v26, 0xf000, v26
	v_add_u16_e32 v24, 0xf000, v24
	v_perm_b32 v24, v24, v26, s16
	v_lshl_or_b32 v24, v24, 16, v25
	v_lshrrev_b32_e32 v25, 4, v28
	v_lshrrev_b32_e32 v26, 12, v23
	;; [unrolled: 1-line block ×3, first 2 shown]
	v_and_b32_e32 v25, 0xf0f0f0f, v25
	v_and_b32_e32 v26, 16, v26
	;; [unrolled: 1-line block ×3, first 2 shown]
	v_or3_b32 v26, v26, v25, v27
	v_lshlrev_b32_e32 v27, 2, v23
	v_lshlrev_b32_e32 v23, 9, v23
	v_and_b32_e32 v27, 0x100000, v27
	v_and_b32_e32 v23, 0x10000000, v23
	v_or3_b32 v23, v25, v27, v23
	v_and_b32_sdwa v25, v23, s11 dst_sel:DWORD dst_unused:UNUSED_PAD src0_sel:WORD_1 src1_sel:DWORD
	v_lshlrev_b16_sdwa v23, v138, v23 dst_sel:DWORD dst_unused:UNUSED_PAD src0_sel:DWORD src1_sel:WORD_1
	v_add_u16_e32 v25, 0xf000, v25
	v_add_u16_e32 v23, 0xf000, v23
	v_perm_b32 v23, v23, v25, s16
	v_and_b32_e32 v25, 0x1f00, v26
	v_lshlrev_b16_e32 v26, 8, v26
	v_add_u16_e32 v26, 0xf000, v26
	v_or_b32_sdwa v25, v25, v26 dst_sel:DWORD dst_unused:UNUSED_PAD src0_sel:DWORD src1_sel:BYTE_1
	v_add_u16_e32 v25, 0xf000, v25
	v_lshl_or_b32 v23, v23, 16, v25
	v_ashrrev_i32_e32 v39, v80, v29
	ds_write2_b32 v11, v24, v23 offset1:1
	v_lshlrev_b32_e32 v24, 4, v39
	v_lshlrev_b32_e32 v25, 11, v39
	v_and_b32_e32 v23, 0xf0f0f0f, v43
	v_and_b32_e32 v24, 16, v24
	;; [unrolled: 1-line block ×3, first 2 shown]
	v_or3_b32 v24, v24, v23, v25
	v_lshlrev_b32_e32 v25, 18, v39
	v_lshlrev_b32_e32 v26, 25, v39
	v_and_b32_e32 v25, 0x100000, v25
	v_and_b32_e32 v26, 0x10000000, v26
	v_or3_b32 v40, v23, v25, v26
	v_and_b32_e32 v23, 0x1f00, v24
	v_add_u16_e32 v41, 0xf000, v23
	v_lshlrev_b16_e32 v42, 8, v24
	v_mad_i64_i32 v[23:24], s[18:19], v96, 22, v[21:22]
	v_mad_i64_i32 v[25:26], s[18:19], v98, 22, v[21:22]
	v_add_co_u32_e32 v27, vcc, v23, v80
	v_mad_i64_i32 v[31:32], s[18:19], v99, 22, v[21:22]
	v_addc_co_u32_e32 v28, vcc, 0, v24, vcc
	v_add_co_u32_e32 v29, vcc, v25, v80
	v_mad_i64_i32 v[21:22], s[18:19], v100, 22, v[21:22]
	v_addc_co_u32_e32 v30, vcc, 0, v26, vcc
	v_add_co_u32_e32 v33, vcc, v31, v80
	v_addc_co_u32_e32 v34, vcc, 0, v32, vcc
	v_add_co_u32_e32 v35, vcc, v21, v80
	v_addc_co_u32_e32 v36, vcc, 0, v22, vcc
	global_load_dword v27, v[27:28], off offset:6
	s_nop 0
	global_load_dword v28, v[29:30], off offset:6
	s_nop 0
	global_load_dword v29, v[33:34], off offset:6
	global_load_dword v30, v[35:36], off offset:6
	s_nop 0
	global_load_dword v33, v[21:22], off offset:2
	s_nop 0
	global_load_dword v21, v[31:32], off offset:2
	global_load_dword v22, v[25:26], off offset:2
	s_nop 0
	global_load_dword v23, v[23:24], off offset:2
	v_and_b32_sdwa v25, v40, s11 dst_sel:DWORD dst_unused:UNUSED_PAD src0_sel:WORD_1 src1_sel:DWORD
	v_lshlrev_b16_sdwa v26, v138, v40 dst_sel:DWORD dst_unused:UNUSED_PAD src0_sel:DWORD src1_sel:WORD_1
	v_add_u16_e32 v24, 0xf000, v42
	v_add_u16_e32 v25, 0xf000, v25
	;; [unrolled: 1-line block ×3, first 2 shown]
	v_perm_b32 v24, v24, v41, s16
	v_perm_b32 v25, v26, v25, s16
	v_lshl_or_b32 v24, v25, 16, v24
	v_lshrrev_b32_e32 v25, 4, v43
	v_lshrrev_b32_e32 v26, 12, v39
	;; [unrolled: 1-line block ×3, first 2 shown]
	v_and_b32_e32 v25, 0xf0f0f0f, v25
	v_and_b32_e32 v26, 16, v26
	;; [unrolled: 1-line block ×3, first 2 shown]
	v_or3_b32 v26, v26, v25, v31
	v_lshlrev_b32_e32 v31, 2, v39
	v_lshlrev_b32_e32 v32, 9, v39
	v_and_b32_e32 v31, 0x100000, v31
	v_and_b32_e32 v32, 0x10000000, v32
	v_or3_b32 v25, v25, v31, v32
	v_and_b32_sdwa v31, v25, s11 dst_sel:DWORD dst_unused:UNUSED_PAD src0_sel:WORD_1 src1_sel:DWORD
	v_lshlrev_b16_sdwa v25, v138, v25 dst_sel:DWORD dst_unused:UNUSED_PAD src0_sel:DWORD src1_sel:WORD_1
	v_add_u16_e32 v31, 0xf000, v31
	v_add_u16_e32 v25, 0xf000, v25
	v_perm_b32 v25, v25, v31, s16
	v_and_b32_e32 v31, 0x1f00, v26
	v_lshlrev_b16_e32 v26, 8, v26
	v_add_u16_e32 v26, 0xf000, v26
	v_or_b32_sdwa v26, v31, v26 dst_sel:DWORD dst_unused:UNUSED_PAD src0_sel:DWORD src1_sel:BYTE_1
	v_add_u16_e32 v26, 0xf000, v26
	v_lshl_or_b32 v25, v25, 16, v26
	ds_write2_b32 v12, v24, v25 offset1:1
	v_ashrrev_i32_e32 v24, v80, v38
	v_lshlrev_b32_e32 v26, 4, v24
	v_lshlrev_b32_e32 v31, 11, v24
	v_and_b32_e32 v25, 0xf0f0f0f, v37
	v_and_b32_e32 v26, 16, v26
	;; [unrolled: 1-line block ×3, first 2 shown]
	v_or3_b32 v26, v26, v25, v31
	v_lshlrev_b32_e32 v31, 18, v24
	v_lshlrev_b32_e32 v32, 25, v24
	v_and_b32_e32 v31, 0x100000, v31
	v_and_b32_e32 v32, 0x10000000, v32
	v_or3_b32 v25, v25, v31, v32
	v_and_b32_e32 v31, 0x1f00, v26
	v_lshlrev_b16_e32 v26, 8, v26
	v_add_u16_e32 v31, 0xf000, v31
	v_add_u16_e32 v26, 0xf000, v26
	v_perm_b32 v26, v26, v31, s16
	v_and_b32_sdwa v31, v25, s11 dst_sel:DWORD dst_unused:UNUSED_PAD src0_sel:WORD_1 src1_sel:DWORD
	v_lshlrev_b16_sdwa v25, v138, v25 dst_sel:DWORD dst_unused:UNUSED_PAD src0_sel:DWORD src1_sel:WORD_1
	v_add_u16_e32 v31, 0xf000, v31
	v_add_u16_e32 v25, 0xf000, v25
	v_perm_b32 v25, v25, v31, s16
	v_lshl_or_b32 v25, v25, 16, v26
	v_lshrrev_b32_e32 v26, 4, v37
	v_lshrrev_b32_e32 v31, 12, v24
	;; [unrolled: 1-line block ×3, first 2 shown]
	v_and_b32_e32 v26, 0xf0f0f0f, v26
	v_and_b32_e32 v31, 16, v31
	;; [unrolled: 1-line block ×3, first 2 shown]
	v_or3_b32 v31, v31, v26, v32
	v_lshlrev_b32_e32 v32, 2, v24
	v_lshlrev_b32_e32 v24, 9, v24
	v_and_b32_e32 v32, 0x100000, v32
	v_and_b32_e32 v24, 0x10000000, v24
	v_or3_b32 v24, v26, v32, v24
	v_and_b32_sdwa v26, v24, s11 dst_sel:DWORD dst_unused:UNUSED_PAD src0_sel:WORD_1 src1_sel:DWORD
	v_lshlrev_b16_sdwa v24, v138, v24 dst_sel:DWORD dst_unused:UNUSED_PAD src0_sel:DWORD src1_sel:WORD_1
	v_add_u16_e32 v26, 0xf000, v26
	v_add_u16_e32 v24, 0xf000, v24
	v_perm_b32 v24, v24, v26, s16
	v_and_b32_e32 v26, 0x1f00, v31
	v_lshlrev_b16_e32 v31, 8, v31
	v_add_u16_e32 v31, 0xf000, v31
	v_or_b32_sdwa v26, v26, v31 dst_sel:DWORD dst_unused:UNUSED_PAD src0_sel:DWORD src1_sel:BYTE_1
	v_add_u16_e32 v26, 0xf000, v26
	v_lshl_or_b32 v24, v24, 16, v26
	ds_write2_b32 v13, v25, v24 offset1:1
	s_waitcnt vmcnt(0)
	v_ashrrev_i32_e32 v23, v80, v23
	v_lshlrev_b32_e32 v25, 4, v23
	v_lshlrev_b32_e32 v26, 11, v23
	v_and_b32_e32 v24, 0xf0f0f0f, v27
	v_and_b32_e32 v25, 16, v25
	;; [unrolled: 1-line block ×3, first 2 shown]
	v_or3_b32 v25, v25, v24, v26
	v_lshlrev_b32_e32 v26, 18, v23
	v_lshlrev_b32_e32 v31, 25, v23
	v_and_b32_e32 v26, 0x100000, v26
	v_and_b32_e32 v31, 0x10000000, v31
	v_or3_b32 v24, v24, v26, v31
	v_and_b32_e32 v26, 0x1f00, v25
	v_lshlrev_b16_e32 v25, 8, v25
	v_add_u16_e32 v26, 0xf000, v26
	v_add_u16_e32 v25, 0xf000, v25
	v_perm_b32 v25, v25, v26, s16
	v_and_b32_sdwa v26, v24, s11 dst_sel:DWORD dst_unused:UNUSED_PAD src0_sel:WORD_1 src1_sel:DWORD
	v_lshlrev_b16_sdwa v24, v138, v24 dst_sel:DWORD dst_unused:UNUSED_PAD src0_sel:DWORD src1_sel:WORD_1
	v_add_u16_e32 v26, 0xf000, v26
	v_add_u16_e32 v24, 0xf000, v24
	v_perm_b32 v24, v24, v26, s16
	v_lshl_or_b32 v24, v24, 16, v25
	v_lshrrev_b32_e32 v25, 4, v27
	v_lshrrev_b32_e32 v26, 12, v23
	;; [unrolled: 1-line block ×3, first 2 shown]
	v_and_b32_e32 v25, 0xf0f0f0f, v25
	v_and_b32_e32 v26, 16, v26
	;; [unrolled: 1-line block ×3, first 2 shown]
	v_or3_b32 v26, v26, v25, v27
	v_lshlrev_b32_e32 v27, 2, v23
	v_lshlrev_b32_e32 v23, 9, v23
	v_and_b32_e32 v27, 0x100000, v27
	v_and_b32_e32 v23, 0x10000000, v23
	v_or3_b32 v23, v25, v27, v23
	v_and_b32_sdwa v25, v23, s11 dst_sel:DWORD dst_unused:UNUSED_PAD src0_sel:WORD_1 src1_sel:DWORD
	v_lshlrev_b16_sdwa v23, v138, v23 dst_sel:DWORD dst_unused:UNUSED_PAD src0_sel:DWORD src1_sel:WORD_1
	v_add_u16_e32 v25, 0xf000, v25
	v_add_u16_e32 v23, 0xf000, v23
	v_perm_b32 v23, v23, v25, s16
	v_and_b32_e32 v25, 0x1f00, v26
	v_lshlrev_b16_e32 v26, 8, v26
	v_add_u16_e32 v26, 0xf000, v26
	v_or_b32_sdwa v25, v25, v26 dst_sel:DWORD dst_unused:UNUSED_PAD src0_sel:DWORD src1_sel:BYTE_1
	v_add_u16_e32 v25, 0xf000, v25
	v_lshl_or_b32 v23, v23, 16, v25
	v_ashrrev_i32_e32 v22, v80, v22
	ds_write2_b32 v14, v24, v23 offset1:1
	v_lshlrev_b32_e32 v24, 4, v22
	v_lshlrev_b32_e32 v25, 11, v22
	v_and_b32_e32 v23, 0xf0f0f0f, v28
	v_and_b32_e32 v24, 16, v24
	;; [unrolled: 1-line block ×3, first 2 shown]
	v_or3_b32 v24, v24, v23, v25
	v_lshlrev_b32_e32 v25, 18, v22
	v_lshlrev_b32_e32 v26, 25, v22
	v_and_b32_e32 v25, 0x100000, v25
	v_and_b32_e32 v26, 0x10000000, v26
	v_or3_b32 v23, v23, v25, v26
	v_and_b32_e32 v25, 0x1f00, v24
	v_lshlrev_b16_e32 v24, 8, v24
	v_add_u16_e32 v25, 0xf000, v25
	v_add_u16_e32 v24, 0xf000, v24
	v_perm_b32 v24, v24, v25, s16
	v_and_b32_sdwa v25, v23, s11 dst_sel:DWORD dst_unused:UNUSED_PAD src0_sel:WORD_1 src1_sel:DWORD
	v_lshlrev_b16_sdwa v23, v138, v23 dst_sel:DWORD dst_unused:UNUSED_PAD src0_sel:DWORD src1_sel:WORD_1
	v_add_u16_e32 v25, 0xf000, v25
	v_add_u16_e32 v23, 0xf000, v23
	v_perm_b32 v23, v23, v25, s16
	v_lshl_or_b32 v23, v23, 16, v24
	v_lshrrev_b32_e32 v24, 4, v28
	v_lshrrev_b32_e32 v25, 12, v22
	;; [unrolled: 1-line block ×3, first 2 shown]
	v_and_b32_e32 v24, 0xf0f0f0f, v24
	v_and_b32_e32 v25, 16, v25
	;; [unrolled: 1-line block ×3, first 2 shown]
	v_or3_b32 v25, v25, v24, v26
	v_lshlrev_b32_e32 v26, 2, v22
	v_lshlrev_b32_e32 v22, 9, v22
	v_and_b32_e32 v26, 0x100000, v26
	v_and_b32_e32 v22, 0x10000000, v22
	v_or3_b32 v22, v24, v26, v22
	v_and_b32_sdwa v24, v22, s11 dst_sel:DWORD dst_unused:UNUSED_PAD src0_sel:WORD_1 src1_sel:DWORD
	v_lshlrev_b16_sdwa v22, v138, v22 dst_sel:DWORD dst_unused:UNUSED_PAD src0_sel:DWORD src1_sel:WORD_1
	v_add_u16_e32 v24, 0xf000, v24
	v_add_u16_e32 v22, 0xf000, v22
	v_perm_b32 v22, v22, v24, s16
	v_and_b32_e32 v24, 0x1f00, v25
	v_lshlrev_b16_e32 v25, 8, v25
	v_add_u16_e32 v25, 0xf000, v25
	v_or_b32_sdwa v24, v24, v25 dst_sel:DWORD dst_unused:UNUSED_PAD src0_sel:DWORD src1_sel:BYTE_1
	v_add_u16_e32 v24, 0xf000, v24
	v_lshl_or_b32 v22, v22, 16, v24
	v_ashrrev_i32_e32 v27, v80, v21
	ds_write2_b32 v15, v23, v22 offset1:1
	v_lshlrev_b32_e32 v22, 4, v27
	v_lshlrev_b32_e32 v23, 11, v27
	v_and_b32_e32 v21, 0xf0f0f0f, v29
	v_and_b32_e32 v22, 16, v22
	;; [unrolled: 1-line block ×3, first 2 shown]
	v_or3_b32 v23, v22, v21, v23
	v_lshlrev_b32_e32 v22, 18, v27
	v_lshlrev_b32_e32 v24, 25, v27
	v_and_b32_e32 v22, 0x100000, v22
	v_and_b32_e32 v24, 0x10000000, v24
	v_or3_b32 v28, v21, v22, v24
	v_mad_u64_u32 v[21:22], s[0:1], v101, 22, s[0:1]
	v_and_b32_e32 v24, 0x1f00, v23
	v_add_u16_e32 v25, 0xf000, v24
	v_lshlrev_b16_e32 v26, 8, v23
	v_mad_i64_i32 v[23:24], s[0:1], v103, 22, v[21:22]
	v_add_u16_e32 v26, 0xf000, v26
	v_perm_b32 v31, v26, v25, s16
	global_load_ushort v34, v[23:24], off
	v_mad_i64_i32 v[23:24], s[0:1], v105, 22, v[21:22]
	v_mad_i64_i32 v[25:26], s[0:1], v106, 22, v[21:22]
	;; [unrolled: 1-line block ×3, first 2 shown]
	global_load_ushort v23, v[23:24], off
	s_nop 0
	global_load_ushort v24, v[25:26], off
	v_and_b32_sdwa v32, v28, s11 dst_sel:DWORD dst_unused:UNUSED_PAD src0_sel:WORD_1 src1_sel:DWORD
	global_load_ushort v21, v[21:22], off
	v_lshlrev_b16_sdwa v22, v138, v28 dst_sel:DWORD dst_unused:UNUSED_PAD src0_sel:DWORD src1_sel:WORD_1
	v_add_u16_e32 v25, 0xf000, v32
	v_add_u16_e32 v22, 0xf000, v22
	v_perm_b32 v22, v22, v25, s16
	v_lshrrev_b32_e32 v25, 4, v29
	v_lshrrev_b32_e32 v26, 12, v27
	;; [unrolled: 1-line block ×3, first 2 shown]
	v_and_b32_e32 v25, 0xf0f0f0f, v25
	v_and_b32_e32 v26, 16, v26
	;; [unrolled: 1-line block ×3, first 2 shown]
	v_or3_b32 v26, v26, v25, v28
	v_lshlrev_b32_e32 v28, 2, v27
	v_lshlrev_b32_e32 v27, 9, v27
	v_and_b32_e32 v28, 0x100000, v28
	v_and_b32_e32 v27, 0x10000000, v27
	v_or3_b32 v25, v25, v28, v27
	v_and_b32_sdwa v27, v25, s11 dst_sel:DWORD dst_unused:UNUSED_PAD src0_sel:WORD_1 src1_sel:DWORD
	v_lshlrev_b16_sdwa v25, v138, v25 dst_sel:DWORD dst_unused:UNUSED_PAD src0_sel:DWORD src1_sel:WORD_1
	v_add_u16_e32 v27, 0xf000, v27
	v_add_u16_e32 v25, 0xf000, v25
	v_perm_b32 v25, v25, v27, s16
	v_and_b32_e32 v27, 0x1f00, v26
	v_lshlrev_b16_e32 v26, 8, v26
	v_add_u16_e32 v26, 0xf000, v26
	v_or_b32_sdwa v26, v27, v26 dst_sel:DWORD dst_unused:UNUSED_PAD src0_sel:DWORD src1_sel:BYTE_1
	v_add_u16_e32 v26, 0xf000, v26
	v_lshl_or_b32 v22, v22, 16, v31
	v_lshl_or_b32 v25, v25, 16, v26
	ds_write2_b32 v16, v22, v25 offset1:1
	v_ashrrev_i32_e32 v22, v80, v33
	v_lshlrev_b32_e32 v26, 4, v22
	v_lshlrev_b32_e32 v27, 11, v22
	v_and_b32_e32 v25, 0xf0f0f0f, v30
	v_and_b32_e32 v26, 16, v26
	;; [unrolled: 1-line block ×3, first 2 shown]
	v_or3_b32 v26, v26, v25, v27
	v_lshlrev_b32_e32 v27, 18, v22
	v_lshlrev_b32_e32 v28, 25, v22
	v_and_b32_e32 v27, 0x100000, v27
	v_and_b32_e32 v28, 0x10000000, v28
	v_or3_b32 v25, v25, v27, v28
	v_and_b32_e32 v27, 0x1f00, v26
	v_lshlrev_b16_e32 v26, 8, v26
	v_add_u16_e32 v27, 0xf000, v27
	v_add_u16_e32 v26, 0xf000, v26
	v_perm_b32 v26, v26, v27, s16
	v_and_b32_sdwa v27, v25, s11 dst_sel:DWORD dst_unused:UNUSED_PAD src0_sel:WORD_1 src1_sel:DWORD
	v_lshlrev_b16_sdwa v25, v138, v25 dst_sel:DWORD dst_unused:UNUSED_PAD src0_sel:DWORD src1_sel:WORD_1
	v_add_u16_e32 v27, 0xf000, v27
	v_add_u16_e32 v25, 0xf000, v25
	v_perm_b32 v25, v25, v27, s16
	v_lshl_or_b32 v25, v25, 16, v26
	v_lshrrev_b32_e32 v26, 4, v30
	v_lshrrev_b32_e32 v27, 12, v22
	;; [unrolled: 1-line block ×3, first 2 shown]
	v_and_b32_e32 v26, 0xf0f0f0f, v26
	v_and_b32_e32 v27, 16, v27
	;; [unrolled: 1-line block ×3, first 2 shown]
	v_or3_b32 v27, v27, v26, v28
	v_lshlrev_b32_e32 v28, 2, v22
	v_lshlrev_b32_e32 v22, 9, v22
	v_and_b32_e32 v28, 0x100000, v28
	v_and_b32_e32 v22, 0x10000000, v22
	v_or3_b32 v22, v26, v28, v22
	v_and_b32_sdwa v26, v22, s11 dst_sel:DWORD dst_unused:UNUSED_PAD src0_sel:WORD_1 src1_sel:DWORD
	v_lshlrev_b16_sdwa v22, v138, v22 dst_sel:DWORD dst_unused:UNUSED_PAD src0_sel:DWORD src1_sel:WORD_1
	v_add_u16_e32 v26, 0xf000, v26
	v_add_u16_e32 v22, 0xf000, v22
	v_perm_b32 v22, v22, v26, s16
	v_and_b32_e32 v26, 0x1f00, v27
	v_lshlrev_b16_e32 v27, 8, v27
	v_add_u16_e32 v27, 0xf000, v27
	v_or_b32_sdwa v26, v26, v27 dst_sel:DWORD dst_unused:UNUSED_PAD src0_sel:DWORD src1_sel:BYTE_1
	v_add_u16_e32 v26, 0xf000, v26
	v_lshl_or_b32 v22, v22, 16, v26
	s_waitcnt vmcnt(3)
	v_cvt_f32_f16_e32 v26, v34
	ds_write2_b32 v17, v25, v22 offset1:1
	s_waitcnt vmcnt(2)
	v_cvt_f32_f16_e32 v22, v23
	s_waitcnt vmcnt(1)
	v_cvt_f32_f16_e32 v23, v24
	;; [unrolled: 2-line block ×3, first 2 shown]
	ds_write_b32 v134, v26
	ds_write_b32 v135, v22
	;; [unrolled: 1-line block ×4, first 2 shown]
	s_cbranch_scc0 .LBB122_5
; %bb.7:                                ;   in Loop: Header=BB122_6 Depth=1
	v_add_u32_e32 v146, s9, v18
	v_add_u32_e32 v37, s9, v102
	;; [unrolled: 1-line block ×3, first 2 shown]
	v_mad_u64_u32 v[35:36], s[0:1], v146, 36, s[2:3]
	v_mad_i64_i32 v[21:22], s[0:1], v21, 36, v[19:20]
	v_add_u32_e32 v23, v37, v114
	v_mad_i64_i32 v[23:24], s[0:1], v23, 36, v[19:20]
	v_add_u32_e32 v25, v37, v115
	v_add_u32_e32 v27, v37, v116
	v_mad_i64_i32 v[25:26], s[0:1], v25, 36, v[19:20]
	v_mad_i64_i32 v[27:28], s[0:1], v27, 36, v[19:20]
	v_add_u32_e32 v29, v37, v117
	v_add_u32_e32 v31, v37, v118
	v_add_u32_e32 v33, v37, v119
	v_add_u32_e32 v37, v37, v120
	v_mad_i64_i32 v[29:30], s[0:1], v29, 36, v[19:20]
	v_mad_i64_i32 v[31:32], s[0:1], v31, 36, v[19:20]
	;; [unrolled: 1-line block ×4, first 2 shown]
	global_load_dword v35, v[35:36], off
	s_nop 0
	global_load_dword v21, v[21:22], off offset:4
	s_nop 0
	global_load_dword v22, v[23:24], off offset:4
	s_nop 0
	global_load_dword v23, v[25:26], off offset:4
	global_load_dword v24, v[27:28], off offset:4
	s_nop 0
	global_load_dword v25, v[29:30], off offset:4
	global_load_dword v26, v[31:32], off offset:4
	;; [unrolled: 1-line block ×4, first 2 shown]
	v_add_u32_e32 v147, v110, v113
	s_mov_b32 s0, -4
	v_mov_b32_e32 v148, v128
	v_mov_b32_e32 v149, v121
	;; [unrolled: 1-line block ×7, first 2 shown]
	s_waitcnt vmcnt(8)
	v_cvt_f32_f16_e32 v29, v35
	s_waitcnt vmcnt(7)
	ds_write_b32 v147, v21
	s_waitcnt vmcnt(6)
	ds_write_b32 v139, v22
	;; [unrolled: 2-line block ×8, first 2 shown]
	ds_write_b32 v111, v29
	s_waitcnt lgkmcnt(0)
	s_barrier
.LBB122_8:                              ;   Parent Loop BB122_6 Depth=1
                                        ; =>  This Inner Loop Header: Depth=2
	ds_read_b128 v[159:162], v148
	ds_read_b128 v[163:166], v148 offset:16
	ds_read2_b32 v[167:168], v150 offset1:32
	ds_read_b32 v155, v151
	ds_read2_b32 v[21:22], v149 offset1:1
	s_add_i32 s0, s0, 4
	v_add_u32_e32 v151, 4, v151
	s_cmp_lt_u32 s0, 12
	s_waitcnt lgkmcnt(1)
	v_mul_f32_e32 v30, v167, v155
	s_waitcnt lgkmcnt(0)
	v_dot4_i32_i8 v23, v21, v159, 0
	v_dot4_i32_i8 v25, v22, v163, v23
	ds_read2_b32 v[23:24], v149 offset0:2 offset1:3
	v_mul_f32_e32 v169, v155, v168
	s_waitcnt lgkmcnt(0)
	v_dot4_i32_i8 v25, v23, v160, v25
	v_dot4_i32_i8 v27, v24, v164, v25
	ds_read2_b32 v[25:26], v149 offset0:4 offset1:5
	s_waitcnt lgkmcnt(0)
	v_dot4_i32_i8 v27, v25, v161, v27
	v_dot4_i32_i8 v29, v26, v165, v27
	ds_read2_b32 v[27:28], v149 offset0:6 offset1:7
	s_waitcnt lgkmcnt(0)
	v_dot4_i32_i8 v29, v27, v162, v29
	v_dot4_i32_i8 v29, v28, v166, v29
	v_cvt_f32_i32_e32 v29, v29
	v_fmac_f32_e32 v74, v30, v29
	v_add_u32_e32 v29, 0x2080, v149
	ds_read_b32 v156, v152
	ds_read2_b32 v[29:30], v29 offset1:1
	v_add_u32_e32 v152, 4, v152
	s_waitcnt lgkmcnt(1)
	v_mul_f32_e32 v38, v167, v156
	s_waitcnt lgkmcnt(0)
	v_dot4_i32_i8 v31, v29, v159, 0
	v_dot4_i32_i8 v33, v30, v163, v31
	v_add_u32_e32 v31, 0x2088, v149
	ds_read2_b32 v[31:32], v31 offset1:1
	s_waitcnt lgkmcnt(0)
	v_dot4_i32_i8 v33, v31, v160, v33
	v_dot4_i32_i8 v35, v32, v164, v33
	v_add_u32_e32 v33, 0x2090, v149
	ds_read2_b32 v[33:34], v33 offset1:1
	;; [unrolled: 5-line block ×3, first 2 shown]
	s_waitcnt lgkmcnt(0)
	v_dot4_i32_i8 v37, v35, v162, v37
	v_dot4_i32_i8 v37, v36, v166, v37
	v_cvt_f32_i32_e32 v37, v37
	v_fmac_f32_e32 v109, v38, v37
	v_add_u32_e32 v37, 0x4100, v149
	ds_read_b32 v157, v153
	ds_read2_b32 v[37:38], v37 offset1:1
	v_add_u32_e32 v153, 4, v153
	s_waitcnt lgkmcnt(1)
	v_mul_f32_e32 v46, v167, v157
	s_waitcnt lgkmcnt(0)
	v_dot4_i32_i8 v39, v37, v159, 0
	v_dot4_i32_i8 v41, v38, v163, v39
	v_add_u32_e32 v39, 0x4108, v149
	ds_read2_b32 v[39:40], v39 offset1:1
	s_waitcnt lgkmcnt(0)
	v_dot4_i32_i8 v41, v39, v160, v41
	v_dot4_i32_i8 v43, v40, v164, v41
	v_add_u32_e32 v41, 0x4110, v149
	ds_read2_b32 v[41:42], v41 offset1:1
	;; [unrolled: 5-line block ×3, first 2 shown]
	s_waitcnt lgkmcnt(0)
	v_dot4_i32_i8 v45, v43, v162, v45
	v_dot4_i32_i8 v45, v44, v166, v45
	v_cvt_f32_i32_e32 v45, v45
	v_fmac_f32_e32 v107, v46, v45
	v_add_u32_e32 v45, 0x6180, v149
	ds_read_b32 v158, v154
	ds_read2_b32 v[45:46], v45 offset1:1
	v_add_u32_e32 v154, 4, v154
	s_waitcnt lgkmcnt(0)
	v_dot4_i32_i8 v47, v45, v159, 0
	v_dot4_i32_i8 v49, v46, v163, v47
	v_add_u32_e32 v47, 0x6188, v149
	ds_read2_b32 v[47:48], v47 offset1:1
	s_waitcnt lgkmcnt(0)
	v_dot4_i32_i8 v49, v47, v160, v49
	v_dot4_i32_i8 v51, v48, v164, v49
	v_add_u32_e32 v49, 0x6190, v149
	ds_read2_b32 v[49:50], v49 offset1:1
	v_mul_f32_e32 v160, v167, v158
	s_waitcnt lgkmcnt(0)
	v_dot4_i32_i8 v51, v49, v161, v51
	v_dot4_i32_i8 v159, v50, v165, v51
	v_add_u32_e32 v51, 0x6198, v149
	ds_read2_b32 v[51:52], v51 offset1:1
	v_add_u32_e32 v149, 32, v149
	s_waitcnt lgkmcnt(0)
	v_dot4_i32_i8 v159, v51, v162, v159
	v_dot4_i32_i8 v159, v52, v166, v159
	v_cvt_f32_i32_e32 v159, v159
	v_fmac_f32_e32 v104, v160, v159
	ds_read_b128 v[159:162], v148 offset:1024
	ds_read_b128 v[163:166], v148 offset:1040
	s_waitcnt lgkmcnt(1)
	v_dot4_i32_i8 v167, v21, v159, 0
	s_waitcnt lgkmcnt(0)
	v_dot4_i32_i8 v167, v22, v163, v167
	v_dot4_i32_i8 v167, v23, v160, v167
	;; [unrolled: 1-line block ×7, first 2 shown]
	v_cvt_f32_i32_e32 v167, v167
	v_fmac_f32_e32 v97, v169, v167
	v_dot4_i32_i8 v167, v29, v159, 0
	v_dot4_i32_i8 v167, v30, v163, v167
	;; [unrolled: 1-line block ×8, first 2 shown]
	v_cvt_f32_i32_e32 v167, v167
	v_mul_f32_e32 v169, v156, v168
	v_fmac_f32_e32 v91, v169, v167
	v_dot4_i32_i8 v167, v37, v159, 0
	v_dot4_i32_i8 v159, v45, v159, 0
	;; [unrolled: 1-line block ×16, first 2 shown]
	v_cvt_f32_i32_e32 v167, v167
	v_cvt_f32_i32_e32 v159, v159
	v_mul_f32_e32 v169, v157, v168
	v_mul_f32_e32 v160, v158, v168
	v_fmac_f32_e32 v86, v169, v167
	v_fmac_f32_e32 v82, v160, v159
	ds_read_b128 v[159:162], v148 offset:2048
	ds_read_b128 v[163:166], v148 offset:2064
	ds_read2_b32 v[167:168], v150 offset0:64 offset1:96
	s_waitcnt lgkmcnt(2)
	v_dot4_i32_i8 v169, v21, v159, 0
	s_waitcnt lgkmcnt(1)
	v_dot4_i32_i8 v169, v22, v163, v169
	v_dot4_i32_i8 v169, v23, v160, v169
	;; [unrolled: 1-line block ×7, first 2 shown]
	v_cvt_f32_i32_e32 v169, v169
	s_waitcnt lgkmcnt(0)
	v_mul_f32_e32 v170, v155, v167
	v_fmac_f32_e32 v78, v170, v169
	v_dot4_i32_i8 v169, v29, v159, 0
	v_dot4_i32_i8 v169, v30, v163, v169
	;; [unrolled: 1-line block ×8, first 2 shown]
	v_cvt_f32_i32_e32 v169, v169
	v_mul_f32_e32 v170, v156, v167
	v_fmac_f32_e32 v77, v170, v169
	v_dot4_i32_i8 v169, v37, v159, 0
	v_dot4_i32_i8 v159, v45, v159, 0
	;; [unrolled: 1-line block ×12, first 2 shown]
	v_cvt_f32_i32_e32 v159, v159
	v_dot4_i32_i8 v169, v41, v161, v169
	v_dot4_i32_i8 v169, v42, v165, v169
	;; [unrolled: 1-line block ×3, first 2 shown]
	v_mul_f32_e32 v160, v158, v167
	v_dot4_i32_i8 v169, v44, v166, v169
	v_fmac_f32_e32 v75, v160, v159
	ds_read_b128 v[159:162], v148 offset:3072
	ds_read_b128 v[163:166], v148 offset:3088
	v_mul_f32_e32 v170, v157, v167
	v_cvt_f32_i32_e32 v169, v169
	s_waitcnt lgkmcnt(1)
	v_dot4_i32_i8 v167, v21, v159, 0
	s_waitcnt lgkmcnt(0)
	v_dot4_i32_i8 v167, v22, v163, v167
	v_dot4_i32_i8 v167, v23, v160, v167
	v_dot4_i32_i8 v167, v24, v164, v167
	v_dot4_i32_i8 v167, v25, v161, v167
	v_dot4_i32_i8 v167, v26, v165, v167
	v_dot4_i32_i8 v167, v27, v162, v167
	v_dot4_i32_i8 v167, v28, v166, v167
	v_cvt_f32_i32_e32 v167, v167
	v_fmac_f32_e32 v76, v170, v169
	v_mul_f32_e32 v169, v155, v168
	v_fmac_f32_e32 v73, v169, v167
	v_dot4_i32_i8 v167, v29, v159, 0
	v_dot4_i32_i8 v167, v30, v163, v167
	;; [unrolled: 1-line block ×8, first 2 shown]
	v_cvt_f32_i32_e32 v167, v167
	v_mul_f32_e32 v169, v156, v168
	v_fmac_f32_e32 v71, v169, v167
	v_dot4_i32_i8 v167, v37, v159, 0
	v_dot4_i32_i8 v159, v45, v159, 0
	;; [unrolled: 1-line block ×16, first 2 shown]
	v_cvt_f32_i32_e32 v167, v167
	v_cvt_f32_i32_e32 v159, v159
	v_mul_f32_e32 v169, v157, v168
	v_mul_f32_e32 v160, v158, v168
	v_fmac_f32_e32 v70, v169, v167
	v_fmac_f32_e32 v69, v160, v159
	ds_read_b128 v[159:162], v148 offset:4096
	ds_read_b128 v[163:166], v148 offset:4112
	ds_read2_b32 v[167:168], v150 offset0:128 offset1:160
	s_waitcnt lgkmcnt(2)
	v_dot4_i32_i8 v169, v21, v159, 0
	s_waitcnt lgkmcnt(1)
	v_dot4_i32_i8 v169, v22, v163, v169
	v_dot4_i32_i8 v169, v23, v160, v169
	;; [unrolled: 1-line block ×7, first 2 shown]
	v_cvt_f32_i32_e32 v169, v169
	s_waitcnt lgkmcnt(0)
	v_mul_f32_e32 v170, v155, v167
	v_fmac_f32_e32 v68, v170, v169
	v_dot4_i32_i8 v169, v29, v159, 0
	v_dot4_i32_i8 v169, v30, v163, v169
	;; [unrolled: 1-line block ×8, first 2 shown]
	v_cvt_f32_i32_e32 v169, v169
	v_mul_f32_e32 v170, v156, v167
	v_fmac_f32_e32 v67, v170, v169
	v_dot4_i32_i8 v169, v37, v159, 0
	v_dot4_i32_i8 v159, v45, v159, 0
	;; [unrolled: 1-line block ×12, first 2 shown]
	v_cvt_f32_i32_e32 v159, v159
	v_dot4_i32_i8 v169, v41, v161, v169
	v_dot4_i32_i8 v169, v42, v165, v169
	v_dot4_i32_i8 v169, v43, v162, v169
	v_mul_f32_e32 v160, v158, v167
	v_dot4_i32_i8 v169, v44, v166, v169
	v_fmac_f32_e32 v65, v160, v159
	ds_read_b128 v[159:162], v148 offset:5120
	ds_read_b128 v[163:166], v148 offset:5136
	v_mul_f32_e32 v170, v157, v167
	v_cvt_f32_i32_e32 v169, v169
	s_waitcnt lgkmcnt(1)
	v_dot4_i32_i8 v167, v21, v159, 0
	s_waitcnt lgkmcnt(0)
	v_dot4_i32_i8 v167, v22, v163, v167
	v_dot4_i32_i8 v167, v23, v160, v167
	;; [unrolled: 1-line block ×7, first 2 shown]
	v_cvt_f32_i32_e32 v167, v167
	v_fmac_f32_e32 v66, v170, v169
	v_mul_f32_e32 v169, v155, v168
	v_fmac_f32_e32 v64, v169, v167
	v_dot4_i32_i8 v167, v29, v159, 0
	v_dot4_i32_i8 v167, v30, v163, v167
	;; [unrolled: 1-line block ×8, first 2 shown]
	v_cvt_f32_i32_e32 v167, v167
	v_mul_f32_e32 v169, v156, v168
	v_fmac_f32_e32 v63, v169, v167
	v_dot4_i32_i8 v167, v37, v159, 0
	v_dot4_i32_i8 v159, v45, v159, 0
	;; [unrolled: 1-line block ×16, first 2 shown]
	v_cvt_f32_i32_e32 v167, v167
	v_cvt_f32_i32_e32 v159, v159
	v_mul_f32_e32 v169, v157, v168
	v_mul_f32_e32 v160, v158, v168
	v_fmac_f32_e32 v62, v169, v167
	v_fmac_f32_e32 v61, v160, v159
	ds_read_b128 v[159:162], v148 offset:6144
	ds_read_b128 v[163:166], v148 offset:6160
	ds_read2_b32 v[167:168], v150 offset0:192 offset1:224
	v_add_u32_e32 v150, 4, v150
	s_waitcnt lgkmcnt(2)
	v_dot4_i32_i8 v169, v21, v159, 0
	s_waitcnt lgkmcnt(1)
	v_dot4_i32_i8 v169, v22, v163, v169
	v_dot4_i32_i8 v169, v23, v160, v169
	;; [unrolled: 1-line block ×7, first 2 shown]
	v_cvt_f32_i32_e32 v169, v169
	s_waitcnt lgkmcnt(0)
	v_mul_f32_e32 v170, v155, v167
	v_fmac_f32_e32 v60, v170, v169
	v_dot4_i32_i8 v169, v29, v159, 0
	v_dot4_i32_i8 v169, v30, v163, v169
	;; [unrolled: 1-line block ×8, first 2 shown]
	v_cvt_f32_i32_e32 v169, v169
	v_mul_f32_e32 v170, v156, v167
	v_fmac_f32_e32 v59, v170, v169
	v_dot4_i32_i8 v169, v37, v159, 0
	v_dot4_i32_i8 v159, v45, v159, 0
	v_dot4_i32_i8 v159, v46, v163, v159
	v_dot4_i32_i8 v159, v47, v160, v159
	v_dot4_i32_i8 v159, v48, v164, v159
	v_dot4_i32_i8 v159, v49, v161, v159
	v_dot4_i32_i8 v159, v50, v165, v159
	v_dot4_i32_i8 v169, v38, v163, v169
	v_dot4_i32_i8 v159, v51, v162, v159
	v_dot4_i32_i8 v169, v39, v160, v169
	v_dot4_i32_i8 v159, v52, v166, v159
	v_dot4_i32_i8 v169, v40, v164, v169
	v_cvt_f32_i32_e32 v159, v159
	v_dot4_i32_i8 v169, v41, v161, v169
	v_dot4_i32_i8 v169, v42, v165, v169
	;; [unrolled: 1-line block ×3, first 2 shown]
	v_mul_f32_e32 v160, v158, v167
	v_dot4_i32_i8 v169, v44, v166, v169
	v_fmac_f32_e32 v57, v160, v159
	ds_read_b128 v[159:162], v148 offset:7168
	ds_read_b128 v[163:166], v148 offset:7184
	v_cvt_f32_i32_e32 v169, v169
	v_mul_f32_e32 v170, v157, v167
	v_add_u32_e32 v148, 32, v148
	s_waitcnt lgkmcnt(1)
	v_dot4_i32_i8 v21, v21, v159, 0
	s_waitcnt lgkmcnt(0)
	v_dot4_i32_i8 v21, v22, v163, v21
	v_dot4_i32_i8 v21, v23, v160, v21
	;; [unrolled: 1-line block ×7, first 2 shown]
	v_cvt_f32_i32_e32 v21, v21
	v_mul_f32_e32 v22, v155, v168
	v_fmac_f32_e32 v58, v170, v169
	v_fmac_f32_e32 v56, v22, v21
	v_dot4_i32_i8 v21, v29, v159, 0
	v_dot4_i32_i8 v21, v30, v163, v21
	v_dot4_i32_i8 v21, v31, v160, v21
	v_dot4_i32_i8 v21, v32, v164, v21
	v_dot4_i32_i8 v21, v33, v161, v21
	v_dot4_i32_i8 v21, v34, v165, v21
	v_dot4_i32_i8 v21, v35, v162, v21
	v_dot4_i32_i8 v21, v36, v166, v21
	v_cvt_f32_i32_e32 v21, v21
	v_mul_f32_e32 v22, v156, v168
	v_fmac_f32_e32 v55, v22, v21
	v_dot4_i32_i8 v21, v37, v159, 0
	v_dot4_i32_i8 v21, v38, v163, v21
	v_dot4_i32_i8 v21, v39, v160, v21
	v_dot4_i32_i8 v21, v40, v164, v21
	v_dot4_i32_i8 v21, v41, v161, v21
	v_dot4_i32_i8 v21, v42, v165, v21
	v_dot4_i32_i8 v21, v43, v162, v21
	v_dot4_i32_i8 v21, v44, v166, v21
	v_cvt_f32_i32_e32 v21, v21
	v_mul_f32_e32 v22, v157, v168
	;; [unrolled: 11-line block ×3, first 2 shown]
	v_fmac_f32_e32 v53, v22, v21
	s_cbranch_scc1 .LBB122_8
; %bb.9:                                ;   in Loop: Header=BB122_6 Depth=1
	s_and_b32 s0, s8, -4
	s_cmp_eq_u32 s0, 4
	s_barrier
	s_cbranch_scc1 .LBB122_5
; %bb.10:                               ;   in Loop: Header=BB122_6 Depth=1
	v_add_u32_e32 v37, s9, v122
	v_add_u32_e32 v35, 4, v146
	v_add_u32_e32 v21, v37, v112
	v_mad_u64_u32 v[35:36], s[0:1], v35, 36, s[2:3]
	v_mad_i64_i32 v[21:22], s[0:1], v21, 36, v[19:20]
	v_add_u32_e32 v23, v37, v114
	v_mad_i64_i32 v[23:24], s[0:1], v23, 36, v[19:20]
	v_add_u32_e32 v25, v37, v115
	v_add_u32_e32 v27, v37, v116
	v_mad_i64_i32 v[25:26], s[0:1], v25, 36, v[19:20]
	v_mad_i64_i32 v[27:28], s[0:1], v27, 36, v[19:20]
	v_add_u32_e32 v29, v37, v117
	v_add_u32_e32 v31, v37, v118
	;; [unrolled: 1-line block ×4, first 2 shown]
	v_mad_i64_i32 v[29:30], s[0:1], v29, 36, v[19:20]
	v_mad_i64_i32 v[31:32], s[0:1], v31, 36, v[19:20]
	;; [unrolled: 1-line block ×4, first 2 shown]
	global_load_dword v35, v[35:36], off
	s_nop 0
	global_load_dword v21, v[21:22], off offset:4
	s_nop 0
	global_load_dword v22, v[23:24], off offset:4
	;; [unrolled: 2-line block ×3, first 2 shown]
	global_load_dword v24, v[27:28], off offset:4
	s_nop 0
	global_load_dword v25, v[29:30], off offset:4
	global_load_dword v26, v[31:32], off offset:4
	;; [unrolled: 1-line block ×4, first 2 shown]
	s_mov_b32 s0, 12
	v_mov_b32_e32 v146, v127
	v_mov_b32_e32 v148, v128
	;; [unrolled: 1-line block ×6, first 2 shown]
	s_waitcnt vmcnt(8)
	v_cvt_f32_f16_e32 v29, v35
	s_waitcnt vmcnt(7)
	ds_write_b32 v147, v21
	s_waitcnt vmcnt(6)
	ds_write_b32 v139, v22
	;; [unrolled: 2-line block ×8, first 2 shown]
	ds_write_b32 v111, v29
	v_mov_b32_e32 v147, v129
	s_waitcnt lgkmcnt(0)
	s_barrier
.LBB122_11:                             ;   Parent Loop BB122_6 Depth=1
                                        ; =>  This Inner Loop Header: Depth=2
	ds_read_b128 v[157:160], v148
	ds_read_b128 v[161:164], v148 offset:16
	ds_read2_b32 v[165:166], v146 offset1:32
	ds_read_b32 v153, v150
	ds_read2_b32 v[21:22], v149 offset1:1
	s_add_i32 s0, s0, 4
	v_add_u32_e32 v150, 4, v150
	s_cmp_lt_u32 s0, 28
	s_waitcnt lgkmcnt(1)
	v_mul_f32_e32 v30, v165, v153
	s_waitcnt lgkmcnt(0)
	v_dot4_i32_i8 v23, v21, v157, 0
	v_dot4_i32_i8 v25, v22, v161, v23
	ds_read2_b32 v[23:24], v149 offset0:2 offset1:3
	v_mul_f32_e32 v167, v153, v166
	s_waitcnt lgkmcnt(0)
	v_dot4_i32_i8 v25, v23, v158, v25
	v_dot4_i32_i8 v27, v24, v162, v25
	ds_read2_b32 v[25:26], v149 offset0:4 offset1:5
	s_waitcnt lgkmcnt(0)
	v_dot4_i32_i8 v27, v25, v159, v27
	v_dot4_i32_i8 v29, v26, v163, v27
	ds_read2_b32 v[27:28], v149 offset0:6 offset1:7
	s_waitcnt lgkmcnt(0)
	v_dot4_i32_i8 v29, v27, v160, v29
	v_dot4_i32_i8 v29, v28, v164, v29
	v_cvt_f32_i32_e32 v29, v29
	v_fmac_f32_e32 v74, v30, v29
	v_add_u32_e32 v29, 0x2080, v149
	ds_read_b32 v154, v151
	ds_read2_b32 v[29:30], v29 offset1:1
	v_add_u32_e32 v151, 4, v151
	s_waitcnt lgkmcnt(1)
	v_mul_f32_e32 v38, v165, v154
	s_waitcnt lgkmcnt(0)
	v_dot4_i32_i8 v31, v29, v157, 0
	v_dot4_i32_i8 v33, v30, v161, v31
	v_add_u32_e32 v31, 0x2088, v149
	ds_read2_b32 v[31:32], v31 offset1:1
	s_waitcnt lgkmcnt(0)
	v_dot4_i32_i8 v33, v31, v158, v33
	v_dot4_i32_i8 v35, v32, v162, v33
	v_add_u32_e32 v33, 0x2090, v149
	ds_read2_b32 v[33:34], v33 offset1:1
	;; [unrolled: 5-line block ×3, first 2 shown]
	s_waitcnt lgkmcnt(0)
	v_dot4_i32_i8 v37, v35, v160, v37
	v_dot4_i32_i8 v37, v36, v164, v37
	v_cvt_f32_i32_e32 v37, v37
	v_fmac_f32_e32 v109, v38, v37
	v_add_u32_e32 v37, 0x4100, v149
	ds_read_b32 v155, v152
	ds_read2_b32 v[37:38], v37 offset1:1
	v_add_u32_e32 v152, 4, v152
	s_waitcnt lgkmcnt(1)
	v_mul_f32_e32 v46, v165, v155
	s_waitcnt lgkmcnt(0)
	v_dot4_i32_i8 v39, v37, v157, 0
	v_dot4_i32_i8 v41, v38, v161, v39
	v_add_u32_e32 v39, 0x4108, v149
	ds_read2_b32 v[39:40], v39 offset1:1
	s_waitcnt lgkmcnt(0)
	v_dot4_i32_i8 v41, v39, v158, v41
	v_dot4_i32_i8 v43, v40, v162, v41
	v_add_u32_e32 v41, 0x4110, v149
	ds_read2_b32 v[41:42], v41 offset1:1
	;; [unrolled: 5-line block ×3, first 2 shown]
	s_waitcnt lgkmcnt(0)
	v_dot4_i32_i8 v45, v43, v160, v45
	v_dot4_i32_i8 v45, v44, v164, v45
	v_cvt_f32_i32_e32 v45, v45
	v_fmac_f32_e32 v107, v46, v45
	v_add_u32_e32 v45, 0x6180, v149
	ds_read_b32 v156, v147
	ds_read2_b32 v[45:46], v45 offset1:1
	v_add_u32_e32 v147, 4, v147
	s_waitcnt lgkmcnt(0)
	v_dot4_i32_i8 v47, v45, v157, 0
	v_dot4_i32_i8 v49, v46, v161, v47
	v_add_u32_e32 v47, 0x6188, v149
	ds_read2_b32 v[47:48], v47 offset1:1
	s_waitcnt lgkmcnt(0)
	v_dot4_i32_i8 v49, v47, v158, v49
	v_dot4_i32_i8 v51, v48, v162, v49
	v_add_u32_e32 v49, 0x6190, v149
	ds_read2_b32 v[49:50], v49 offset1:1
	v_mul_f32_e32 v158, v165, v156
	s_waitcnt lgkmcnt(0)
	v_dot4_i32_i8 v51, v49, v159, v51
	v_dot4_i32_i8 v157, v50, v163, v51
	v_add_u32_e32 v51, 0x6198, v149
	ds_read2_b32 v[51:52], v51 offset1:1
	v_add_u32_e32 v149, 32, v149
	s_waitcnt lgkmcnt(0)
	v_dot4_i32_i8 v157, v51, v160, v157
	v_dot4_i32_i8 v157, v52, v164, v157
	v_cvt_f32_i32_e32 v157, v157
	v_fmac_f32_e32 v104, v158, v157
	ds_read_b128 v[157:160], v148 offset:1024
	ds_read_b128 v[161:164], v148 offset:1040
	s_waitcnt lgkmcnt(1)
	v_dot4_i32_i8 v165, v21, v157, 0
	s_waitcnt lgkmcnt(0)
	v_dot4_i32_i8 v165, v22, v161, v165
	v_dot4_i32_i8 v165, v23, v158, v165
	;; [unrolled: 1-line block ×7, first 2 shown]
	v_cvt_f32_i32_e32 v165, v165
	v_fmac_f32_e32 v97, v167, v165
	v_dot4_i32_i8 v165, v29, v157, 0
	v_dot4_i32_i8 v165, v30, v161, v165
	;; [unrolled: 1-line block ×8, first 2 shown]
	v_cvt_f32_i32_e32 v165, v165
	v_mul_f32_e32 v167, v154, v166
	v_fmac_f32_e32 v91, v167, v165
	v_dot4_i32_i8 v165, v37, v157, 0
	v_dot4_i32_i8 v157, v45, v157, 0
	;; [unrolled: 1-line block ×16, first 2 shown]
	v_cvt_f32_i32_e32 v165, v165
	v_cvt_f32_i32_e32 v157, v157
	v_mul_f32_e32 v167, v155, v166
	v_mul_f32_e32 v158, v156, v166
	v_fmac_f32_e32 v86, v167, v165
	v_fmac_f32_e32 v82, v158, v157
	ds_read_b128 v[157:160], v148 offset:2048
	ds_read_b128 v[161:164], v148 offset:2064
	ds_read2_b32 v[165:166], v146 offset0:64 offset1:96
	s_waitcnt lgkmcnt(2)
	v_dot4_i32_i8 v167, v21, v157, 0
	s_waitcnt lgkmcnt(1)
	v_dot4_i32_i8 v167, v22, v161, v167
	v_dot4_i32_i8 v167, v23, v158, v167
	;; [unrolled: 1-line block ×7, first 2 shown]
	v_cvt_f32_i32_e32 v167, v167
	s_waitcnt lgkmcnt(0)
	v_mul_f32_e32 v168, v153, v165
	v_fmac_f32_e32 v78, v168, v167
	v_dot4_i32_i8 v167, v29, v157, 0
	v_dot4_i32_i8 v167, v30, v161, v167
	;; [unrolled: 1-line block ×8, first 2 shown]
	v_cvt_f32_i32_e32 v167, v167
	v_mul_f32_e32 v168, v154, v165
	v_fmac_f32_e32 v77, v168, v167
	v_dot4_i32_i8 v167, v37, v157, 0
	v_dot4_i32_i8 v157, v45, v157, 0
	;; [unrolled: 1-line block ×12, first 2 shown]
	v_cvt_f32_i32_e32 v157, v157
	v_dot4_i32_i8 v167, v41, v159, v167
	v_dot4_i32_i8 v167, v42, v163, v167
	;; [unrolled: 1-line block ×3, first 2 shown]
	v_mul_f32_e32 v158, v156, v165
	v_dot4_i32_i8 v167, v44, v164, v167
	v_fmac_f32_e32 v75, v158, v157
	ds_read_b128 v[157:160], v148 offset:3072
	ds_read_b128 v[161:164], v148 offset:3088
	v_mul_f32_e32 v168, v155, v165
	v_cvt_f32_i32_e32 v167, v167
	s_waitcnt lgkmcnt(1)
	v_dot4_i32_i8 v165, v21, v157, 0
	s_waitcnt lgkmcnt(0)
	v_dot4_i32_i8 v165, v22, v161, v165
	v_dot4_i32_i8 v165, v23, v158, v165
	;; [unrolled: 1-line block ×7, first 2 shown]
	v_cvt_f32_i32_e32 v165, v165
	v_fmac_f32_e32 v76, v168, v167
	v_mul_f32_e32 v167, v153, v166
	v_fmac_f32_e32 v73, v167, v165
	v_dot4_i32_i8 v165, v29, v157, 0
	v_dot4_i32_i8 v165, v30, v161, v165
	;; [unrolled: 1-line block ×8, first 2 shown]
	v_cvt_f32_i32_e32 v165, v165
	v_mul_f32_e32 v167, v154, v166
	v_fmac_f32_e32 v71, v167, v165
	v_dot4_i32_i8 v165, v37, v157, 0
	v_dot4_i32_i8 v157, v45, v157, 0
	;; [unrolled: 1-line block ×16, first 2 shown]
	v_cvt_f32_i32_e32 v165, v165
	v_cvt_f32_i32_e32 v157, v157
	v_mul_f32_e32 v167, v155, v166
	v_mul_f32_e32 v158, v156, v166
	v_fmac_f32_e32 v70, v167, v165
	v_fmac_f32_e32 v69, v158, v157
	ds_read_b128 v[157:160], v148 offset:4096
	ds_read_b128 v[161:164], v148 offset:4112
	ds_read2_b32 v[165:166], v146 offset0:128 offset1:160
	s_waitcnt lgkmcnt(2)
	v_dot4_i32_i8 v167, v21, v157, 0
	s_waitcnt lgkmcnt(1)
	v_dot4_i32_i8 v167, v22, v161, v167
	v_dot4_i32_i8 v167, v23, v158, v167
	;; [unrolled: 1-line block ×7, first 2 shown]
	v_cvt_f32_i32_e32 v167, v167
	s_waitcnt lgkmcnt(0)
	v_mul_f32_e32 v168, v153, v165
	v_fmac_f32_e32 v68, v168, v167
	v_dot4_i32_i8 v167, v29, v157, 0
	v_dot4_i32_i8 v167, v30, v161, v167
	;; [unrolled: 1-line block ×8, first 2 shown]
	v_cvt_f32_i32_e32 v167, v167
	v_mul_f32_e32 v168, v154, v165
	v_fmac_f32_e32 v67, v168, v167
	v_dot4_i32_i8 v167, v37, v157, 0
	v_dot4_i32_i8 v157, v45, v157, 0
	;; [unrolled: 1-line block ×12, first 2 shown]
	v_cvt_f32_i32_e32 v157, v157
	v_dot4_i32_i8 v167, v41, v159, v167
	v_dot4_i32_i8 v167, v42, v163, v167
	;; [unrolled: 1-line block ×3, first 2 shown]
	v_mul_f32_e32 v158, v156, v165
	v_dot4_i32_i8 v167, v44, v164, v167
	v_fmac_f32_e32 v65, v158, v157
	ds_read_b128 v[157:160], v148 offset:5120
	ds_read_b128 v[161:164], v148 offset:5136
	v_mul_f32_e32 v168, v155, v165
	v_cvt_f32_i32_e32 v167, v167
	s_waitcnt lgkmcnt(1)
	v_dot4_i32_i8 v165, v21, v157, 0
	s_waitcnt lgkmcnt(0)
	v_dot4_i32_i8 v165, v22, v161, v165
	v_dot4_i32_i8 v165, v23, v158, v165
	;; [unrolled: 1-line block ×7, first 2 shown]
	v_cvt_f32_i32_e32 v165, v165
	v_fmac_f32_e32 v66, v168, v167
	v_mul_f32_e32 v167, v153, v166
	v_fmac_f32_e32 v64, v167, v165
	v_dot4_i32_i8 v165, v29, v157, 0
	v_dot4_i32_i8 v165, v30, v161, v165
	;; [unrolled: 1-line block ×8, first 2 shown]
	v_cvt_f32_i32_e32 v165, v165
	v_mul_f32_e32 v167, v154, v166
	v_fmac_f32_e32 v63, v167, v165
	v_dot4_i32_i8 v165, v37, v157, 0
	v_dot4_i32_i8 v157, v45, v157, 0
	;; [unrolled: 1-line block ×16, first 2 shown]
	v_cvt_f32_i32_e32 v165, v165
	v_cvt_f32_i32_e32 v157, v157
	v_mul_f32_e32 v167, v155, v166
	v_mul_f32_e32 v158, v156, v166
	v_fmac_f32_e32 v62, v167, v165
	v_fmac_f32_e32 v61, v158, v157
	ds_read_b128 v[157:160], v148 offset:6144
	ds_read_b128 v[161:164], v148 offset:6160
	ds_read2_b32 v[165:166], v146 offset0:192 offset1:224
	v_add_u32_e32 v146, 4, v146
	s_waitcnt lgkmcnt(2)
	v_dot4_i32_i8 v167, v21, v157, 0
	s_waitcnt lgkmcnt(1)
	v_dot4_i32_i8 v167, v22, v161, v167
	v_dot4_i32_i8 v167, v23, v158, v167
	;; [unrolled: 1-line block ×7, first 2 shown]
	v_cvt_f32_i32_e32 v167, v167
	s_waitcnt lgkmcnt(0)
	v_mul_f32_e32 v168, v153, v165
	v_fmac_f32_e32 v60, v168, v167
	v_dot4_i32_i8 v167, v29, v157, 0
	v_dot4_i32_i8 v167, v30, v161, v167
	;; [unrolled: 1-line block ×8, first 2 shown]
	v_cvt_f32_i32_e32 v167, v167
	v_mul_f32_e32 v168, v154, v165
	v_fmac_f32_e32 v59, v168, v167
	v_dot4_i32_i8 v167, v37, v157, 0
	v_dot4_i32_i8 v157, v45, v157, 0
	;; [unrolled: 1-line block ×12, first 2 shown]
	v_cvt_f32_i32_e32 v157, v157
	v_dot4_i32_i8 v167, v41, v159, v167
	v_dot4_i32_i8 v167, v42, v163, v167
	;; [unrolled: 1-line block ×3, first 2 shown]
	v_mul_f32_e32 v158, v156, v165
	v_dot4_i32_i8 v167, v44, v164, v167
	v_fmac_f32_e32 v57, v158, v157
	ds_read_b128 v[157:160], v148 offset:7168
	ds_read_b128 v[161:164], v148 offset:7184
	v_cvt_f32_i32_e32 v167, v167
	v_mul_f32_e32 v168, v155, v165
	v_add_u32_e32 v148, 32, v148
	s_waitcnt lgkmcnt(1)
	v_dot4_i32_i8 v21, v21, v157, 0
	s_waitcnt lgkmcnt(0)
	v_dot4_i32_i8 v21, v22, v161, v21
	v_dot4_i32_i8 v21, v23, v158, v21
	;; [unrolled: 1-line block ×7, first 2 shown]
	v_cvt_f32_i32_e32 v21, v21
	v_mul_f32_e32 v22, v153, v166
	v_fmac_f32_e32 v58, v168, v167
	v_fmac_f32_e32 v56, v22, v21
	v_dot4_i32_i8 v21, v29, v157, 0
	v_dot4_i32_i8 v21, v30, v161, v21
	v_dot4_i32_i8 v21, v31, v158, v21
	v_dot4_i32_i8 v21, v32, v162, v21
	v_dot4_i32_i8 v21, v33, v159, v21
	v_dot4_i32_i8 v21, v34, v163, v21
	v_dot4_i32_i8 v21, v35, v160, v21
	v_dot4_i32_i8 v21, v36, v164, v21
	v_cvt_f32_i32_e32 v21, v21
	v_mul_f32_e32 v22, v154, v166
	v_fmac_f32_e32 v55, v22, v21
	v_dot4_i32_i8 v21, v37, v157, 0
	v_dot4_i32_i8 v21, v38, v161, v21
	v_dot4_i32_i8 v21, v39, v158, v21
	v_dot4_i32_i8 v21, v40, v162, v21
	v_dot4_i32_i8 v21, v41, v159, v21
	v_dot4_i32_i8 v21, v42, v163, v21
	v_dot4_i32_i8 v21, v43, v160, v21
	v_dot4_i32_i8 v21, v44, v164, v21
	v_cvt_f32_i32_e32 v21, v21
	v_mul_f32_e32 v22, v155, v166
	;; [unrolled: 11-line block ×3, first 2 shown]
	v_fmac_f32_e32 v53, v22, v21
	s_cbranch_scc1 .LBB122_11
; %bb.12:                               ;   in Loop: Header=BB122_6 Depth=1
	s_barrier
	s_branch .LBB122_5
.LBB122_13:
	v_mov_b32_e32 v2, v72
.LBB122_14:
	v_cmp_gt_u32_e32 vcc, s10, v2
	s_and_saveexec_b64 s[0:1], vcc
	s_cbranch_execz .LBB122_65
; %bb.15:
	v_mul_lo_u32 v5, v2, s14
	v_add_u32_e32 v0, s6, v0
	v_cmp_gt_u32_e32 vcc, s14, v0
	s_and_saveexec_b64 s[2:3], vcc
	s_cbranch_execz .LBB122_17
; %bb.16:
	v_add_u32_e32 v2, v0, v5
	v_mov_b32_e32 v3, 0
	v_lshlrev_b64 v[2:3], 2, v[2:3]
	s_waitcnt lgkmcnt(0)
	v_mov_b32_e32 v4, s13
	v_add_co_u32_e64 v2, s[0:1], s12, v2
	v_addc_co_u32_e64 v3, s[0:1], v4, v3, s[0:1]
	global_store_dword v[2:3], v74, off
.LBB122_17:
	s_or_b64 exec, exec, s[2:3]
	v_add_u32_e32 v2, 32, v0
	v_cmp_gt_u32_e64 s[0:1], s14, v2
	s_and_saveexec_b64 s[4:5], s[0:1]
	s_cbranch_execz .LBB122_19
; %bb.18:
	v_add_u32_e32 v3, v2, v5
	v_mov_b32_e32 v4, 0
	v_lshlrev_b64 v[3:4], 2, v[3:4]
	s_waitcnt lgkmcnt(0)
	v_mov_b32_e32 v6, s13
	v_add_co_u32_e64 v3, s[2:3], s12, v3
	v_addc_co_u32_e64 v4, s[2:3], v6, v4, s[2:3]
	global_store_dword v[3:4], v109, off
.LBB122_19:
	s_or_b64 exec, exec, s[4:5]
	v_add_u32_e32 v3, 64, v0
	v_cmp_gt_u32_e64 s[2:3], s14, v3
	s_and_saveexec_b64 s[6:7], s[2:3]
	;; [unrolled: 15-line block ×3, first 2 shown]
	s_cbranch_execz .LBB122_23
; %bb.22:
	v_add_u32_e32 v5, v4, v5
	v_mov_b32_e32 v6, 0
	v_lshlrev_b64 v[5:6], 2, v[5:6]
	s_waitcnt lgkmcnt(0)
	v_mov_b32_e32 v7, s13
	v_add_co_u32_e64 v5, s[6:7], s12, v5
	v_addc_co_u32_e64 v6, s[6:7], v7, v6, s[6:7]
	global_store_dword v[5:6], v104, off
.LBB122_23:
	s_or_b64 exec, exec, s[8:9]
	v_add3_u32 v5, v1, s15, 8
	v_cmp_gt_u32_e64 s[6:7], s10, v5
	s_and_b64 exec, exec, s[6:7]
	s_cbranch_execz .LBB122_65
; %bb.24:
	v_mul_lo_u32 v5, v5, s14
	s_and_saveexec_b64 s[8:9], vcc
	s_cbranch_execnz .LBB122_66
; %bb.25:
	s_or_b64 exec, exec, s[8:9]
	s_and_saveexec_b64 s[8:9], s[0:1]
	s_cbranch_execnz .LBB122_67
.LBB122_26:
	s_or_b64 exec, exec, s[8:9]
	s_and_saveexec_b64 s[8:9], s[2:3]
	s_cbranch_execnz .LBB122_68
.LBB122_27:
	s_or_b64 exec, exec, s[8:9]
	s_and_saveexec_b64 s[8:9], s[4:5]
	s_cbranch_execz .LBB122_29
.LBB122_28:
	v_add_u32_e32 v5, v5, v4
	v_mov_b32_e32 v6, 0
	v_lshlrev_b64 v[5:6], 2, v[5:6]
	s_waitcnt lgkmcnt(0)
	v_mov_b32_e32 v7, s13
	v_add_co_u32_e64 v5, s[6:7], s12, v5
	v_addc_co_u32_e64 v6, s[6:7], v7, v6, s[6:7]
	global_store_dword v[5:6], v82, off
.LBB122_29:
	s_or_b64 exec, exec, s[8:9]
	v_add3_u32 v5, v1, s15, 16
	v_cmp_gt_u32_e64 s[6:7], s10, v5
	s_and_b64 exec, exec, s[6:7]
	s_cbranch_execz .LBB122_65
; %bb.30:
	v_mul_lo_u32 v5, v5, s14
	s_and_saveexec_b64 s[8:9], vcc
	s_cbranch_execnz .LBB122_69
; %bb.31:
	s_or_b64 exec, exec, s[8:9]
	s_and_saveexec_b64 s[8:9], s[0:1]
	s_cbranch_execnz .LBB122_70
.LBB122_32:
	s_or_b64 exec, exec, s[8:9]
	s_and_saveexec_b64 s[8:9], s[2:3]
	s_cbranch_execnz .LBB122_71
.LBB122_33:
	s_or_b64 exec, exec, s[8:9]
	s_and_saveexec_b64 s[8:9], s[4:5]
	s_cbranch_execz .LBB122_35
.LBB122_34:
	v_add_u32_e32 v5, v5, v4
	v_mov_b32_e32 v6, 0
	v_lshlrev_b64 v[5:6], 2, v[5:6]
	s_waitcnt lgkmcnt(0)
	v_mov_b32_e32 v7, s13
	v_add_co_u32_e64 v5, s[6:7], s12, v5
	v_addc_co_u32_e64 v6, s[6:7], v7, v6, s[6:7]
	global_store_dword v[5:6], v75, off
.LBB122_35:
	s_or_b64 exec, exec, s[8:9]
	v_add3_u32 v5, v1, s15, 24
	v_cmp_gt_u32_e64 s[6:7], s10, v5
	s_and_b64 exec, exec, s[6:7]
	s_cbranch_execz .LBB122_65
; %bb.36:
	v_mul_lo_u32 v5, v5, s14
	s_and_saveexec_b64 s[8:9], vcc
	s_cbranch_execnz .LBB122_72
; %bb.37:
	s_or_b64 exec, exec, s[8:9]
	s_and_saveexec_b64 s[8:9], s[0:1]
	s_cbranch_execnz .LBB122_73
.LBB122_38:
	s_or_b64 exec, exec, s[8:9]
	s_and_saveexec_b64 s[8:9], s[2:3]
	s_cbranch_execnz .LBB122_74
.LBB122_39:
	s_or_b64 exec, exec, s[8:9]
	s_and_saveexec_b64 s[8:9], s[4:5]
	s_cbranch_execz .LBB122_41
.LBB122_40:
	v_add_u32_e32 v5, v5, v4
	v_mov_b32_e32 v6, 0
	v_lshlrev_b64 v[5:6], 2, v[5:6]
	s_waitcnt lgkmcnt(0)
	v_mov_b32_e32 v7, s13
	v_add_co_u32_e64 v5, s[6:7], s12, v5
	v_addc_co_u32_e64 v6, s[6:7], v7, v6, s[6:7]
	global_store_dword v[5:6], v69, off
.LBB122_41:
	s_or_b64 exec, exec, s[8:9]
	v_add3_u32 v5, v1, s15, 32
	v_cmp_gt_u32_e64 s[6:7], s10, v5
	s_and_b64 exec, exec, s[6:7]
	s_cbranch_execz .LBB122_65
; %bb.42:
	v_mul_lo_u32 v5, v5, s14
	s_and_saveexec_b64 s[8:9], vcc
	s_cbranch_execnz .LBB122_75
; %bb.43:
	s_or_b64 exec, exec, s[8:9]
	s_and_saveexec_b64 s[8:9], s[0:1]
	s_cbranch_execnz .LBB122_76
.LBB122_44:
	s_or_b64 exec, exec, s[8:9]
	s_and_saveexec_b64 s[8:9], s[2:3]
	s_cbranch_execnz .LBB122_77
.LBB122_45:
	s_or_b64 exec, exec, s[8:9]
	s_and_saveexec_b64 s[8:9], s[4:5]
	s_cbranch_execz .LBB122_47
.LBB122_46:
	v_add_u32_e32 v5, v5, v4
	v_mov_b32_e32 v6, 0
	v_lshlrev_b64 v[5:6], 2, v[5:6]
	s_waitcnt lgkmcnt(0)
	v_mov_b32_e32 v7, s13
	v_add_co_u32_e64 v5, s[6:7], s12, v5
	v_addc_co_u32_e64 v6, s[6:7], v7, v6, s[6:7]
	global_store_dword v[5:6], v65, off
.LBB122_47:
	s_or_b64 exec, exec, s[8:9]
	v_add3_u32 v5, v1, s15, 40
	v_cmp_gt_u32_e64 s[6:7], s10, v5
	s_and_b64 exec, exec, s[6:7]
	s_cbranch_execz .LBB122_65
; %bb.48:
	v_mul_lo_u32 v5, v5, s14
	s_and_saveexec_b64 s[8:9], vcc
	s_cbranch_execnz .LBB122_78
; %bb.49:
	s_or_b64 exec, exec, s[8:9]
	s_and_saveexec_b64 s[8:9], s[0:1]
	s_cbranch_execnz .LBB122_79
.LBB122_50:
	s_or_b64 exec, exec, s[8:9]
	s_and_saveexec_b64 s[8:9], s[2:3]
	s_cbranch_execnz .LBB122_80
.LBB122_51:
	s_or_b64 exec, exec, s[8:9]
	s_and_saveexec_b64 s[8:9], s[4:5]
	s_cbranch_execz .LBB122_53
.LBB122_52:
	v_add_u32_e32 v5, v5, v4
	v_mov_b32_e32 v6, 0
	v_lshlrev_b64 v[5:6], 2, v[5:6]
	s_waitcnt lgkmcnt(0)
	v_mov_b32_e32 v7, s13
	v_add_co_u32_e64 v5, s[6:7], s12, v5
	v_addc_co_u32_e64 v6, s[6:7], v7, v6, s[6:7]
	global_store_dword v[5:6], v61, off
.LBB122_53:
	s_or_b64 exec, exec, s[8:9]
	v_add3_u32 v5, v1, s15, 48
	v_cmp_gt_u32_e64 s[6:7], s10, v5
	s_and_b64 exec, exec, s[6:7]
	s_cbranch_execz .LBB122_65
; %bb.54:
	v_mul_lo_u32 v5, v5, s14
	s_and_saveexec_b64 s[8:9], vcc
	s_cbranch_execnz .LBB122_81
; %bb.55:
	s_or_b64 exec, exec, s[8:9]
	s_and_saveexec_b64 s[8:9], s[0:1]
	s_cbranch_execnz .LBB122_82
.LBB122_56:
	s_or_b64 exec, exec, s[8:9]
	s_and_saveexec_b64 s[8:9], s[2:3]
	s_cbranch_execnz .LBB122_83
.LBB122_57:
	s_or_b64 exec, exec, s[8:9]
	s_and_saveexec_b64 s[8:9], s[4:5]
	s_cbranch_execz .LBB122_59
.LBB122_58:
	v_add_u32_e32 v5, v5, v4
	v_mov_b32_e32 v6, 0
	v_lshlrev_b64 v[5:6], 2, v[5:6]
	s_waitcnt lgkmcnt(0)
	v_mov_b32_e32 v7, s13
	v_add_co_u32_e64 v5, s[6:7], s12, v5
	v_addc_co_u32_e64 v6, s[6:7], v7, v6, s[6:7]
	global_store_dword v[5:6], v57, off
.LBB122_59:
	s_or_b64 exec, exec, s[8:9]
	v_add3_u32 v1, v1, s15, 56
	v_cmp_gt_u32_e64 s[6:7], s10, v1
	s_and_b64 exec, exec, s[6:7]
	s_cbranch_execz .LBB122_65
; %bb.60:
	v_mul_lo_u32 v1, v1, s14
	s_and_saveexec_b64 s[6:7], vcc
	s_cbranch_execnz .LBB122_84
; %bb.61:
	s_or_b64 exec, exec, s[6:7]
	s_and_saveexec_b64 s[6:7], s[0:1]
	s_cbranch_execnz .LBB122_85
.LBB122_62:
	s_or_b64 exec, exec, s[6:7]
	s_and_saveexec_b64 s[0:1], s[2:3]
	s_cbranch_execnz .LBB122_86
.LBB122_63:
	s_or_b64 exec, exec, s[0:1]
	s_and_b64 exec, exec, s[4:5]
	s_cbranch_execz .LBB122_65
.LBB122_64:
	v_add_u32_e32 v0, v1, v4
	v_mov_b32_e32 v1, 0
	v_lshlrev_b64 v[0:1], 2, v[0:1]
	s_waitcnt lgkmcnt(0)
	v_mov_b32_e32 v2, s13
	v_add_co_u32_e32 v0, vcc, s12, v0
	v_addc_co_u32_e32 v1, vcc, v2, v1, vcc
	global_store_dword v[0:1], v53, off
.LBB122_65:
	s_endpgm
.LBB122_66:
	v_add_u32_e32 v6, v5, v0
	v_mov_b32_e32 v7, 0
	v_lshlrev_b64 v[6:7], 2, v[6:7]
	s_waitcnt lgkmcnt(0)
	v_mov_b32_e32 v8, s13
	v_add_co_u32_e64 v6, s[6:7], s12, v6
	v_addc_co_u32_e64 v7, s[6:7], v8, v7, s[6:7]
	global_store_dword v[6:7], v97, off
	s_or_b64 exec, exec, s[8:9]
	s_and_saveexec_b64 s[8:9], s[0:1]
	s_cbranch_execz .LBB122_26
.LBB122_67:
	v_add_u32_e32 v6, v5, v2
	v_mov_b32_e32 v7, 0
	v_lshlrev_b64 v[6:7], 2, v[6:7]
	s_waitcnt lgkmcnt(0)
	v_mov_b32_e32 v8, s13
	v_add_co_u32_e64 v6, s[6:7], s12, v6
	v_addc_co_u32_e64 v7, s[6:7], v8, v7, s[6:7]
	global_store_dword v[6:7], v91, off
	s_or_b64 exec, exec, s[8:9]
	s_and_saveexec_b64 s[8:9], s[2:3]
	s_cbranch_execz .LBB122_27
.LBB122_68:
	v_add_u32_e32 v6, v5, v3
	v_mov_b32_e32 v7, 0
	v_lshlrev_b64 v[6:7], 2, v[6:7]
	s_waitcnt lgkmcnt(0)
	v_mov_b32_e32 v8, s13
	v_add_co_u32_e64 v6, s[6:7], s12, v6
	v_addc_co_u32_e64 v7, s[6:7], v8, v7, s[6:7]
	global_store_dword v[6:7], v86, off
	s_or_b64 exec, exec, s[8:9]
	s_and_saveexec_b64 s[8:9], s[4:5]
	s_cbranch_execnz .LBB122_28
	s_branch .LBB122_29
.LBB122_69:
	v_add_u32_e32 v6, v5, v0
	v_mov_b32_e32 v7, 0
	v_lshlrev_b64 v[6:7], 2, v[6:7]
	s_waitcnt lgkmcnt(0)
	v_mov_b32_e32 v8, s13
	v_add_co_u32_e64 v6, s[6:7], s12, v6
	v_addc_co_u32_e64 v7, s[6:7], v8, v7, s[6:7]
	global_store_dword v[6:7], v78, off
	s_or_b64 exec, exec, s[8:9]
	s_and_saveexec_b64 s[8:9], s[0:1]
	s_cbranch_execz .LBB122_32
.LBB122_70:
	v_add_u32_e32 v6, v5, v2
	v_mov_b32_e32 v7, 0
	v_lshlrev_b64 v[6:7], 2, v[6:7]
	s_waitcnt lgkmcnt(0)
	v_mov_b32_e32 v8, s13
	v_add_co_u32_e64 v6, s[6:7], s12, v6
	v_addc_co_u32_e64 v7, s[6:7], v8, v7, s[6:7]
	global_store_dword v[6:7], v77, off
	s_or_b64 exec, exec, s[8:9]
	s_and_saveexec_b64 s[8:9], s[2:3]
	s_cbranch_execz .LBB122_33
.LBB122_71:
	v_add_u32_e32 v6, v5, v3
	v_mov_b32_e32 v7, 0
	v_lshlrev_b64 v[6:7], 2, v[6:7]
	s_waitcnt lgkmcnt(0)
	v_mov_b32_e32 v8, s13
	v_add_co_u32_e64 v6, s[6:7], s12, v6
	v_addc_co_u32_e64 v7, s[6:7], v8, v7, s[6:7]
	global_store_dword v[6:7], v76, off
	s_or_b64 exec, exec, s[8:9]
	s_and_saveexec_b64 s[8:9], s[4:5]
	s_cbranch_execnz .LBB122_34
	s_branch .LBB122_35
.LBB122_72:
	v_add_u32_e32 v6, v5, v0
	v_mov_b32_e32 v7, 0
	v_lshlrev_b64 v[6:7], 2, v[6:7]
	s_waitcnt lgkmcnt(0)
	v_mov_b32_e32 v8, s13
	v_add_co_u32_e64 v6, s[6:7], s12, v6
	v_addc_co_u32_e64 v7, s[6:7], v8, v7, s[6:7]
	global_store_dword v[6:7], v73, off
	s_or_b64 exec, exec, s[8:9]
	s_and_saveexec_b64 s[8:9], s[0:1]
	s_cbranch_execz .LBB122_38
.LBB122_73:
	v_add_u32_e32 v6, v5, v2
	v_mov_b32_e32 v7, 0
	v_lshlrev_b64 v[6:7], 2, v[6:7]
	s_waitcnt lgkmcnt(0)
	v_mov_b32_e32 v8, s13
	v_add_co_u32_e64 v6, s[6:7], s12, v6
	v_addc_co_u32_e64 v7, s[6:7], v8, v7, s[6:7]
	global_store_dword v[6:7], v71, off
	s_or_b64 exec, exec, s[8:9]
	s_and_saveexec_b64 s[8:9], s[2:3]
	s_cbranch_execz .LBB122_39
.LBB122_74:
	v_add_u32_e32 v6, v5, v3
	v_mov_b32_e32 v7, 0
	v_lshlrev_b64 v[6:7], 2, v[6:7]
	s_waitcnt lgkmcnt(0)
	v_mov_b32_e32 v8, s13
	v_add_co_u32_e64 v6, s[6:7], s12, v6
	v_addc_co_u32_e64 v7, s[6:7], v8, v7, s[6:7]
	global_store_dword v[6:7], v70, off
	s_or_b64 exec, exec, s[8:9]
	s_and_saveexec_b64 s[8:9], s[4:5]
	s_cbranch_execnz .LBB122_40
	s_branch .LBB122_41
.LBB122_75:
	v_add_u32_e32 v6, v5, v0
	v_mov_b32_e32 v7, 0
	v_lshlrev_b64 v[6:7], 2, v[6:7]
	s_waitcnt lgkmcnt(0)
	v_mov_b32_e32 v8, s13
	v_add_co_u32_e64 v6, s[6:7], s12, v6
	v_addc_co_u32_e64 v7, s[6:7], v8, v7, s[6:7]
	global_store_dword v[6:7], v68, off
	s_or_b64 exec, exec, s[8:9]
	s_and_saveexec_b64 s[8:9], s[0:1]
	s_cbranch_execz .LBB122_44
.LBB122_76:
	v_add_u32_e32 v6, v5, v2
	v_mov_b32_e32 v7, 0
	v_lshlrev_b64 v[6:7], 2, v[6:7]
	s_waitcnt lgkmcnt(0)
	v_mov_b32_e32 v8, s13
	v_add_co_u32_e64 v6, s[6:7], s12, v6
	v_addc_co_u32_e64 v7, s[6:7], v8, v7, s[6:7]
	global_store_dword v[6:7], v67, off
	s_or_b64 exec, exec, s[8:9]
	s_and_saveexec_b64 s[8:9], s[2:3]
	s_cbranch_execz .LBB122_45
.LBB122_77:
	v_add_u32_e32 v6, v5, v3
	v_mov_b32_e32 v7, 0
	v_lshlrev_b64 v[6:7], 2, v[6:7]
	s_waitcnt lgkmcnt(0)
	v_mov_b32_e32 v8, s13
	v_add_co_u32_e64 v6, s[6:7], s12, v6
	v_addc_co_u32_e64 v7, s[6:7], v8, v7, s[6:7]
	global_store_dword v[6:7], v66, off
	s_or_b64 exec, exec, s[8:9]
	s_and_saveexec_b64 s[8:9], s[4:5]
	s_cbranch_execnz .LBB122_46
	s_branch .LBB122_47
.LBB122_78:
	v_add_u32_e32 v6, v5, v0
	v_mov_b32_e32 v7, 0
	v_lshlrev_b64 v[6:7], 2, v[6:7]
	s_waitcnt lgkmcnt(0)
	v_mov_b32_e32 v8, s13
	v_add_co_u32_e64 v6, s[6:7], s12, v6
	v_addc_co_u32_e64 v7, s[6:7], v8, v7, s[6:7]
	global_store_dword v[6:7], v64, off
	s_or_b64 exec, exec, s[8:9]
	s_and_saveexec_b64 s[8:9], s[0:1]
	s_cbranch_execz .LBB122_50
.LBB122_79:
	v_add_u32_e32 v6, v5, v2
	v_mov_b32_e32 v7, 0
	v_lshlrev_b64 v[6:7], 2, v[6:7]
	s_waitcnt lgkmcnt(0)
	v_mov_b32_e32 v8, s13
	v_add_co_u32_e64 v6, s[6:7], s12, v6
	v_addc_co_u32_e64 v7, s[6:7], v8, v7, s[6:7]
	global_store_dword v[6:7], v63, off
	s_or_b64 exec, exec, s[8:9]
	s_and_saveexec_b64 s[8:9], s[2:3]
	s_cbranch_execz .LBB122_51
.LBB122_80:
	v_add_u32_e32 v6, v5, v3
	v_mov_b32_e32 v7, 0
	v_lshlrev_b64 v[6:7], 2, v[6:7]
	s_waitcnt lgkmcnt(0)
	v_mov_b32_e32 v8, s13
	v_add_co_u32_e64 v6, s[6:7], s12, v6
	v_addc_co_u32_e64 v7, s[6:7], v8, v7, s[6:7]
	global_store_dword v[6:7], v62, off
	s_or_b64 exec, exec, s[8:9]
	s_and_saveexec_b64 s[8:9], s[4:5]
	s_cbranch_execnz .LBB122_52
	s_branch .LBB122_53
.LBB122_81:
	v_add_u32_e32 v6, v5, v0
	v_mov_b32_e32 v7, 0
	v_lshlrev_b64 v[6:7], 2, v[6:7]
	s_waitcnt lgkmcnt(0)
	v_mov_b32_e32 v8, s13
	v_add_co_u32_e64 v6, s[6:7], s12, v6
	v_addc_co_u32_e64 v7, s[6:7], v8, v7, s[6:7]
	global_store_dword v[6:7], v60, off
	s_or_b64 exec, exec, s[8:9]
	s_and_saveexec_b64 s[8:9], s[0:1]
	s_cbranch_execz .LBB122_56
.LBB122_82:
	v_add_u32_e32 v6, v5, v2
	v_mov_b32_e32 v7, 0
	v_lshlrev_b64 v[6:7], 2, v[6:7]
	s_waitcnt lgkmcnt(0)
	v_mov_b32_e32 v8, s13
	v_add_co_u32_e64 v6, s[6:7], s12, v6
	v_addc_co_u32_e64 v7, s[6:7], v8, v7, s[6:7]
	global_store_dword v[6:7], v59, off
	s_or_b64 exec, exec, s[8:9]
	s_and_saveexec_b64 s[8:9], s[2:3]
	s_cbranch_execz .LBB122_57
.LBB122_83:
	v_add_u32_e32 v6, v5, v3
	v_mov_b32_e32 v7, 0
	v_lshlrev_b64 v[6:7], 2, v[6:7]
	s_waitcnt lgkmcnt(0)
	v_mov_b32_e32 v8, s13
	v_add_co_u32_e64 v6, s[6:7], s12, v6
	v_addc_co_u32_e64 v7, s[6:7], v8, v7, s[6:7]
	global_store_dword v[6:7], v58, off
	s_or_b64 exec, exec, s[8:9]
	s_and_saveexec_b64 s[8:9], s[4:5]
	s_cbranch_execnz .LBB122_58
	s_branch .LBB122_59
.LBB122_84:
	v_add_u32_e32 v5, v1, v0
	v_mov_b32_e32 v6, 0
	v_lshlrev_b64 v[5:6], 2, v[5:6]
	s_waitcnt lgkmcnt(0)
	v_mov_b32_e32 v0, s13
	v_add_co_u32_e32 v5, vcc, s12, v5
	v_addc_co_u32_e32 v6, vcc, v0, v6, vcc
	global_store_dword v[5:6], v56, off
	s_or_b64 exec, exec, s[6:7]
	s_and_saveexec_b64 s[6:7], s[0:1]
	s_cbranch_execz .LBB122_62
.LBB122_85:
	v_add_u32_e32 v5, v1, v2
	v_mov_b32_e32 v6, 0
	v_lshlrev_b64 v[5:6], 2, v[5:6]
	s_waitcnt lgkmcnt(0)
	v_mov_b32_e32 v0, s13
	v_add_co_u32_e32 v5, vcc, s12, v5
	v_addc_co_u32_e32 v6, vcc, v0, v6, vcc
	global_store_dword v[5:6], v55, off
	s_or_b64 exec, exec, s[6:7]
	s_and_saveexec_b64 s[0:1], s[2:3]
	s_cbranch_execz .LBB122_63
.LBB122_86:
	v_add_u32_e32 v2, v1, v3
	v_mov_b32_e32 v3, 0
	v_lshlrev_b64 v[2:3], 2, v[2:3]
	s_waitcnt lgkmcnt(0)
	v_mov_b32_e32 v0, s13
	v_add_co_u32_e32 v2, vcc, s12, v2
	v_addc_co_u32_e32 v3, vcc, v0, v3, vcc
	global_store_dword v[2:3], v54, off
	s_or_b64 exec, exec, s[0:1]
	s_and_b64 exec, exec, s[4:5]
	s_cbranch_execnz .LBB122_64
	s_branch .LBB122_65
	.section	.rodata,"a",@progbits
	.p2align	6, 0x0
	.amdhsa_kernel _ZL12mul_mat_q5_0IfLb1EEvPKvS1_PT_iiiii
		.amdhsa_group_segment_fixed_size 46720
		.amdhsa_private_segment_fixed_size 0
		.amdhsa_kernarg_size 44
		.amdhsa_user_sgpr_count 6
		.amdhsa_user_sgpr_private_segment_buffer 1
		.amdhsa_user_sgpr_dispatch_ptr 0
		.amdhsa_user_sgpr_queue_ptr 0
		.amdhsa_user_sgpr_kernarg_segment_ptr 1
		.amdhsa_user_sgpr_dispatch_id 0
		.amdhsa_user_sgpr_flat_scratch_init 0
		.amdhsa_user_sgpr_private_segment_size 0
		.amdhsa_uses_dynamic_stack 0
		.amdhsa_system_sgpr_private_segment_wavefront_offset 0
		.amdhsa_system_sgpr_workgroup_id_x 1
		.amdhsa_system_sgpr_workgroup_id_y 1
		.amdhsa_system_sgpr_workgroup_id_z 0
		.amdhsa_system_sgpr_workgroup_info 0
		.amdhsa_system_vgpr_workitem_id 1
		.amdhsa_next_free_vgpr 171
		.amdhsa_next_free_sgpr 98
		.amdhsa_reserve_vcc 1
		.amdhsa_reserve_flat_scratch 0
		.amdhsa_float_round_mode_32 0
		.amdhsa_float_round_mode_16_64 0
		.amdhsa_float_denorm_mode_32 3
		.amdhsa_float_denorm_mode_16_64 3
		.amdhsa_dx10_clamp 1
		.amdhsa_ieee_mode 1
		.amdhsa_fp16_overflow 0
		.amdhsa_exception_fp_ieee_invalid_op 0
		.amdhsa_exception_fp_denorm_src 0
		.amdhsa_exception_fp_ieee_div_zero 0
		.amdhsa_exception_fp_ieee_overflow 0
		.amdhsa_exception_fp_ieee_underflow 0
		.amdhsa_exception_fp_ieee_inexact 0
		.amdhsa_exception_int_div_zero 0
	.end_amdhsa_kernel
	.section	.text._ZL12mul_mat_q5_0IfLb1EEvPKvS1_PT_iiiii,"axG",@progbits,_ZL12mul_mat_q5_0IfLb1EEvPKvS1_PT_iiiii,comdat
.Lfunc_end122:
	.size	_ZL12mul_mat_q5_0IfLb1EEvPKvS1_PT_iiiii, .Lfunc_end122-_ZL12mul_mat_q5_0IfLb1EEvPKvS1_PT_iiiii
                                        ; -- End function
	.set _ZL12mul_mat_q5_0IfLb1EEvPKvS1_PT_iiiii.num_vgpr, 171
	.set _ZL12mul_mat_q5_0IfLb1EEvPKvS1_PT_iiiii.num_agpr, 0
	.set _ZL12mul_mat_q5_0IfLb1EEvPKvS1_PT_iiiii.numbered_sgpr, 20
	.set _ZL12mul_mat_q5_0IfLb1EEvPKvS1_PT_iiiii.num_named_barrier, 0
	.set _ZL12mul_mat_q5_0IfLb1EEvPKvS1_PT_iiiii.private_seg_size, 0
	.set _ZL12mul_mat_q5_0IfLb1EEvPKvS1_PT_iiiii.uses_vcc, 1
	.set _ZL12mul_mat_q5_0IfLb1EEvPKvS1_PT_iiiii.uses_flat_scratch, 0
	.set _ZL12mul_mat_q5_0IfLb1EEvPKvS1_PT_iiiii.has_dyn_sized_stack, 0
	.set _ZL12mul_mat_q5_0IfLb1EEvPKvS1_PT_iiiii.has_recursion, 0
	.set _ZL12mul_mat_q5_0IfLb1EEvPKvS1_PT_iiiii.has_indirect_call, 0
	.section	.AMDGPU.csdata,"",@progbits
; Kernel info:
; codeLenInByte = 16804
; TotalNumSgprs: 24
; NumVgprs: 171
; ScratchSize: 0
; MemoryBound: 0
; FloatMode: 240
; IeeeMode: 1
; LDSByteSize: 46720 bytes/workgroup (compile time only)
; SGPRBlocks: 12
; VGPRBlocks: 42
; NumSGPRsForWavesPerEU: 102
; NumVGPRsForWavesPerEU: 171
; Occupancy: 1
; WaveLimiterHint : 0
; COMPUTE_PGM_RSRC2:SCRATCH_EN: 0
; COMPUTE_PGM_RSRC2:USER_SGPR: 6
; COMPUTE_PGM_RSRC2:TRAP_HANDLER: 0
; COMPUTE_PGM_RSRC2:TGID_X_EN: 1
; COMPUTE_PGM_RSRC2:TGID_Y_EN: 1
; COMPUTE_PGM_RSRC2:TGID_Z_EN: 0
; COMPUTE_PGM_RSRC2:TIDIG_COMP_CNT: 1
	.section	.text._ZL12mul_mat_q5_1IfLb0EEvPKvS1_PT_iiiii,"axG",@progbits,_ZL12mul_mat_q5_1IfLb0EEvPKvS1_PT_iiiii,comdat
	.globl	_ZL12mul_mat_q5_1IfLb0EEvPKvS1_PT_iiiii ; -- Begin function _ZL12mul_mat_q5_1IfLb0EEvPKvS1_PT_iiiii
	.p2align	8
	.type	_ZL12mul_mat_q5_1IfLb0EEvPKvS1_PT_iiiii,@function
_ZL12mul_mat_q5_1IfLb0EEvPKvS1_PT_iiiii: ; @_ZL12mul_mat_q5_1IfLb0EEvPKvS1_PT_iiiii
; %bb.0:
	s_load_dword s14, s[4:5], 0x18
	s_load_dwordx4 s[8:11], s[4:5], 0x20
	s_waitcnt lgkmcnt(0)
	s_lshl_b32 s11, s7, 6
	v_add_u32_e32 v58, s11, v1
	s_cmp_gt_i32 s14, 31
	s_cbranch_scc1 .LBB123_2
; %bb.1:
	v_add_u32_e32 v2, s11, v1
	s_mov_b64 s[0:1], 0
	s_branch .LBB123_3
.LBB123_2:
	s_mov_b64 s[0:1], -1
                                        ; implicit-def: $vgpr2
.LBB123_3:
	s_load_dwordx2 s[12:13], s[4:5], 0x10
	s_lshl_b32 s6, s6, 7
	v_mov_b32_e32 v37, 0
	s_andn2_b64 vcc, exec, s[0:1]
	v_mov_b32_e32 v41, 0
	v_mov_b32_e32 v45, 0
	;; [unrolled: 1-line block ×31, first 2 shown]
	s_cbranch_vccnz .LBB123_14
; %bb.4:
	s_load_dwordx4 s[0:3], s[4:5], 0x0
	s_ashr_i32 s4, s14, 31
	s_lshr_b32 s4, s4, 27
	s_ashr_i32 s5, s9, 31
	s_add_i32 s14, s14, s4
	s_lshr_b32 s5, s5, 27
	s_ashr_i32 s4, s14, 5
	s_add_i32 s5, s9, s5
	s_ashr_i32 s16, s5, 5
	s_mul_i32 s5, s4, s6
	v_mul_lo_u32 v68, s4, v1
	s_mul_hi_i32 s7, s5, 24
	s_mul_i32 s5, s5, 24
	s_waitcnt lgkmcnt(0)
	s_add_u32 s5, s0, s5
	s_addc_u32 s7, s1, s7
	s_lshl_b32 s1, s4, 3
	v_add_u32_e32 v70, s1, v68
	v_add_u32_e32 v72, s1, v70
	;; [unrolled: 1-line block ×12, first 2 shown]
	v_lshlrev_b32_e32 v3, 3, v0
	s_movk_i32 s0, 0x104
	v_add_u32_e32 v95, s1, v93
	v_lshrrev_b32_e32 v103, 3, v0
	v_mad_u32_u24 v69, v1, s0, v3
	v_add_u32_e32 v97, s1, v95
	v_and_b32_e32 v102, 7, v0
	v_lshl_add_u32 v3, v1, 2, v103
	v_add_u32_e32 v100, s1, v97
	v_and_b32_e32 v4, 0x7fc, v3
	v_lshlrev_b32_e32 v5, 2, v102
	s_mov_b32 s1, 0xa200
	v_add3_u32 v16, v4, v5, s1
	v_add_u32_e32 v4, 32, v3
	v_mul_lo_u32 v104, s4, v3
	v_lshlrev_b32_e32 v17, 5, v3
	v_and_b32_e32 v6, 0xffc, v4
	v_lshlrev_b32_e32 v19, 5, v4
	v_add_u32_e32 v4, 64, v3
	v_add_u32_e32 v3, 0x60, v3
	v_add3_u32 v18, v6, v5, s1
	v_and_b32_e32 v6, 0xffc, v4
	v_lshlrev_b32_e32 v21, 5, v4
	v_and_b32_e32 v4, 0xffc, v3
	v_add3_u32 v20, v6, v5, s1
	v_add3_u32 v22, v4, v5, s1
	s_add_i32 s1, s8, -1
	v_lshlrev_b32_e32 v6, 2, v0
	v_lshrrev_b32_e32 v65, 2, v0
	v_lshlrev_b32_e32 v23, 5, v3
	v_cvt_f64_i32_e32 v[4:5], s1
	v_and_b32_e32 v3, 31, v0
	v_and_b32_e32 v24, 28, v6
	v_mov_b32_e32 v8, 0x8200
	v_cvt_f64_u32_e32 v[6:7], v58
	v_lshl_or_b32 v25, v3, 2, v8
	v_lshl_add_u32 v3, v1, 3, v65
	v_and_b32_e32 v12, 63, v3
	v_add_u32_e32 v3, 8, v58
	v_cvt_f64_u32_e32 v[8:9], v3
	v_add_u32_e32 v3, 16, v58
	v_min_f64 v[6:7], v[6:7], v[4:5]
	v_cvt_f64_u32_e32 v[10:11], v3
	v_min_f64 v[8:9], v[8:9], v[4:5]
	s_andn2_b32 s14, s14, 31
	v_add_u32_e32 v105, s14, v104
	v_min_f64 v[10:11], v[10:11], v[4:5]
	v_or_b32_e32 v3, s11, v12
	v_and_b32_e32 v2, 3, v0
	v_add_u32_e32 v107, s14, v105
	v_min_i32_e32 v3, s1, v3
	v_cvt_i32_f64_e32 v6, v[6:7]
	v_lshlrev_b32_e32 v67, 2, v2
	v_add_u32_e32 v108, s14, v107
	v_mad_u64_u32 v[2:3], s[14:15], v3, s16, v[2:3]
	v_lshl_or_b32 v3, v12, 4, v67
	v_add_u32_e32 v110, 0xb280, v3
	v_cvt_i32_f64_e32 v3, v[8:9]
	v_mul_lo_u32 v111, s16, v6
	v_cvt_i32_f64_e32 v6, v[10:11]
	v_lshlrev_b32_e32 v26, 7, v1
	v_mul_lo_u32 v112, s16, v3
	v_add_u32_e32 v3, 24, v58
	v_mul_lo_u32 v113, s16, v6
	v_cvt_f64_u32_e32 v[6:7], v3
	v_add_u32_e32 v3, 32, v58
	v_cvt_f64_u32_e32 v[8:9], v3
	v_add_u32_e32 v3, 40, v58
	v_min_f64 v[6:7], v[6:7], v[4:5]
	v_cvt_f64_u32_e32 v[10:11], v3
	v_add_u32_e32 v3, 48, v58
	v_cvt_f64_u32_e32 v[12:13], v3
	v_add_u32_e32 v3, 56, v58
	v_cvt_f64_u32_e32 v[14:15], v3
	v_min_f64 v[8:9], v[8:9], v[4:5]
	v_min_f64 v[10:11], v[10:11], v[4:5]
	v_cvt_i32_f64_e32 v29, v[6:7]
	v_min_f64 v[6:7], v[12:13], v[4:5]
	v_min_f64 v[3:4], v[14:15], v[4:5]
	v_add_u32_e32 v12, 0x60, v0
	v_mul_lo_u32 v114, s16, v29
	v_lshlrev_b32_e32 v13, 5, v0
	v_cvt_i32_f64_e32 v8, v[8:9]
	v_cvt_i32_f64_e32 v9, v[10:11]
	v_add_u32_e32 v10, 32, v0
	v_cvt_i32_f64_e32 v6, v[6:7]
	v_cvt_i32_f64_e32 v3, v[3:4]
	v_mul_lo_u32 v115, s16, v8
	v_mul_lo_u32 v116, s16, v9
	v_mul_lo_u32 v117, s16, v6
	v_mul_lo_u32 v118, s16, v3
	v_add_u32_e32 v11, 64, v0
	v_lshrrev_b32_e32 v120, 3, v10
	v_and_b32_e32 v10, 0x1fc, v10
	v_and_b32_e32 v12, 0x1fc, v12
	;; [unrolled: 1-line block ×3, first 2 shown]
	v_add_u32_e32 v10, v13, v10
	v_and_b32_e32 v14, 0xfc, v0
	v_add_u32_e32 v27, 0x400, v26
	v_add_u32_e32 v28, 0x800, v26
	;; [unrolled: 1-line block ×7, first 2 shown]
	v_mov_b32_e32 v4, s3
	v_add_co_u32_e32 v3, vcc, s2, v24
	v_add_u32_e32 v12, v13, v12
	v_add_u32_e32 v11, v13, v11
	;; [unrolled: 1-line block ×4, first 2 shown]
	v_mov_b32_e32 v14, 0xb280
	v_add_u32_e32 v129, 0xa610, v10
	v_mov_b32_e32 v10, 0x80
	v_mov_b32_e32 v60, 0
	v_add_u32_e32 v71, 0x820, v69
	v_add_u32_e32 v73, 0x1040, v69
	;; [unrolled: 1-line block ×15, first 2 shown]
	s_add_i32 s9, s4, 3
	v_mul_u32_u24_e32 v119, 0x104, v0
	v_addc_co_u32_e32 v4, vcc, 0, v4, vcc
	v_add_u32_e32 v121, 0xae00, v12
	v_add_u32_e32 v122, 0xaa00, v11
	;; [unrolled: 1-line block ×3, first 2 shown]
	v_lshl_add_u32 v125, v1, 4, v14
	v_add_u32_e32 v126, 0x8200, v26
	v_add_u32_e32 v127, 0xae10, v12
	;; [unrolled: 1-line block ×4, first 2 shown]
	v_mad_u32_u24 v131, v0, s0, v10
	s_mov_b32 s14, 0
	v_add_u32_e32 v132, v16, v17
	v_add_u32_e32 v133, v18, v19
	;; [unrolled: 1-line block ×12, first 2 shown]
	v_mov_b32_e32 v78, 0
	v_mov_b32_e32 v62, 0
	;; [unrolled: 1-line block ×31, first 2 shown]
	s_branch .LBB123_6
.LBB123_5:                              ;   in Loop: Header=BB123_6 Depth=1
	s_add_i32 s14, s14, 8
	s_add_i32 s9, s9, -8
	s_cmp_ge_i32 s14, s4
	s_cbranch_scc1 .LBB123_13
.LBB123_6:                              ; =>This Loop Header: Depth=1
                                        ;     Child Loop BB123_8 Depth 2
                                        ;     Child Loop BB123_11 Depth 2
	s_mul_i32 s0, s14, 24
	s_mul_hi_u32 s1, s14, 24
	s_add_u32 s0, s5, s0
	s_addc_u32 s1, s7, s1
	v_mad_u64_u32 v[5:6], s[16:17], v65, 24, s[0:1]
	s_cmp_gt_u32 s9, 3
	v_mad_u64_u32 v[7:8], s[16:17], v68, 24, v[5:6]
	v_mad_u64_u32 v[13:14], s[16:17], v74, 24, v[5:6]
	v_add_co_u32_e32 v9, vcc, v7, v67
	v_mad_u64_u32 v[11:12], s[16:17], v72, 24, v[5:6]
	v_addc_co_u32_e32 v10, vcc, 0, v8, vcc
	v_mad_u64_u32 v[15:16], s[16:17], v70, 24, v[5:6]
	global_load_dword v23, v[9:10], off offset:8
	global_load_dword v24, v[13:14], off offset:4
	;; [unrolled: 1-line block ×4, first 2 shown]
                                        ; kill: killed $vgpr9 killed $vgpr10
	global_load_dword v27, v[7:8], off offset:4
	v_add_co_u32_e32 v7, vcc, v15, v67
	v_addc_co_u32_e32 v8, vcc, 0, v16, vcc
	global_load_dword v28, v[7:8], off offset:8
	v_add_co_u32_e32 v7, vcc, v11, v67
	v_addc_co_u32_e32 v8, vcc, 0, v12, vcc
	v_add_co_u32_e32 v9, vcc, v13, v67
	v_addc_co_u32_e32 v10, vcc, 0, v14, vcc
	global_load_dword v29, v[7:8], off offset:8
	global_load_dword v30, v[9:10], off offset:8
	v_mad_u64_u32 v[7:8], s[16:17], v76, 24, v[5:6]
	v_mad_u64_u32 v[9:10], s[16:17], v79, 24, v[5:6]
	;; [unrolled: 1-line block ×3, first 2 shown]
	v_add_co_u32_e32 v15, vcc, v7, v67
	v_addc_co_u32_e32 v16, vcc, 0, v8, vcc
	v_mad_u64_u32 v[13:14], s[16:17], v83, 24, v[5:6]
	v_add_co_u32_e32 v17, vcc, v9, v67
	v_addc_co_u32_e32 v18, vcc, 0, v10, vcc
	v_add_co_u32_e32 v19, vcc, v11, v67
	v_addc_co_u32_e32 v20, vcc, 0, v12, vcc
	;; [unrolled: 2-line block ×3, first 2 shown]
	global_load_dword v15, v[15:16], off offset:8
	s_nop 0
	global_load_dword v31, v[17:18], off offset:8
	global_load_dword v32, v[19:20], off offset:8
	;; [unrolled: 1-line block ×6, first 2 shown]
	s_nop 0
	global_load_dword v7, v[7:8], off offset:4
	s_waitcnt vmcnt(15)
	v_lshrrev_b32_e32 v10, 4, v23
	v_and_b32_e32 v9, 0xf0f0f0f, v23
	v_and_b32_e32 v10, 0xf0f0f0f, v10
	s_waitcnt vmcnt(12)
	v_ashrrev_i32_e32 v11, v67, v26
	v_lshlrev_b32_e32 v21, 4, v11
	s_waitcnt vmcnt(11)
	v_ashrrev_i32_e32 v8, v67, v27
	v_lshlrev_b32_e32 v13, 4, v8
	v_lshlrev_b32_e32 v14, 11, v8
	v_lshrrev_b32_e32 v18, 12, v8
	v_lshrrev_b32_e32 v19, 5, v8
	v_lshlrev_b32_e32 v16, 18, v8
	v_lshlrev_b32_e32 v17, 25, v8
	;; [unrolled: 1-line block ×4, first 2 shown]
	v_and_b32_e32 v13, 16, v13
	v_and_b32_e32 v14, 0x1000, v14
	;; [unrolled: 1-line block ×8, first 2 shown]
	v_or3_b32 v9, v13, v9, v14
	v_or3_b32 v10, v18, v10, v19
	;; [unrolled: 1-line block ×4, first 2 shown]
	ds_write2_b32 v69, v9, v8 offset1:1
	v_lshlrev_b32_e32 v9, 11, v11
	s_waitcnt vmcnt(10)
	v_and_b32_e32 v12, 0xf0f0f0f, v28
	v_and_b32_e32 v8, 16, v21
	;; [unrolled: 1-line block ×3, first 2 shown]
	v_or3_b32 v8, v8, v12, v9
	v_lshlrev_b32_e32 v9, 18, v11
	v_lshlrev_b32_e32 v10, 25, v11
	v_and_b32_e32 v9, 0x100000, v9
	v_and_b32_e32 v10, 0x10000000, v10
	v_or3_b32 v8, v8, v9, v10
	v_lshrrev_b32_e32 v9, 4, v28
	v_lshrrev_b32_e32 v10, 12, v11
	;; [unrolled: 1-line block ×3, first 2 shown]
	v_and_b32_e32 v9, 0xf0f0f0f, v9
	v_and_b32_e32 v10, 16, v10
	;; [unrolled: 1-line block ×3, first 2 shown]
	v_or3_b32 v9, v10, v9, v12
	v_lshlrev_b32_e32 v10, 2, v11
	v_lshlrev_b32_e32 v11, 9, v11
	v_and_b32_e32 v10, 0x100000, v10
	v_and_b32_e32 v11, 0x10000000, v11
	v_or3_b32 v9, v9, v10, v11
	ds_write2_b32 v71, v8, v9 offset1:1
	v_ashrrev_i32_e32 v8, v67, v25
	v_lshlrev_b32_e32 v10, 4, v8
	v_lshlrev_b32_e32 v11, 11, v8
	s_waitcnt vmcnt(9)
	v_and_b32_e32 v9, 0xf0f0f0f, v29
	v_and_b32_e32 v10, 16, v10
	;; [unrolled: 1-line block ×3, first 2 shown]
	v_or3_b32 v9, v10, v9, v11
	v_lshlrev_b32_e32 v10, 18, v8
	v_lshlrev_b32_e32 v11, 25, v8
	v_and_b32_e32 v10, 0x100000, v10
	v_and_b32_e32 v11, 0x10000000, v11
	v_or3_b32 v9, v9, v10, v11
	v_lshrrev_b32_e32 v10, 4, v29
	v_lshrrev_b32_e32 v11, 12, v8
	;; [unrolled: 1-line block ×3, first 2 shown]
	v_and_b32_e32 v10, 0xf0f0f0f, v10
	v_and_b32_e32 v11, 16, v11
	;; [unrolled: 1-line block ×3, first 2 shown]
	v_or3_b32 v10, v11, v10, v12
	v_lshlrev_b32_e32 v11, 2, v8
	v_lshlrev_b32_e32 v8, 9, v8
	v_and_b32_e32 v11, 0x100000, v11
	v_and_b32_e32 v8, 0x10000000, v8
	v_or3_b32 v8, v10, v11, v8
	ds_write2_b32 v73, v9, v8 offset1:1
	v_ashrrev_i32_e32 v8, v67, v24
	v_lshlrev_b32_e32 v10, 4, v8
	v_lshlrev_b32_e32 v11, 11, v8
	s_waitcnt vmcnt(8)
	v_and_b32_e32 v9, 0xf0f0f0f, v30
	v_and_b32_e32 v10, 16, v10
	;; [unrolled: 1-line block ×3, first 2 shown]
	v_or3_b32 v9, v10, v9, v11
	v_lshlrev_b32_e32 v10, 18, v8
	v_lshlrev_b32_e32 v11, 25, v8
	v_and_b32_e32 v10, 0x100000, v10
	v_and_b32_e32 v11, 0x10000000, v11
	v_or3_b32 v9, v9, v10, v11
	v_lshrrev_b32_e32 v10, 4, v30
	v_lshrrev_b32_e32 v11, 12, v8
	;; [unrolled: 1-line block ×3, first 2 shown]
	v_and_b32_e32 v10, 0xf0f0f0f, v10
	v_and_b32_e32 v11, 16, v11
	;; [unrolled: 1-line block ×3, first 2 shown]
	v_or3_b32 v10, v11, v10, v12
	v_lshlrev_b32_e32 v11, 2, v8
	v_lshlrev_b32_e32 v8, 9, v8
	v_and_b32_e32 v11, 0x100000, v11
	v_and_b32_e32 v8, 0x10000000, v8
	v_or3_b32 v8, v10, v11, v8
	s_waitcnt vmcnt(0)
	v_ashrrev_i32_e32 v23, v67, v7
	ds_write2_b32 v75, v9, v8 offset1:1
	v_lshlrev_b32_e32 v8, 4, v23
	v_lshlrev_b32_e32 v9, 11, v23
	v_and_b32_e32 v7, 0xf0f0f0f, v15
	v_and_b32_e32 v8, 16, v8
	;; [unrolled: 1-line block ×3, first 2 shown]
	v_or3_b32 v7, v8, v7, v9
	v_lshlrev_b32_e32 v8, 18, v23
	v_lshlrev_b32_e32 v9, 25, v23
	v_and_b32_e32 v8, 0x100000, v8
	v_and_b32_e32 v9, 0x10000000, v9
	v_or3_b32 v24, v7, v8, v9
	v_lshrrev_b32_e32 v7, 4, v15
	v_lshrrev_b32_e32 v8, 12, v23
	;; [unrolled: 1-line block ×3, first 2 shown]
	v_and_b32_e32 v7, 0xf0f0f0f, v7
	v_and_b32_e32 v8, 16, v8
	;; [unrolled: 1-line block ×3, first 2 shown]
	v_or3_b32 v25, v8, v7, v9
	v_lshlrev_b32_e32 v7, 2, v23
	v_and_b32_e32 v26, 0x100000, v7
	v_mad_u64_u32 v[7:8], s[16:17], v85, 24, v[5:6]
	v_mad_u64_u32 v[9:10], s[16:17], v87, 24, v[5:6]
	v_add_co_u32_e32 v11, vcc, v7, v67
	v_mad_u64_u32 v[15:16], s[16:17], v89, 24, v[5:6]
	v_addc_co_u32_e32 v12, vcc, 0, v8, vcc
	v_add_co_u32_e32 v13, vcc, v9, v67
	v_mad_u64_u32 v[17:18], s[16:17], v91, 24, v[5:6]
	v_addc_co_u32_e32 v14, vcc, 0, v10, vcc
	v_add_co_u32_e32 v19, vcc, v15, v67
	v_addc_co_u32_e32 v20, vcc, 0, v16, vcc
	v_add_co_u32_e32 v21, vcc, v17, v67
	v_addc_co_u32_e32 v22, vcc, 0, v18, vcc
	global_load_dword v11, v[11:12], off offset:8
	s_nop 0
	global_load_dword v27, v[13:14], off offset:8
	global_load_dword v28, v[19:20], off offset:8
	s_nop 0
	global_load_dword v21, v[21:22], off offset:8
	s_nop 0
	global_load_dword v22, v[17:18], off offset:4
	global_load_dword v29, v[15:16], off offset:4
	;; [unrolled: 1-line block ×3, first 2 shown]
	s_nop 0
	global_load_dword v7, v[7:8], off offset:4
	v_lshlrev_b32_e32 v8, 9, v23
	v_and_b32_e32 v8, 0x10000000, v8
	v_or3_b32 v8, v25, v26, v8
	ds_write2_b32 v77, v24, v8 offset1:1
	v_ashrrev_i32_e32 v8, v67, v36
	v_lshlrev_b32_e32 v10, 4, v8
	v_lshlrev_b32_e32 v12, 11, v8
	v_and_b32_e32 v9, 0xf0f0f0f, v31
	v_and_b32_e32 v10, 16, v10
	v_and_b32_e32 v12, 0x1000, v12
	v_or3_b32 v9, v10, v9, v12
	v_lshlrev_b32_e32 v10, 18, v8
	v_lshlrev_b32_e32 v12, 25, v8
	v_and_b32_e32 v10, 0x100000, v10
	v_and_b32_e32 v12, 0x10000000, v12
	v_or3_b32 v9, v9, v10, v12
	v_lshrrev_b32_e32 v10, 4, v31
	v_lshrrev_b32_e32 v12, 12, v8
	v_lshrrev_b32_e32 v13, 5, v8
	v_and_b32_e32 v10, 0xf0f0f0f, v10
	v_and_b32_e32 v12, 16, v12
	v_and_b32_e32 v13, 0x1000, v13
	v_or3_b32 v10, v12, v10, v13
	v_lshlrev_b32_e32 v12, 2, v8
	v_lshlrev_b32_e32 v8, 9, v8
	v_and_b32_e32 v12, 0x100000, v12
	v_and_b32_e32 v8, 0x10000000, v8
	v_or3_b32 v8, v10, v12, v8
	ds_write2_b32 v80, v9, v8 offset1:1
	v_ashrrev_i32_e32 v8, v67, v35
	v_lshlrev_b32_e32 v10, 4, v8
	v_lshlrev_b32_e32 v12, 11, v8
	v_and_b32_e32 v9, 0xf0f0f0f, v32
	v_and_b32_e32 v10, 16, v10
	v_and_b32_e32 v12, 0x1000, v12
	v_or3_b32 v9, v10, v9, v12
	v_lshlrev_b32_e32 v10, 18, v8
	v_lshlrev_b32_e32 v12, 25, v8
	v_and_b32_e32 v10, 0x100000, v10
	v_and_b32_e32 v12, 0x10000000, v12
	v_or3_b32 v9, v9, v10, v12
	v_lshrrev_b32_e32 v10, 4, v32
	v_lshrrev_b32_e32 v12, 12, v8
	v_lshrrev_b32_e32 v13, 5, v8
	v_and_b32_e32 v10, 0xf0f0f0f, v10
	v_and_b32_e32 v12, 16, v12
	v_and_b32_e32 v13, 0x1000, v13
	v_or3_b32 v10, v12, v10, v13
	v_lshlrev_b32_e32 v12, 2, v8
	v_lshlrev_b32_e32 v8, 9, v8
	v_and_b32_e32 v12, 0x100000, v12
	;; [unrolled: 25-line block ×3, first 2 shown]
	v_and_b32_e32 v8, 0x10000000, v8
	v_or3_b32 v8, v10, v12, v8
	ds_write2_b32 v84, v9, v8 offset1:1
	s_waitcnt vmcnt(0)
	v_ashrrev_i32_e32 v23, v67, v7
	v_lshlrev_b32_e32 v8, 4, v23
	v_lshlrev_b32_e32 v9, 11, v23
	v_and_b32_e32 v7, 0xf0f0f0f, v11
	v_and_b32_e32 v8, 16, v8
	v_and_b32_e32 v9, 0x1000, v9
	v_or3_b32 v7, v8, v7, v9
	v_lshlrev_b32_e32 v8, 18, v23
	v_lshlrev_b32_e32 v9, 25, v23
	v_and_b32_e32 v8, 0x100000, v8
	v_and_b32_e32 v9, 0x10000000, v9
	v_or3_b32 v24, v7, v8, v9
	v_lshrrev_b32_e32 v7, 4, v11
	v_lshrrev_b32_e32 v8, 12, v23
	;; [unrolled: 1-line block ×3, first 2 shown]
	v_and_b32_e32 v7, 0xf0f0f0f, v7
	v_and_b32_e32 v8, 16, v8
	;; [unrolled: 1-line block ×3, first 2 shown]
	v_or3_b32 v25, v8, v7, v9
	v_lshlrev_b32_e32 v7, 2, v23
	v_and_b32_e32 v26, 0x100000, v7
	v_mad_u64_u32 v[7:8], s[16:17], v93, 24, v[5:6]
	v_mad_u64_u32 v[9:10], s[16:17], v95, 24, v[5:6]
	v_add_co_u32_e32 v11, vcc, v7, v67
	v_mad_u64_u32 v[15:16], s[16:17], v97, 24, v[5:6]
	v_addc_co_u32_e32 v12, vcc, 0, v8, vcc
	v_add_co_u32_e32 v13, vcc, v9, v67
	v_mad_u64_u32 v[5:6], s[16:17], v100, 24, v[5:6]
	v_addc_co_u32_e32 v14, vcc, 0, v10, vcc
	v_add_co_u32_e32 v17, vcc, v15, v67
	v_addc_co_u32_e32 v18, vcc, 0, v16, vcc
	v_add_co_u32_e32 v19, vcc, v5, v67
	v_addc_co_u32_e32 v20, vcc, 0, v6, vcc
	global_load_dword v11, v[11:12], off offset:8
	s_nop 0
	global_load_dword v13, v[13:14], off offset:8
	s_nop 0
	;; [unrolled: 2-line block ×3, first 2 shown]
	global_load_dword v17, v[19:20], off offset:8
	global_load_dword v18, v[5:6], off offset:4
	s_nop 0
	global_load_dword v15, v[15:16], off offset:4
	s_nop 0
	global_load_dword v16, v[9:10], off offset:4
	global_load_dword v5, v[7:8], off offset:4
	v_lshlrev_b32_e32 v6, 9, v23
	v_and_b32_e32 v6, 0x10000000, v6
	v_or3_b32 v6, v25, v26, v6
	ds_write2_b32 v86, v24, v6 offset1:1
	v_ashrrev_i32_e32 v6, v67, v30
	v_lshlrev_b32_e32 v8, 4, v6
	v_lshlrev_b32_e32 v9, 11, v6
	v_and_b32_e32 v7, 0xf0f0f0f, v27
	v_and_b32_e32 v8, 16, v8
	v_and_b32_e32 v9, 0x1000, v9
	v_or3_b32 v7, v8, v7, v9
	v_lshlrev_b32_e32 v8, 18, v6
	v_lshlrev_b32_e32 v9, 25, v6
	v_and_b32_e32 v8, 0x100000, v8
	v_and_b32_e32 v9, 0x10000000, v9
	v_or3_b32 v7, v7, v8, v9
	v_lshrrev_b32_e32 v8, 4, v27
	v_lshrrev_b32_e32 v9, 12, v6
	v_lshrrev_b32_e32 v10, 5, v6
	v_and_b32_e32 v8, 0xf0f0f0f, v8
	v_and_b32_e32 v9, 16, v9
	v_and_b32_e32 v10, 0x1000, v10
	v_or3_b32 v8, v9, v8, v10
	v_lshlrev_b32_e32 v9, 2, v6
	v_lshlrev_b32_e32 v6, 9, v6
	v_and_b32_e32 v9, 0x100000, v9
	v_and_b32_e32 v6, 0x10000000, v6
	v_or3_b32 v6, v8, v9, v6
	ds_write2_b32 v88, v7, v6 offset1:1
	v_ashrrev_i32_e32 v6, v67, v29
	v_lshlrev_b32_e32 v8, 4, v6
	v_lshlrev_b32_e32 v9, 11, v6
	v_and_b32_e32 v7, 0xf0f0f0f, v28
	v_and_b32_e32 v8, 16, v8
	v_and_b32_e32 v9, 0x1000, v9
	v_or3_b32 v7, v8, v7, v9
	v_lshlrev_b32_e32 v8, 18, v6
	v_lshlrev_b32_e32 v9, 25, v6
	v_and_b32_e32 v8, 0x100000, v8
	v_and_b32_e32 v9, 0x10000000, v9
	v_or3_b32 v7, v7, v8, v9
	v_lshrrev_b32_e32 v8, 4, v28
	v_lshrrev_b32_e32 v9, 12, v6
	v_lshrrev_b32_e32 v10, 5, v6
	v_and_b32_e32 v8, 0xf0f0f0f, v8
	v_and_b32_e32 v9, 16, v9
	v_and_b32_e32 v10, 0x1000, v10
	v_or3_b32 v8, v9, v8, v10
	v_lshlrev_b32_e32 v9, 2, v6
	v_lshlrev_b32_e32 v6, 9, v6
	v_and_b32_e32 v9, 0x100000, v9
	;; [unrolled: 25-line block ×3, first 2 shown]
	v_and_b32_e32 v6, 0x10000000, v6
	v_or3_b32 v6, v8, v9, v6
	ds_write2_b32 v92, v7, v6 offset1:1
	s_waitcnt vmcnt(0)
	v_ashrrev_i32_e32 v5, v67, v5
	v_lshlrev_b32_e32 v7, 4, v5
	v_lshlrev_b32_e32 v8, 11, v5
	v_and_b32_e32 v6, 0xf0f0f0f, v11
	v_and_b32_e32 v7, 16, v7
	;; [unrolled: 1-line block ×3, first 2 shown]
	v_or3_b32 v6, v7, v6, v8
	v_lshlrev_b32_e32 v7, 18, v5
	v_lshlrev_b32_e32 v8, 25, v5
	v_and_b32_e32 v7, 0x100000, v7
	v_and_b32_e32 v8, 0x10000000, v8
	v_or3_b32 v19, v6, v7, v8
	v_lshrrev_b32_e32 v6, 4, v11
	v_lshrrev_b32_e32 v7, 12, v5
	;; [unrolled: 1-line block ×3, first 2 shown]
	v_and_b32_e32 v6, 0xf0f0f0f, v6
	v_and_b32_e32 v7, 16, v7
	;; [unrolled: 1-line block ×3, first 2 shown]
	v_or3_b32 v7, v7, v6, v8
	v_lshlrev_b32_e32 v6, 2, v5
	v_and_b32_e32 v8, 0x100000, v6
	v_lshlrev_b32_e32 v9, 9, v5
	v_mad_u64_u32 v[5:6], s[0:1], v102, 24, s[0:1]
	v_and_b32_e32 v9, 0x10000000, v9
	v_or3_b32 v20, v7, v8, v9
	v_mad_u64_u32 v[7:8], s[0:1], v104, 24, v[5:6]
	v_mad_u64_u32 v[9:10], s[0:1], v105, 24, v[5:6]
	;; [unrolled: 1-line block ×4, first 2 shown]
	global_load_dword v7, v[7:8], off
	s_nop 0
	global_load_dword v8, v[9:10], off
	s_nop 0
	global_load_dword v9, v[11:12], off
	v_and_b32_e32 v10, 0xf0f0f0f, v13
	global_load_dword v5, v[5:6], off
	v_ashrrev_i32_e32 v6, v67, v16
	v_lshlrev_b32_e32 v11, 4, v6
	v_lshlrev_b32_e32 v12, 11, v6
	v_and_b32_e32 v11, 16, v11
	v_and_b32_e32 v12, 0x1000, v12
	v_or3_b32 v10, v11, v10, v12
	v_lshlrev_b32_e32 v11, 18, v6
	v_lshlrev_b32_e32 v12, 25, v6
	v_and_b32_e32 v11, 0x100000, v11
	v_and_b32_e32 v12, 0x10000000, v12
	v_or3_b32 v10, v10, v11, v12
	v_lshrrev_b32_e32 v11, 4, v13
	v_lshrrev_b32_e32 v12, 12, v6
	v_lshrrev_b32_e32 v13, 5, v6
	v_and_b32_e32 v11, 0xf0f0f0f, v11
	v_and_b32_e32 v12, 16, v12
	;; [unrolled: 1-line block ×3, first 2 shown]
	v_or3_b32 v11, v12, v11, v13
	v_lshlrev_b32_e32 v12, 2, v6
	v_lshlrev_b32_e32 v6, 9, v6
	v_and_b32_e32 v12, 0x100000, v12
	v_and_b32_e32 v6, 0x10000000, v6
	v_or3_b32 v6, v11, v12, v6
	ds_write2_b32 v96, v10, v6 offset1:1
	v_ashrrev_i32_e32 v6, v67, v15
	v_lshlrev_b32_e32 v11, 4, v6
	v_lshlrev_b32_e32 v12, 11, v6
	v_and_b32_e32 v10, 0xf0f0f0f, v14
	v_and_b32_e32 v11, 16, v11
	;; [unrolled: 1-line block ×3, first 2 shown]
	v_or3_b32 v10, v11, v10, v12
	v_lshlrev_b32_e32 v11, 18, v6
	v_lshlrev_b32_e32 v12, 25, v6
	v_and_b32_e32 v11, 0x100000, v11
	v_and_b32_e32 v12, 0x10000000, v12
	v_or3_b32 v10, v10, v11, v12
	v_lshrrev_b32_e32 v11, 4, v14
	v_lshrrev_b32_e32 v12, 12, v6
	;; [unrolled: 1-line block ×3, first 2 shown]
	v_and_b32_e32 v11, 0xf0f0f0f, v11
	v_and_b32_e32 v12, 16, v12
	;; [unrolled: 1-line block ×3, first 2 shown]
	v_or3_b32 v11, v12, v11, v13
	v_lshlrev_b32_e32 v12, 2, v6
	v_lshlrev_b32_e32 v6, 9, v6
	v_and_b32_e32 v12, 0x100000, v12
	v_and_b32_e32 v6, 0x10000000, v6
	v_or3_b32 v6, v11, v12, v6
	ds_write2_b32 v99, v10, v6 offset1:1
	v_ashrrev_i32_e32 v6, v67, v18
	v_lshlrev_b32_e32 v11, 4, v6
	v_lshlrev_b32_e32 v12, 11, v6
	v_and_b32_e32 v10, 0xf0f0f0f, v17
	v_and_b32_e32 v11, 16, v11
	;; [unrolled: 1-line block ×3, first 2 shown]
	v_or3_b32 v10, v11, v10, v12
	v_lshlrev_b32_e32 v11, 18, v6
	v_lshlrev_b32_e32 v12, 25, v6
	v_and_b32_e32 v11, 0x100000, v11
	v_and_b32_e32 v12, 0x10000000, v12
	v_or3_b32 v10, v10, v11, v12
	v_lshrrev_b32_e32 v11, 4, v17
	v_lshrrev_b32_e32 v12, 12, v6
	v_lshrrev_b32_e32 v13, 5, v6
	v_and_b32_e32 v11, 0xf0f0f0f, v11
	v_and_b32_e32 v12, 16, v12
	;; [unrolled: 1-line block ×3, first 2 shown]
	v_or3_b32 v11, v12, v11, v13
	v_lshlrev_b32_e32 v12, 2, v6
	v_lshlrev_b32_e32 v6, 9, v6
	v_and_b32_e32 v12, 0x100000, v12
	v_and_b32_e32 v6, 0x10000000, v6
	v_or3_b32 v6, v11, v12, v6
	ds_write2_b32 v94, v19, v20 offset1:1
	ds_write2_b32 v101, v10, v6 offset1:1
	s_waitcnt vmcnt(3)
	ds_write_b32 v132, v7
	s_waitcnt vmcnt(2)
	ds_write_b32 v133, v8
	;; [unrolled: 2-line block ×4, first 2 shown]
	s_cbranch_scc0 .LBB123_5
; %bb.7:                                ;   in Loop: Header=BB123_6 Depth=1
	v_add_u32_e32 v144, s14, v2
	v_add_u32_e32 v21, s14, v103
	;; [unrolled: 1-line block ×3, first 2 shown]
	v_mad_u64_u32 v[19:20], s[0:1], v144, 36, s[2:3]
	v_mad_i64_i32 v[5:6], s[0:1], v5, 36, v[3:4]
	v_add_u32_e32 v7, v21, v112
	v_mad_i64_i32 v[7:8], s[0:1], v7, 36, v[3:4]
	v_add_u32_e32 v9, v21, v113
	v_add_u32_e32 v11, v21, v114
	v_mad_i64_i32 v[9:10], s[0:1], v9, 36, v[3:4]
	v_mad_i64_i32 v[11:12], s[0:1], v11, 36, v[3:4]
	v_add_u32_e32 v13, v21, v115
	v_add_u32_e32 v15, v21, v116
	v_add_u32_e32 v17, v21, v117
	v_add_u32_e32 v21, v21, v118
	v_mad_i64_i32 v[13:14], s[0:1], v13, 36, v[3:4]
	v_mad_i64_i32 v[15:16], s[0:1], v15, 36, v[3:4]
	;; [unrolled: 1-line block ×4, first 2 shown]
	global_load_dword v19, v[19:20], off
	s_nop 0
	global_load_dword v5, v[5:6], off offset:4
	s_nop 0
	global_load_dword v6, v[7:8], off offset:4
	;; [unrolled: 2-line block ×3, first 2 shown]
	global_load_dword v8, v[11:12], off offset:4
	s_nop 0
	global_load_dword v9, v[13:14], off offset:4
	global_load_dword v10, v[15:16], off offset:4
                                        ; kill: killed $vgpr13_vgpr14
                                        ; kill: killed $vgpr15_vgpr16
	global_load_dword v11, v[17:18], off offset:4
	global_load_dword v12, v[21:22], off offset:4
	s_mov_b32 s0, -4
	v_mov_b32_e32 v145, v126
	v_mov_b32_e32 v146, v119
	;; [unrolled: 1-line block ×7, first 2 shown]
	s_waitcnt vmcnt(8)
	ds_write_b32 v110, v19
	s_waitcnt vmcnt(7)
	ds_write_b32 v136, v5
	;; [unrolled: 2-line block ×9, first 2 shown]
	s_waitcnt lgkmcnt(0)
	s_barrier
.LBB123_8:                              ;   Parent Loop BB123_6 Depth=1
                                        ; =>  This Inner Loop Header: Depth=2
	ds_read_b128 v[156:159], v145
	ds_read_b128 v[160:163], v145 offset:16
	ds_read2_b32 v[164:165], v147 offset1:32
	ds_read_b32 v152, v148
	ds_read2_b32 v[5:6], v146 offset1:1
	s_add_i32 s0, s0, 4
	v_add_u32_e32 v148, 4, v148
	s_cmp_lt_u32 s0, 12
	s_waitcnt lgkmcnt(1)
	v_pk_mul_f16 v14, v164, v152
	s_waitcnt lgkmcnt(0)
	v_dot4_i32_i8 v7, v5, v156, 0
	v_dot4_i32_i8 v9, v6, v160, v7
	ds_read2_b32 v[7:8], v146 offset0:2 offset1:3
	v_pk_mul_f16 v166, v152, v165
	s_waitcnt lgkmcnt(0)
	v_dot4_i32_i8 v9, v7, v157, v9
	v_dot4_i32_i8 v11, v8, v161, v9
	ds_read2_b32 v[9:10], v146 offset0:4 offset1:5
	s_waitcnt lgkmcnt(0)
	v_dot4_i32_i8 v11, v9, v158, v11
	v_dot4_i32_i8 v13, v10, v162, v11
	ds_read2_b32 v[11:12], v146 offset0:6 offset1:7
	s_waitcnt lgkmcnt(0)
	v_dot4_i32_i8 v13, v11, v159, v13
	v_dot4_i32_i8 v13, v12, v163, v13
	v_cvt_f32_i32_e32 v13, v13
	v_fma_mix_f32 v13, v14, v13, v14 op_sel:[0,0,1] op_sel_hi:[1,0,1]
	v_add_f32_e32 v60, v60, v13
	v_add_u32_e32 v13, 0x2080, v146
	ds_read_b32 v153, v149
	ds_read2_b32 v[13:14], v13 offset1:1
	v_add_u32_e32 v149, 4, v149
	s_waitcnt lgkmcnt(1)
	v_pk_mul_f16 v22, v164, v153
	s_waitcnt lgkmcnt(0)
	v_dot4_i32_i8 v15, v13, v156, 0
	v_dot4_i32_i8 v17, v14, v160, v15
	v_add_u32_e32 v15, 0x2088, v146
	ds_read2_b32 v[15:16], v15 offset1:1
	s_waitcnt lgkmcnt(0)
	v_dot4_i32_i8 v17, v15, v157, v17
	v_dot4_i32_i8 v19, v16, v161, v17
	v_add_u32_e32 v17, 0x2090, v146
	ds_read2_b32 v[17:18], v17 offset1:1
	s_waitcnt lgkmcnt(0)
	v_dot4_i32_i8 v19, v17, v158, v19
	v_dot4_i32_i8 v21, v18, v162, v19
	v_add_u32_e32 v19, 0x2098, v146
	ds_read2_b32 v[19:20], v19 offset1:1
	s_waitcnt lgkmcnt(0)
	v_dot4_i32_i8 v21, v19, v159, v21
	v_dot4_i32_i8 v21, v20, v163, v21
	v_cvt_f32_i32_e32 v21, v21
	v_fma_mix_f32 v21, v22, v21, v22 op_sel:[0,0,1] op_sel_hi:[1,0,1]
	v_add_f32_e32 v109, v109, v21
	v_add_u32_e32 v21, 0x4100, v146
	ds_read_b32 v154, v150
	ds_read2_b32 v[21:22], v21 offset1:1
	v_add_u32_e32 v150, 4, v150
	s_waitcnt lgkmcnt(1)
	v_pk_mul_f16 v30, v164, v154
	s_waitcnt lgkmcnt(0)
	v_dot4_i32_i8 v23, v21, v156, 0
	v_dot4_i32_i8 v25, v22, v160, v23
	v_add_u32_e32 v23, 0x4108, v146
	ds_read2_b32 v[23:24], v23 offset1:1
	s_waitcnt lgkmcnt(0)
	v_dot4_i32_i8 v25, v23, v157, v25
	v_dot4_i32_i8 v27, v24, v161, v25
	v_add_u32_e32 v25, 0x4110, v146
	ds_read2_b32 v[25:26], v25 offset1:1
	;; [unrolled: 5-line block ×3, first 2 shown]
	s_waitcnt lgkmcnt(0)
	v_dot4_i32_i8 v29, v27, v159, v29
	v_dot4_i32_i8 v29, v28, v163, v29
	v_cvt_f32_i32_e32 v29, v29
	v_fma_mix_f32 v29, v30, v29, v30 op_sel:[0,0,1] op_sel_hi:[1,0,1]
	v_add_f32_e32 v106, v106, v29
	v_add_u32_e32 v29, 0x6180, v146
	ds_read_b32 v155, v151
	ds_read2_b32 v[29:30], v29 offset1:1
	v_add_u32_e32 v151, 4, v151
	s_waitcnt lgkmcnt(0)
	v_dot4_i32_i8 v31, v29, v156, 0
	v_dot4_i32_i8 v33, v30, v160, v31
	v_add_u32_e32 v31, 0x6188, v146
	ds_read2_b32 v[31:32], v31 offset1:1
	s_waitcnt lgkmcnt(0)
	v_dot4_i32_i8 v33, v31, v157, v33
	v_dot4_i32_i8 v35, v32, v161, v33
	v_add_u32_e32 v33, 0x6190, v146
	ds_read2_b32 v[33:34], v33 offset1:1
	v_pk_mul_f16 v157, v164, v155
	s_waitcnt lgkmcnt(0)
	v_dot4_i32_i8 v35, v33, v158, v35
	v_dot4_i32_i8 v156, v34, v162, v35
	v_add_u32_e32 v35, 0x6198, v146
	ds_read2_b32 v[35:36], v35 offset1:1
	v_add_u32_e32 v146, 32, v146
	s_waitcnt lgkmcnt(0)
	v_dot4_i32_i8 v156, v35, v159, v156
	v_dot4_i32_i8 v156, v36, v163, v156
	v_cvt_f32_i32_e32 v156, v156
	v_fma_mix_f32 v156, v157, v156, v157 op_sel:[0,0,1] op_sel_hi:[1,0,1]
	v_add_f32_e32 v98, v98, v156
	ds_read_b128 v[156:159], v145 offset:1024
	ds_read_b128 v[160:163], v145 offset:1040
	s_waitcnt lgkmcnt(1)
	v_dot4_i32_i8 v164, v5, v156, 0
	s_waitcnt lgkmcnt(0)
	v_dot4_i32_i8 v164, v6, v160, v164
	v_dot4_i32_i8 v164, v7, v157, v164
	v_dot4_i32_i8 v164, v8, v161, v164
	v_dot4_i32_i8 v164, v9, v158, v164
	v_dot4_i32_i8 v164, v10, v162, v164
	v_dot4_i32_i8 v164, v11, v159, v164
	v_dot4_i32_i8 v164, v12, v163, v164
	v_cvt_f32_i32_e32 v164, v164
	v_fma_mix_f32 v164, v164, v166, v166 op_sel:[0,0,1] op_sel_hi:[0,1,1]
	v_add_f32_e32 v78, v78, v164
	v_dot4_i32_i8 v164, v13, v156, 0
	v_dot4_i32_i8 v164, v14, v160, v164
	;; [unrolled: 1-line block ×8, first 2 shown]
	v_cvt_f32_i32_e32 v164, v164
	v_pk_mul_f16 v166, v153, v165
	v_fma_mix_f32 v164, v164, v166, v166 op_sel:[0,0,1] op_sel_hi:[0,1,1]
	v_add_f32_e32 v66, v66, v164
	v_dot4_i32_i8 v164, v21, v156, 0
	v_dot4_i32_i8 v156, v29, v156, 0
	;; [unrolled: 1-line block ×16, first 2 shown]
	v_cvt_f32_i32_e32 v164, v164
	v_cvt_f32_i32_e32 v156, v156
	v_pk_mul_f16 v166, v154, v165
	v_pk_mul_f16 v157, v155, v165
	v_fma_mix_f32 v164, v164, v166, v166 op_sel:[0,0,1] op_sel_hi:[0,1,1]
	v_fma_mix_f32 v156, v156, v157, v157 op_sel:[0,0,1] op_sel_hi:[0,1,1]
	v_add_f32_e32 v64, v64, v164
	v_add_f32_e32 v63, v63, v156
	ds_read_b128 v[156:159], v145 offset:2048
	ds_read_b128 v[160:163], v145 offset:2064
	ds_read2_b32 v[164:165], v147 offset0:64 offset1:96
	s_waitcnt lgkmcnt(2)
	v_dot4_i32_i8 v166, v5, v156, 0
	s_waitcnt lgkmcnt(1)
	v_dot4_i32_i8 v166, v6, v160, v166
	v_dot4_i32_i8 v166, v7, v157, v166
	v_dot4_i32_i8 v166, v8, v161, v166
	v_dot4_i32_i8 v166, v9, v158, v166
	v_dot4_i32_i8 v166, v10, v162, v166
	v_dot4_i32_i8 v166, v11, v159, v166
	v_dot4_i32_i8 v166, v12, v163, v166
	v_cvt_f32_i32_e32 v166, v166
	s_waitcnt lgkmcnt(0)
	v_pk_mul_f16 v167, v152, v164
	v_fma_mix_f32 v166, v166, v167, v167 op_sel:[0,0,1] op_sel_hi:[0,1,1]
	v_add_f32_e32 v62, v62, v166
	v_dot4_i32_i8 v166, v13, v156, 0
	v_dot4_i32_i8 v166, v14, v160, v166
	;; [unrolled: 1-line block ×8, first 2 shown]
	v_cvt_f32_i32_e32 v166, v166
	v_pk_mul_f16 v167, v153, v164
	v_fma_mix_f32 v166, v166, v167, v167 op_sel:[0,0,1] op_sel_hi:[0,1,1]
	v_add_f32_e32 v61, v61, v166
	v_dot4_i32_i8 v166, v21, v156, 0
	v_dot4_i32_i8 v156, v29, v156, 0
	;; [unrolled: 1-line block ×11, first 2 shown]
	v_cvt_f32_i32_e32 v156, v156
	v_dot4_i32_i8 v166, v24, v161, v166
	v_dot4_i32_i8 v166, v25, v158, v166
	;; [unrolled: 1-line block ×3, first 2 shown]
	v_pk_mul_f16 v157, v155, v164
	v_dot4_i32_i8 v166, v27, v159, v166
	v_fma_mix_f32 v156, v156, v157, v157 op_sel:[0,0,1] op_sel_hi:[0,1,1]
	v_dot4_i32_i8 v166, v28, v163, v166
	v_add_f32_e32 v57, v57, v156
	ds_read_b128 v[156:159], v145 offset:3072
	ds_read_b128 v[160:163], v145 offset:3088
	v_pk_mul_f16 v167, v154, v164
	v_cvt_f32_i32_e32 v166, v166
	s_waitcnt lgkmcnt(1)
	v_dot4_i32_i8 v164, v5, v156, 0
	s_waitcnt lgkmcnt(0)
	v_dot4_i32_i8 v164, v6, v160, v164
	v_dot4_i32_i8 v164, v7, v157, v164
	;; [unrolled: 1-line block ×7, first 2 shown]
	v_cvt_f32_i32_e32 v164, v164
	v_fma_mix_f32 v166, v166, v167, v167 op_sel:[0,0,1] op_sel_hi:[0,1,1]
	v_add_f32_e32 v59, v59, v166
	v_pk_mul_f16 v166, v152, v165
	v_fma_mix_f32 v164, v164, v166, v166 op_sel:[0,0,1] op_sel_hi:[0,1,1]
	v_add_f32_e32 v56, v56, v164
	v_dot4_i32_i8 v164, v13, v156, 0
	v_dot4_i32_i8 v164, v14, v160, v164
	;; [unrolled: 1-line block ×8, first 2 shown]
	v_cvt_f32_i32_e32 v164, v164
	v_pk_mul_f16 v166, v153, v165
	v_fma_mix_f32 v164, v164, v166, v166 op_sel:[0,0,1] op_sel_hi:[0,1,1]
	v_add_f32_e32 v55, v55, v164
	v_dot4_i32_i8 v164, v21, v156, 0
	v_dot4_i32_i8 v156, v29, v156, 0
	;; [unrolled: 1-line block ×16, first 2 shown]
	v_cvt_f32_i32_e32 v164, v164
	v_cvt_f32_i32_e32 v156, v156
	v_pk_mul_f16 v166, v154, v165
	v_pk_mul_f16 v157, v155, v165
	v_fma_mix_f32 v164, v164, v166, v166 op_sel:[0,0,1] op_sel_hi:[0,1,1]
	v_fma_mix_f32 v156, v156, v157, v157 op_sel:[0,0,1] op_sel_hi:[0,1,1]
	v_add_f32_e32 v54, v54, v164
	v_add_f32_e32 v53, v53, v156
	ds_read_b128 v[156:159], v145 offset:4096
	ds_read_b128 v[160:163], v145 offset:4112
	ds_read2_b32 v[164:165], v147 offset0:128 offset1:160
	s_waitcnt lgkmcnt(2)
	v_dot4_i32_i8 v166, v5, v156, 0
	s_waitcnt lgkmcnt(1)
	v_dot4_i32_i8 v166, v6, v160, v166
	v_dot4_i32_i8 v166, v7, v157, v166
	;; [unrolled: 1-line block ×7, first 2 shown]
	v_cvt_f32_i32_e32 v166, v166
	s_waitcnt lgkmcnt(0)
	v_pk_mul_f16 v167, v152, v164
	v_fma_mix_f32 v166, v166, v167, v167 op_sel:[0,0,1] op_sel_hi:[0,1,1]
	v_add_f32_e32 v52, v52, v166
	v_dot4_i32_i8 v166, v13, v156, 0
	v_dot4_i32_i8 v166, v14, v160, v166
	;; [unrolled: 1-line block ×8, first 2 shown]
	v_cvt_f32_i32_e32 v166, v166
	v_pk_mul_f16 v167, v153, v164
	v_fma_mix_f32 v166, v166, v167, v167 op_sel:[0,0,1] op_sel_hi:[0,1,1]
	v_add_f32_e32 v51, v51, v166
	v_dot4_i32_i8 v166, v21, v156, 0
	v_dot4_i32_i8 v156, v29, v156, 0
	;; [unrolled: 1-line block ×11, first 2 shown]
	v_cvt_f32_i32_e32 v156, v156
	v_dot4_i32_i8 v166, v24, v161, v166
	v_dot4_i32_i8 v166, v25, v158, v166
	;; [unrolled: 1-line block ×3, first 2 shown]
	v_pk_mul_f16 v157, v155, v164
	v_dot4_i32_i8 v166, v27, v159, v166
	v_fma_mix_f32 v156, v156, v157, v157 op_sel:[0,0,1] op_sel_hi:[0,1,1]
	v_dot4_i32_i8 v166, v28, v163, v166
	v_add_f32_e32 v49, v49, v156
	ds_read_b128 v[156:159], v145 offset:5120
	ds_read_b128 v[160:163], v145 offset:5136
	v_pk_mul_f16 v167, v154, v164
	v_cvt_f32_i32_e32 v166, v166
	s_waitcnt lgkmcnt(1)
	v_dot4_i32_i8 v164, v5, v156, 0
	s_waitcnt lgkmcnt(0)
	v_dot4_i32_i8 v164, v6, v160, v164
	v_dot4_i32_i8 v164, v7, v157, v164
	;; [unrolled: 1-line block ×7, first 2 shown]
	v_cvt_f32_i32_e32 v164, v164
	v_fma_mix_f32 v166, v166, v167, v167 op_sel:[0,0,1] op_sel_hi:[0,1,1]
	v_add_f32_e32 v50, v50, v166
	v_pk_mul_f16 v166, v152, v165
	v_fma_mix_f32 v164, v164, v166, v166 op_sel:[0,0,1] op_sel_hi:[0,1,1]
	v_add_f32_e32 v48, v48, v164
	v_dot4_i32_i8 v164, v13, v156, 0
	v_dot4_i32_i8 v164, v14, v160, v164
	;; [unrolled: 1-line block ×8, first 2 shown]
	v_cvt_f32_i32_e32 v164, v164
	v_pk_mul_f16 v166, v153, v165
	v_fma_mix_f32 v164, v164, v166, v166 op_sel:[0,0,1] op_sel_hi:[0,1,1]
	v_add_f32_e32 v47, v47, v164
	v_dot4_i32_i8 v164, v21, v156, 0
	v_dot4_i32_i8 v156, v29, v156, 0
	;; [unrolled: 1-line block ×16, first 2 shown]
	v_cvt_f32_i32_e32 v164, v164
	v_cvt_f32_i32_e32 v156, v156
	v_pk_mul_f16 v166, v154, v165
	v_pk_mul_f16 v157, v155, v165
	v_fma_mix_f32 v164, v164, v166, v166 op_sel:[0,0,1] op_sel_hi:[0,1,1]
	v_fma_mix_f32 v156, v156, v157, v157 op_sel:[0,0,1] op_sel_hi:[0,1,1]
	v_add_f32_e32 v46, v46, v164
	v_add_f32_e32 v45, v45, v156
	ds_read_b128 v[156:159], v145 offset:6144
	ds_read_b128 v[160:163], v145 offset:6160
	ds_read2_b32 v[164:165], v147 offset0:192 offset1:224
	v_add_u32_e32 v147, 4, v147
	s_waitcnt lgkmcnt(2)
	v_dot4_i32_i8 v166, v5, v156, 0
	s_waitcnt lgkmcnt(1)
	v_dot4_i32_i8 v166, v6, v160, v166
	v_dot4_i32_i8 v166, v7, v157, v166
	;; [unrolled: 1-line block ×7, first 2 shown]
	v_cvt_f32_i32_e32 v166, v166
	s_waitcnt lgkmcnt(0)
	v_pk_mul_f16 v167, v152, v164
	v_fma_mix_f32 v166, v166, v167, v167 op_sel:[0,0,1] op_sel_hi:[0,1,1]
	v_add_f32_e32 v44, v44, v166
	v_dot4_i32_i8 v166, v13, v156, 0
	v_dot4_i32_i8 v166, v14, v160, v166
	;; [unrolled: 1-line block ×8, first 2 shown]
	v_cvt_f32_i32_e32 v166, v166
	v_pk_mul_f16 v167, v153, v164
	v_fma_mix_f32 v166, v166, v167, v167 op_sel:[0,0,1] op_sel_hi:[0,1,1]
	v_add_f32_e32 v43, v43, v166
	v_dot4_i32_i8 v166, v21, v156, 0
	v_dot4_i32_i8 v156, v29, v156, 0
	;; [unrolled: 1-line block ×11, first 2 shown]
	v_cvt_f32_i32_e32 v156, v156
	v_dot4_i32_i8 v166, v24, v161, v166
	v_dot4_i32_i8 v166, v25, v158, v166
	;; [unrolled: 1-line block ×3, first 2 shown]
	v_pk_mul_f16 v157, v155, v164
	v_dot4_i32_i8 v166, v27, v159, v166
	v_fma_mix_f32 v156, v156, v157, v157 op_sel:[0,0,1] op_sel_hi:[0,1,1]
	v_dot4_i32_i8 v166, v28, v163, v166
	v_add_f32_e32 v41, v41, v156
	ds_read_b128 v[156:159], v145 offset:7168
	ds_read_b128 v[160:163], v145 offset:7184
	v_cvt_f32_i32_e32 v166, v166
	v_pk_mul_f16 v167, v154, v164
	v_add_u32_e32 v145, 32, v145
	s_waitcnt lgkmcnt(1)
	v_dot4_i32_i8 v5, v5, v156, 0
	s_waitcnt lgkmcnt(0)
	v_dot4_i32_i8 v5, v6, v160, v5
	v_dot4_i32_i8 v5, v7, v157, v5
	;; [unrolled: 1-line block ×7, first 2 shown]
	v_cvt_f32_i32_e32 v5, v5
	v_pk_mul_f16 v6, v152, v165
	v_fma_mix_f32 v166, v166, v167, v167 op_sel:[0,0,1] op_sel_hi:[0,1,1]
	v_add_f32_e32 v42, v42, v166
	v_fma_mix_f32 v5, v5, v6, v6 op_sel:[0,0,1] op_sel_hi:[0,1,1]
	v_add_f32_e32 v40, v40, v5
	v_dot4_i32_i8 v5, v13, v156, 0
	v_dot4_i32_i8 v5, v14, v160, v5
	v_dot4_i32_i8 v5, v15, v157, v5
	v_dot4_i32_i8 v5, v16, v161, v5
	v_dot4_i32_i8 v5, v17, v158, v5
	v_dot4_i32_i8 v5, v18, v162, v5
	v_dot4_i32_i8 v5, v19, v159, v5
	v_dot4_i32_i8 v5, v20, v163, v5
	v_cvt_f32_i32_e32 v5, v5
	v_pk_mul_f16 v6, v153, v165
	v_fma_mix_f32 v5, v5, v6, v6 op_sel:[0,0,1] op_sel_hi:[0,1,1]
	v_add_f32_e32 v39, v39, v5
	v_dot4_i32_i8 v5, v21, v156, 0
	v_dot4_i32_i8 v5, v22, v160, v5
	v_dot4_i32_i8 v5, v23, v157, v5
	v_dot4_i32_i8 v5, v24, v161, v5
	v_dot4_i32_i8 v5, v25, v158, v5
	v_dot4_i32_i8 v5, v26, v162, v5
	v_dot4_i32_i8 v5, v27, v159, v5
	v_dot4_i32_i8 v5, v28, v163, v5
	v_cvt_f32_i32_e32 v5, v5
	v_pk_mul_f16 v6, v154, v165
	;; [unrolled: 12-line block ×3, first 2 shown]
	v_fma_mix_f32 v5, v5, v6, v6 op_sel:[0,0,1] op_sel_hi:[0,1,1]
	v_add_f32_e32 v37, v37, v5
	s_cbranch_scc1 .LBB123_8
; %bb.9:                                ;   in Loop: Header=BB123_6 Depth=1
	s_and_b32 s0, s9, -4
	s_cmp_eq_u32 s0, 4
	s_barrier
	s_cbranch_scc1 .LBB123_5
; %bb.10:                               ;   in Loop: Header=BB123_6 Depth=1
	v_add_u32_e32 v21, s14, v120
	v_add_u32_e32 v19, 4, v144
	;; [unrolled: 1-line block ×3, first 2 shown]
	v_mad_u64_u32 v[19:20], s[0:1], v19, 36, s[2:3]
	v_mad_i64_i32 v[5:6], s[0:1], v5, 36, v[3:4]
	v_add_u32_e32 v7, v21, v112
	v_mad_i64_i32 v[7:8], s[0:1], v7, 36, v[3:4]
	v_add_u32_e32 v9, v21, v113
	v_add_u32_e32 v11, v21, v114
	v_mad_i64_i32 v[9:10], s[0:1], v9, 36, v[3:4]
	v_mad_i64_i32 v[11:12], s[0:1], v11, 36, v[3:4]
	v_add_u32_e32 v13, v21, v115
	v_add_u32_e32 v15, v21, v116
	;; [unrolled: 1-line block ×4, first 2 shown]
	v_mad_i64_i32 v[13:14], s[0:1], v13, 36, v[3:4]
	v_mad_i64_i32 v[15:16], s[0:1], v15, 36, v[3:4]
	;; [unrolled: 1-line block ×4, first 2 shown]
	global_load_dword v19, v[19:20], off
	s_nop 0
	global_load_dword v5, v[5:6], off offset:4
	s_nop 0
	global_load_dword v6, v[7:8], off offset:4
	;; [unrolled: 2-line block ×3, first 2 shown]
	global_load_dword v8, v[11:12], off offset:4
	s_nop 0
	global_load_dword v9, v[13:14], off offset:4
                                        ; kill: killed $vgpr11_vgpr12
                                        ; kill: killed $vgpr13_vgpr14
	global_load_dword v10, v[15:16], off offset:4
	global_load_dword v11, v[17:18], off offset:4
	;; [unrolled: 1-line block ×3, first 2 shown]
	s_mov_b32 s0, 12
	v_mov_b32_e32 v144, v125
	v_mov_b32_e32 v145, v126
	;; [unrolled: 1-line block ×7, first 2 shown]
	s_waitcnt vmcnt(8)
	ds_write_b32 v110, v19
	s_waitcnt vmcnt(7)
	ds_write_b32 v136, v5
	;; [unrolled: 2-line block ×9, first 2 shown]
	s_waitcnt lgkmcnt(0)
	s_barrier
.LBB123_11:                             ;   Parent Loop BB123_6 Depth=1
                                        ; =>  This Inner Loop Header: Depth=2
	ds_read_b128 v[155:158], v145
	ds_read_b128 v[159:162], v145 offset:16
	ds_read2_b32 v[163:164], v144 offset1:32
	ds_read_b32 v151, v147
	ds_read2_b32 v[5:6], v146 offset1:1
	s_add_i32 s0, s0, 4
	v_add_u32_e32 v147, 4, v147
	s_cmp_lt_u32 s0, 28
	s_waitcnt lgkmcnt(1)
	v_pk_mul_f16 v14, v163, v151
	s_waitcnt lgkmcnt(0)
	v_dot4_i32_i8 v7, v5, v155, 0
	v_dot4_i32_i8 v9, v6, v159, v7
	ds_read2_b32 v[7:8], v146 offset0:2 offset1:3
	v_pk_mul_f16 v165, v151, v164
	s_waitcnt lgkmcnt(0)
	v_dot4_i32_i8 v9, v7, v156, v9
	v_dot4_i32_i8 v11, v8, v160, v9
	ds_read2_b32 v[9:10], v146 offset0:4 offset1:5
	s_waitcnt lgkmcnt(0)
	v_dot4_i32_i8 v11, v9, v157, v11
	v_dot4_i32_i8 v13, v10, v161, v11
	ds_read2_b32 v[11:12], v146 offset0:6 offset1:7
	s_waitcnt lgkmcnt(0)
	v_dot4_i32_i8 v13, v11, v158, v13
	v_dot4_i32_i8 v13, v12, v162, v13
	v_cvt_f32_i32_e32 v13, v13
	v_fma_mix_f32 v13, v14, v13, v14 op_sel:[0,0,1] op_sel_hi:[1,0,1]
	v_add_f32_e32 v60, v60, v13
	v_add_u32_e32 v13, 0x2080, v146
	ds_read_b32 v152, v148
	ds_read2_b32 v[13:14], v13 offset1:1
	v_add_u32_e32 v148, 4, v148
	s_waitcnt lgkmcnt(1)
	v_pk_mul_f16 v22, v163, v152
	s_waitcnt lgkmcnt(0)
	v_dot4_i32_i8 v15, v13, v155, 0
	v_dot4_i32_i8 v17, v14, v159, v15
	v_add_u32_e32 v15, 0x2088, v146
	ds_read2_b32 v[15:16], v15 offset1:1
	s_waitcnt lgkmcnt(0)
	v_dot4_i32_i8 v17, v15, v156, v17
	v_dot4_i32_i8 v19, v16, v160, v17
	v_add_u32_e32 v17, 0x2090, v146
	ds_read2_b32 v[17:18], v17 offset1:1
	;; [unrolled: 5-line block ×3, first 2 shown]
	s_waitcnt lgkmcnt(0)
	v_dot4_i32_i8 v21, v19, v158, v21
	v_dot4_i32_i8 v21, v20, v162, v21
	v_cvt_f32_i32_e32 v21, v21
	v_fma_mix_f32 v21, v22, v21, v22 op_sel:[0,0,1] op_sel_hi:[1,0,1]
	v_add_f32_e32 v109, v109, v21
	v_add_u32_e32 v21, 0x4100, v146
	ds_read_b32 v153, v149
	ds_read2_b32 v[21:22], v21 offset1:1
	v_add_u32_e32 v149, 4, v149
	s_waitcnt lgkmcnt(1)
	v_pk_mul_f16 v30, v163, v153
	s_waitcnt lgkmcnt(0)
	v_dot4_i32_i8 v23, v21, v155, 0
	v_dot4_i32_i8 v25, v22, v159, v23
	v_add_u32_e32 v23, 0x4108, v146
	ds_read2_b32 v[23:24], v23 offset1:1
	s_waitcnt lgkmcnt(0)
	v_dot4_i32_i8 v25, v23, v156, v25
	v_dot4_i32_i8 v27, v24, v160, v25
	v_add_u32_e32 v25, 0x4110, v146
	ds_read2_b32 v[25:26], v25 offset1:1
	;; [unrolled: 5-line block ×3, first 2 shown]
	s_waitcnt lgkmcnt(0)
	v_dot4_i32_i8 v29, v27, v158, v29
	v_dot4_i32_i8 v29, v28, v162, v29
	v_cvt_f32_i32_e32 v29, v29
	v_fma_mix_f32 v29, v30, v29, v30 op_sel:[0,0,1] op_sel_hi:[1,0,1]
	v_add_f32_e32 v106, v106, v29
	v_add_u32_e32 v29, 0x6180, v146
	ds_read_b32 v154, v150
	ds_read2_b32 v[29:30], v29 offset1:1
	v_add_u32_e32 v150, 4, v150
	s_waitcnt lgkmcnt(0)
	v_dot4_i32_i8 v31, v29, v155, 0
	v_dot4_i32_i8 v33, v30, v159, v31
	v_add_u32_e32 v31, 0x6188, v146
	ds_read2_b32 v[31:32], v31 offset1:1
	s_waitcnt lgkmcnt(0)
	v_dot4_i32_i8 v33, v31, v156, v33
	v_dot4_i32_i8 v35, v32, v160, v33
	v_add_u32_e32 v33, 0x6190, v146
	ds_read2_b32 v[33:34], v33 offset1:1
	v_pk_mul_f16 v156, v163, v154
	s_waitcnt lgkmcnt(0)
	v_dot4_i32_i8 v35, v33, v157, v35
	v_dot4_i32_i8 v155, v34, v161, v35
	v_add_u32_e32 v35, 0x6198, v146
	ds_read2_b32 v[35:36], v35 offset1:1
	v_add_u32_e32 v146, 32, v146
	s_waitcnt lgkmcnt(0)
	v_dot4_i32_i8 v155, v35, v158, v155
	v_dot4_i32_i8 v155, v36, v162, v155
	v_cvt_f32_i32_e32 v155, v155
	v_fma_mix_f32 v155, v156, v155, v156 op_sel:[0,0,1] op_sel_hi:[1,0,1]
	v_add_f32_e32 v98, v98, v155
	ds_read_b128 v[155:158], v145 offset:1024
	ds_read_b128 v[159:162], v145 offset:1040
	s_waitcnt lgkmcnt(1)
	v_dot4_i32_i8 v163, v5, v155, 0
	s_waitcnt lgkmcnt(0)
	v_dot4_i32_i8 v163, v6, v159, v163
	v_dot4_i32_i8 v163, v7, v156, v163
	;; [unrolled: 1-line block ×7, first 2 shown]
	v_cvt_f32_i32_e32 v163, v163
	v_fma_mix_f32 v163, v163, v165, v165 op_sel:[0,0,1] op_sel_hi:[0,1,1]
	v_add_f32_e32 v78, v78, v163
	v_dot4_i32_i8 v163, v13, v155, 0
	v_dot4_i32_i8 v163, v14, v159, v163
	;; [unrolled: 1-line block ×8, first 2 shown]
	v_cvt_f32_i32_e32 v163, v163
	v_pk_mul_f16 v165, v152, v164
	v_fma_mix_f32 v163, v163, v165, v165 op_sel:[0,0,1] op_sel_hi:[0,1,1]
	v_add_f32_e32 v66, v66, v163
	v_dot4_i32_i8 v163, v21, v155, 0
	v_dot4_i32_i8 v155, v29, v155, 0
	;; [unrolled: 1-line block ×16, first 2 shown]
	v_cvt_f32_i32_e32 v163, v163
	v_cvt_f32_i32_e32 v155, v155
	v_pk_mul_f16 v165, v153, v164
	v_pk_mul_f16 v156, v154, v164
	v_fma_mix_f32 v163, v163, v165, v165 op_sel:[0,0,1] op_sel_hi:[0,1,1]
	v_fma_mix_f32 v155, v155, v156, v156 op_sel:[0,0,1] op_sel_hi:[0,1,1]
	v_add_f32_e32 v64, v64, v163
	v_add_f32_e32 v63, v63, v155
	ds_read_b128 v[155:158], v145 offset:2048
	ds_read_b128 v[159:162], v145 offset:2064
	ds_read2_b32 v[163:164], v144 offset0:64 offset1:96
	s_waitcnt lgkmcnt(2)
	v_dot4_i32_i8 v165, v5, v155, 0
	s_waitcnt lgkmcnt(1)
	v_dot4_i32_i8 v165, v6, v159, v165
	v_dot4_i32_i8 v165, v7, v156, v165
	;; [unrolled: 1-line block ×7, first 2 shown]
	v_cvt_f32_i32_e32 v165, v165
	s_waitcnt lgkmcnt(0)
	v_pk_mul_f16 v166, v151, v163
	v_fma_mix_f32 v165, v165, v166, v166 op_sel:[0,0,1] op_sel_hi:[0,1,1]
	v_add_f32_e32 v62, v62, v165
	v_dot4_i32_i8 v165, v13, v155, 0
	v_dot4_i32_i8 v165, v14, v159, v165
	;; [unrolled: 1-line block ×8, first 2 shown]
	v_cvt_f32_i32_e32 v165, v165
	v_pk_mul_f16 v166, v152, v163
	v_fma_mix_f32 v165, v165, v166, v166 op_sel:[0,0,1] op_sel_hi:[0,1,1]
	v_add_f32_e32 v61, v61, v165
	v_dot4_i32_i8 v165, v21, v155, 0
	v_dot4_i32_i8 v155, v29, v155, 0
	v_dot4_i32_i8 v155, v30, v159, v155
	v_dot4_i32_i8 v155, v31, v156, v155
	v_dot4_i32_i8 v155, v32, v160, v155
	v_dot4_i32_i8 v155, v33, v157, v155
	v_dot4_i32_i8 v155, v34, v161, v155
	v_dot4_i32_i8 v155, v35, v158, v155
	v_dot4_i32_i8 v165, v22, v159, v165
	v_dot4_i32_i8 v155, v36, v162, v155
	v_dot4_i32_i8 v165, v23, v156, v165
	v_cvt_f32_i32_e32 v155, v155
	v_dot4_i32_i8 v165, v24, v160, v165
	v_dot4_i32_i8 v165, v25, v157, v165
	;; [unrolled: 1-line block ×3, first 2 shown]
	v_pk_mul_f16 v156, v154, v163
	v_dot4_i32_i8 v165, v27, v158, v165
	v_fma_mix_f32 v155, v155, v156, v156 op_sel:[0,0,1] op_sel_hi:[0,1,1]
	v_dot4_i32_i8 v165, v28, v162, v165
	v_add_f32_e32 v57, v57, v155
	ds_read_b128 v[155:158], v145 offset:3072
	ds_read_b128 v[159:162], v145 offset:3088
	v_pk_mul_f16 v166, v153, v163
	v_cvt_f32_i32_e32 v165, v165
	s_waitcnt lgkmcnt(1)
	v_dot4_i32_i8 v163, v5, v155, 0
	s_waitcnt lgkmcnt(0)
	v_dot4_i32_i8 v163, v6, v159, v163
	v_dot4_i32_i8 v163, v7, v156, v163
	;; [unrolled: 1-line block ×7, first 2 shown]
	v_cvt_f32_i32_e32 v163, v163
	v_fma_mix_f32 v165, v165, v166, v166 op_sel:[0,0,1] op_sel_hi:[0,1,1]
	v_add_f32_e32 v59, v59, v165
	v_pk_mul_f16 v165, v151, v164
	v_fma_mix_f32 v163, v163, v165, v165 op_sel:[0,0,1] op_sel_hi:[0,1,1]
	v_add_f32_e32 v56, v56, v163
	v_dot4_i32_i8 v163, v13, v155, 0
	v_dot4_i32_i8 v163, v14, v159, v163
	;; [unrolled: 1-line block ×8, first 2 shown]
	v_cvt_f32_i32_e32 v163, v163
	v_pk_mul_f16 v165, v152, v164
	v_fma_mix_f32 v163, v163, v165, v165 op_sel:[0,0,1] op_sel_hi:[0,1,1]
	v_add_f32_e32 v55, v55, v163
	v_dot4_i32_i8 v163, v21, v155, 0
	v_dot4_i32_i8 v155, v29, v155, 0
	;; [unrolled: 1-line block ×16, first 2 shown]
	v_cvt_f32_i32_e32 v163, v163
	v_cvt_f32_i32_e32 v155, v155
	v_pk_mul_f16 v165, v153, v164
	v_pk_mul_f16 v156, v154, v164
	v_fma_mix_f32 v163, v163, v165, v165 op_sel:[0,0,1] op_sel_hi:[0,1,1]
	v_fma_mix_f32 v155, v155, v156, v156 op_sel:[0,0,1] op_sel_hi:[0,1,1]
	v_add_f32_e32 v54, v54, v163
	v_add_f32_e32 v53, v53, v155
	ds_read_b128 v[155:158], v145 offset:4096
	ds_read_b128 v[159:162], v145 offset:4112
	ds_read2_b32 v[163:164], v144 offset0:128 offset1:160
	s_waitcnt lgkmcnt(2)
	v_dot4_i32_i8 v165, v5, v155, 0
	s_waitcnt lgkmcnt(1)
	v_dot4_i32_i8 v165, v6, v159, v165
	v_dot4_i32_i8 v165, v7, v156, v165
	;; [unrolled: 1-line block ×7, first 2 shown]
	v_cvt_f32_i32_e32 v165, v165
	s_waitcnt lgkmcnt(0)
	v_pk_mul_f16 v166, v151, v163
	v_fma_mix_f32 v165, v165, v166, v166 op_sel:[0,0,1] op_sel_hi:[0,1,1]
	v_add_f32_e32 v52, v52, v165
	v_dot4_i32_i8 v165, v13, v155, 0
	v_dot4_i32_i8 v165, v14, v159, v165
	;; [unrolled: 1-line block ×8, first 2 shown]
	v_cvt_f32_i32_e32 v165, v165
	v_pk_mul_f16 v166, v152, v163
	v_fma_mix_f32 v165, v165, v166, v166 op_sel:[0,0,1] op_sel_hi:[0,1,1]
	v_add_f32_e32 v51, v51, v165
	v_dot4_i32_i8 v165, v21, v155, 0
	v_dot4_i32_i8 v155, v29, v155, 0
	;; [unrolled: 1-line block ×11, first 2 shown]
	v_cvt_f32_i32_e32 v155, v155
	v_dot4_i32_i8 v165, v24, v160, v165
	v_dot4_i32_i8 v165, v25, v157, v165
	;; [unrolled: 1-line block ×3, first 2 shown]
	v_pk_mul_f16 v156, v154, v163
	v_dot4_i32_i8 v165, v27, v158, v165
	v_fma_mix_f32 v155, v155, v156, v156 op_sel:[0,0,1] op_sel_hi:[0,1,1]
	v_dot4_i32_i8 v165, v28, v162, v165
	v_add_f32_e32 v49, v49, v155
	ds_read_b128 v[155:158], v145 offset:5120
	ds_read_b128 v[159:162], v145 offset:5136
	v_pk_mul_f16 v166, v153, v163
	v_cvt_f32_i32_e32 v165, v165
	s_waitcnt lgkmcnt(1)
	v_dot4_i32_i8 v163, v5, v155, 0
	s_waitcnt lgkmcnt(0)
	v_dot4_i32_i8 v163, v6, v159, v163
	v_dot4_i32_i8 v163, v7, v156, v163
	;; [unrolled: 1-line block ×7, first 2 shown]
	v_cvt_f32_i32_e32 v163, v163
	v_fma_mix_f32 v165, v165, v166, v166 op_sel:[0,0,1] op_sel_hi:[0,1,1]
	v_add_f32_e32 v50, v50, v165
	v_pk_mul_f16 v165, v151, v164
	v_fma_mix_f32 v163, v163, v165, v165 op_sel:[0,0,1] op_sel_hi:[0,1,1]
	v_add_f32_e32 v48, v48, v163
	v_dot4_i32_i8 v163, v13, v155, 0
	v_dot4_i32_i8 v163, v14, v159, v163
	;; [unrolled: 1-line block ×8, first 2 shown]
	v_cvt_f32_i32_e32 v163, v163
	v_pk_mul_f16 v165, v152, v164
	v_fma_mix_f32 v163, v163, v165, v165 op_sel:[0,0,1] op_sel_hi:[0,1,1]
	v_add_f32_e32 v47, v47, v163
	v_dot4_i32_i8 v163, v21, v155, 0
	v_dot4_i32_i8 v155, v29, v155, 0
	;; [unrolled: 1-line block ×16, first 2 shown]
	v_cvt_f32_i32_e32 v163, v163
	v_cvt_f32_i32_e32 v155, v155
	v_pk_mul_f16 v165, v153, v164
	v_pk_mul_f16 v156, v154, v164
	v_fma_mix_f32 v163, v163, v165, v165 op_sel:[0,0,1] op_sel_hi:[0,1,1]
	v_fma_mix_f32 v155, v155, v156, v156 op_sel:[0,0,1] op_sel_hi:[0,1,1]
	v_add_f32_e32 v46, v46, v163
	v_add_f32_e32 v45, v45, v155
	ds_read_b128 v[155:158], v145 offset:6144
	ds_read_b128 v[159:162], v145 offset:6160
	ds_read2_b32 v[163:164], v144 offset0:192 offset1:224
	v_add_u32_e32 v144, 4, v144
	s_waitcnt lgkmcnt(2)
	v_dot4_i32_i8 v165, v5, v155, 0
	s_waitcnt lgkmcnt(1)
	v_dot4_i32_i8 v165, v6, v159, v165
	v_dot4_i32_i8 v165, v7, v156, v165
	;; [unrolled: 1-line block ×7, first 2 shown]
	v_cvt_f32_i32_e32 v165, v165
	s_waitcnt lgkmcnt(0)
	v_pk_mul_f16 v166, v151, v163
	v_fma_mix_f32 v165, v165, v166, v166 op_sel:[0,0,1] op_sel_hi:[0,1,1]
	v_add_f32_e32 v44, v44, v165
	v_dot4_i32_i8 v165, v13, v155, 0
	v_dot4_i32_i8 v165, v14, v159, v165
	;; [unrolled: 1-line block ×8, first 2 shown]
	v_cvt_f32_i32_e32 v165, v165
	v_pk_mul_f16 v166, v152, v163
	v_fma_mix_f32 v165, v165, v166, v166 op_sel:[0,0,1] op_sel_hi:[0,1,1]
	v_add_f32_e32 v43, v43, v165
	v_dot4_i32_i8 v165, v21, v155, 0
	v_dot4_i32_i8 v155, v29, v155, 0
	;; [unrolled: 1-line block ×11, first 2 shown]
	v_cvt_f32_i32_e32 v155, v155
	v_dot4_i32_i8 v165, v24, v160, v165
	v_dot4_i32_i8 v165, v25, v157, v165
	;; [unrolled: 1-line block ×3, first 2 shown]
	v_pk_mul_f16 v156, v154, v163
	v_dot4_i32_i8 v165, v27, v158, v165
	v_fma_mix_f32 v155, v155, v156, v156 op_sel:[0,0,1] op_sel_hi:[0,1,1]
	v_dot4_i32_i8 v165, v28, v162, v165
	v_add_f32_e32 v41, v41, v155
	ds_read_b128 v[155:158], v145 offset:7168
	ds_read_b128 v[159:162], v145 offset:7184
	v_cvt_f32_i32_e32 v165, v165
	v_pk_mul_f16 v166, v153, v163
	v_add_u32_e32 v145, 32, v145
	s_waitcnt lgkmcnt(1)
	v_dot4_i32_i8 v5, v5, v155, 0
	s_waitcnt lgkmcnt(0)
	v_dot4_i32_i8 v5, v6, v159, v5
	v_dot4_i32_i8 v5, v7, v156, v5
	;; [unrolled: 1-line block ×7, first 2 shown]
	v_cvt_f32_i32_e32 v5, v5
	v_pk_mul_f16 v6, v151, v164
	v_fma_mix_f32 v165, v165, v166, v166 op_sel:[0,0,1] op_sel_hi:[0,1,1]
	v_add_f32_e32 v42, v42, v165
	v_fma_mix_f32 v5, v5, v6, v6 op_sel:[0,0,1] op_sel_hi:[0,1,1]
	v_add_f32_e32 v40, v40, v5
	v_dot4_i32_i8 v5, v13, v155, 0
	v_dot4_i32_i8 v5, v14, v159, v5
	v_dot4_i32_i8 v5, v15, v156, v5
	v_dot4_i32_i8 v5, v16, v160, v5
	v_dot4_i32_i8 v5, v17, v157, v5
	v_dot4_i32_i8 v5, v18, v161, v5
	v_dot4_i32_i8 v5, v19, v158, v5
	v_dot4_i32_i8 v5, v20, v162, v5
	v_cvt_f32_i32_e32 v5, v5
	v_pk_mul_f16 v6, v152, v164
	v_fma_mix_f32 v5, v5, v6, v6 op_sel:[0,0,1] op_sel_hi:[0,1,1]
	v_add_f32_e32 v39, v39, v5
	v_dot4_i32_i8 v5, v21, v155, 0
	v_dot4_i32_i8 v5, v22, v159, v5
	v_dot4_i32_i8 v5, v23, v156, v5
	v_dot4_i32_i8 v5, v24, v160, v5
	v_dot4_i32_i8 v5, v25, v157, v5
	v_dot4_i32_i8 v5, v26, v161, v5
	v_dot4_i32_i8 v5, v27, v158, v5
	v_dot4_i32_i8 v5, v28, v162, v5
	v_cvt_f32_i32_e32 v5, v5
	v_pk_mul_f16 v6, v153, v164
	;; [unrolled: 12-line block ×3, first 2 shown]
	v_fma_mix_f32 v5, v5, v6, v6 op_sel:[0,0,1] op_sel_hi:[0,1,1]
	v_add_f32_e32 v37, v37, v5
	s_cbranch_scc1 .LBB123_11
; %bb.12:                               ;   in Loop: Header=BB123_6 Depth=1
	s_barrier
	s_branch .LBB123_5
.LBB123_13:
	v_mov_b32_e32 v2, v58
.LBB123_14:
	v_cmp_gt_u32_e32 vcc, s8, v2
	s_and_saveexec_b64 s[0:1], vcc
	s_cbranch_execz .LBB123_65
; %bb.15:
	v_mul_lo_u32 v5, v2, s10
	v_add_u32_e32 v0, s6, v0
	v_cmp_gt_u32_e32 vcc, s10, v0
	s_and_saveexec_b64 s[2:3], vcc
	s_cbranch_execz .LBB123_17
; %bb.16:
	v_add_u32_e32 v2, v0, v5
	v_mov_b32_e32 v3, 0
	v_lshlrev_b64 v[2:3], 2, v[2:3]
	s_waitcnt lgkmcnt(0)
	v_mov_b32_e32 v4, s13
	v_add_co_u32_e64 v2, s[0:1], s12, v2
	v_addc_co_u32_e64 v3, s[0:1], v4, v3, s[0:1]
	global_store_dword v[2:3], v60, off
.LBB123_17:
	s_or_b64 exec, exec, s[2:3]
	v_add_u32_e32 v2, 32, v0
	v_cmp_gt_u32_e64 s[0:1], s10, v2
	s_and_saveexec_b64 s[4:5], s[0:1]
	s_cbranch_execz .LBB123_19
; %bb.18:
	v_add_u32_e32 v3, v2, v5
	v_mov_b32_e32 v4, 0
	v_lshlrev_b64 v[3:4], 2, v[3:4]
	s_waitcnt lgkmcnt(0)
	v_mov_b32_e32 v6, s13
	v_add_co_u32_e64 v3, s[2:3], s12, v3
	v_addc_co_u32_e64 v4, s[2:3], v6, v4, s[2:3]
	global_store_dword v[3:4], v109, off
.LBB123_19:
	s_or_b64 exec, exec, s[4:5]
	v_add_u32_e32 v3, 64, v0
	v_cmp_gt_u32_e64 s[2:3], s10, v3
	s_and_saveexec_b64 s[6:7], s[2:3]
	;; [unrolled: 15-line block ×3, first 2 shown]
	s_cbranch_execz .LBB123_23
; %bb.22:
	v_add_u32_e32 v5, v4, v5
	v_mov_b32_e32 v6, 0
	v_lshlrev_b64 v[5:6], 2, v[5:6]
	s_waitcnt lgkmcnt(0)
	v_mov_b32_e32 v7, s13
	v_add_co_u32_e64 v5, s[6:7], s12, v5
	v_addc_co_u32_e64 v6, s[6:7], v7, v6, s[6:7]
	global_store_dword v[5:6], v98, off
.LBB123_23:
	s_or_b64 exec, exec, s[14:15]
	v_add3_u32 v5, v1, s11, 8
	v_cmp_gt_u32_e64 s[6:7], s8, v5
	s_and_b64 exec, exec, s[6:7]
	s_cbranch_execz .LBB123_65
; %bb.24:
	v_mul_lo_u32 v5, v5, s10
	s_and_saveexec_b64 s[14:15], vcc
	s_cbranch_execnz .LBB123_66
; %bb.25:
	s_or_b64 exec, exec, s[14:15]
	s_and_saveexec_b64 s[14:15], s[0:1]
	s_cbranch_execnz .LBB123_67
.LBB123_26:
	s_or_b64 exec, exec, s[14:15]
	s_and_saveexec_b64 s[14:15], s[2:3]
	s_cbranch_execnz .LBB123_68
.LBB123_27:
	s_or_b64 exec, exec, s[14:15]
	s_and_saveexec_b64 s[14:15], s[4:5]
	s_cbranch_execz .LBB123_29
.LBB123_28:
	v_add_u32_e32 v5, v5, v4
	v_mov_b32_e32 v6, 0
	v_lshlrev_b64 v[5:6], 2, v[5:6]
	s_waitcnt lgkmcnt(0)
	v_mov_b32_e32 v7, s13
	v_add_co_u32_e64 v5, s[6:7], s12, v5
	v_addc_co_u32_e64 v6, s[6:7], v7, v6, s[6:7]
	global_store_dword v[5:6], v63, off
.LBB123_29:
	s_or_b64 exec, exec, s[14:15]
	v_add3_u32 v5, v1, s11, 16
	v_cmp_gt_u32_e64 s[6:7], s8, v5
	s_and_b64 exec, exec, s[6:7]
	s_cbranch_execz .LBB123_65
; %bb.30:
	v_mul_lo_u32 v5, v5, s10
	s_and_saveexec_b64 s[14:15], vcc
	s_cbranch_execnz .LBB123_69
; %bb.31:
	s_or_b64 exec, exec, s[14:15]
	s_and_saveexec_b64 s[14:15], s[0:1]
	s_cbranch_execnz .LBB123_70
.LBB123_32:
	s_or_b64 exec, exec, s[14:15]
	s_and_saveexec_b64 s[14:15], s[2:3]
	s_cbranch_execnz .LBB123_71
.LBB123_33:
	s_or_b64 exec, exec, s[14:15]
	s_and_saveexec_b64 s[14:15], s[4:5]
	s_cbranch_execz .LBB123_35
.LBB123_34:
	v_add_u32_e32 v5, v5, v4
	v_mov_b32_e32 v6, 0
	v_lshlrev_b64 v[5:6], 2, v[5:6]
	s_waitcnt lgkmcnt(0)
	v_mov_b32_e32 v7, s13
	v_add_co_u32_e64 v5, s[6:7], s12, v5
	v_addc_co_u32_e64 v6, s[6:7], v7, v6, s[6:7]
	global_store_dword v[5:6], v57, off
.LBB123_35:
	s_or_b64 exec, exec, s[14:15]
	v_add3_u32 v5, v1, s11, 24
	v_cmp_gt_u32_e64 s[6:7], s8, v5
	s_and_b64 exec, exec, s[6:7]
	s_cbranch_execz .LBB123_65
; %bb.36:
	v_mul_lo_u32 v5, v5, s10
	s_and_saveexec_b64 s[14:15], vcc
	s_cbranch_execnz .LBB123_72
; %bb.37:
	s_or_b64 exec, exec, s[14:15]
	s_and_saveexec_b64 s[14:15], s[0:1]
	s_cbranch_execnz .LBB123_73
.LBB123_38:
	s_or_b64 exec, exec, s[14:15]
	s_and_saveexec_b64 s[14:15], s[2:3]
	s_cbranch_execnz .LBB123_74
.LBB123_39:
	s_or_b64 exec, exec, s[14:15]
	s_and_saveexec_b64 s[14:15], s[4:5]
	s_cbranch_execz .LBB123_41
.LBB123_40:
	v_add_u32_e32 v5, v5, v4
	v_mov_b32_e32 v6, 0
	v_lshlrev_b64 v[5:6], 2, v[5:6]
	s_waitcnt lgkmcnt(0)
	v_mov_b32_e32 v7, s13
	v_add_co_u32_e64 v5, s[6:7], s12, v5
	v_addc_co_u32_e64 v6, s[6:7], v7, v6, s[6:7]
	global_store_dword v[5:6], v53, off
.LBB123_41:
	s_or_b64 exec, exec, s[14:15]
	v_add3_u32 v5, v1, s11, 32
	v_cmp_gt_u32_e64 s[6:7], s8, v5
	s_and_b64 exec, exec, s[6:7]
	s_cbranch_execz .LBB123_65
; %bb.42:
	v_mul_lo_u32 v5, v5, s10
	s_and_saveexec_b64 s[14:15], vcc
	s_cbranch_execnz .LBB123_75
; %bb.43:
	s_or_b64 exec, exec, s[14:15]
	s_and_saveexec_b64 s[14:15], s[0:1]
	s_cbranch_execnz .LBB123_76
.LBB123_44:
	s_or_b64 exec, exec, s[14:15]
	s_and_saveexec_b64 s[14:15], s[2:3]
	s_cbranch_execnz .LBB123_77
.LBB123_45:
	s_or_b64 exec, exec, s[14:15]
	s_and_saveexec_b64 s[14:15], s[4:5]
	s_cbranch_execz .LBB123_47
.LBB123_46:
	v_add_u32_e32 v5, v5, v4
	v_mov_b32_e32 v6, 0
	v_lshlrev_b64 v[5:6], 2, v[5:6]
	s_waitcnt lgkmcnt(0)
	v_mov_b32_e32 v7, s13
	v_add_co_u32_e64 v5, s[6:7], s12, v5
	v_addc_co_u32_e64 v6, s[6:7], v7, v6, s[6:7]
	global_store_dword v[5:6], v49, off
.LBB123_47:
	s_or_b64 exec, exec, s[14:15]
	v_add3_u32 v5, v1, s11, 40
	v_cmp_gt_u32_e64 s[6:7], s8, v5
	s_and_b64 exec, exec, s[6:7]
	s_cbranch_execz .LBB123_65
; %bb.48:
	v_mul_lo_u32 v5, v5, s10
	s_and_saveexec_b64 s[14:15], vcc
	s_cbranch_execnz .LBB123_78
; %bb.49:
	s_or_b64 exec, exec, s[14:15]
	s_and_saveexec_b64 s[14:15], s[0:1]
	s_cbranch_execnz .LBB123_79
.LBB123_50:
	s_or_b64 exec, exec, s[14:15]
	s_and_saveexec_b64 s[14:15], s[2:3]
	s_cbranch_execnz .LBB123_80
.LBB123_51:
	s_or_b64 exec, exec, s[14:15]
	s_and_saveexec_b64 s[14:15], s[4:5]
	s_cbranch_execz .LBB123_53
.LBB123_52:
	v_add_u32_e32 v5, v5, v4
	v_mov_b32_e32 v6, 0
	v_lshlrev_b64 v[5:6], 2, v[5:6]
	s_waitcnt lgkmcnt(0)
	v_mov_b32_e32 v7, s13
	v_add_co_u32_e64 v5, s[6:7], s12, v5
	v_addc_co_u32_e64 v6, s[6:7], v7, v6, s[6:7]
	global_store_dword v[5:6], v45, off
.LBB123_53:
	s_or_b64 exec, exec, s[14:15]
	v_add3_u32 v5, v1, s11, 48
	v_cmp_gt_u32_e64 s[6:7], s8, v5
	s_and_b64 exec, exec, s[6:7]
	s_cbranch_execz .LBB123_65
; %bb.54:
	v_mul_lo_u32 v5, v5, s10
	s_and_saveexec_b64 s[14:15], vcc
	s_cbranch_execnz .LBB123_81
; %bb.55:
	s_or_b64 exec, exec, s[14:15]
	s_and_saveexec_b64 s[14:15], s[0:1]
	s_cbranch_execnz .LBB123_82
.LBB123_56:
	s_or_b64 exec, exec, s[14:15]
	s_and_saveexec_b64 s[14:15], s[2:3]
	s_cbranch_execnz .LBB123_83
.LBB123_57:
	s_or_b64 exec, exec, s[14:15]
	s_and_saveexec_b64 s[14:15], s[4:5]
	s_cbranch_execz .LBB123_59
.LBB123_58:
	v_add_u32_e32 v5, v5, v4
	v_mov_b32_e32 v6, 0
	v_lshlrev_b64 v[5:6], 2, v[5:6]
	s_waitcnt lgkmcnt(0)
	v_mov_b32_e32 v7, s13
	v_add_co_u32_e64 v5, s[6:7], s12, v5
	v_addc_co_u32_e64 v6, s[6:7], v7, v6, s[6:7]
	global_store_dword v[5:6], v41, off
.LBB123_59:
	s_or_b64 exec, exec, s[14:15]
	v_add3_u32 v1, v1, s11, 56
	v_cmp_gt_u32_e64 s[6:7], s8, v1
	s_and_b64 exec, exec, s[6:7]
	s_cbranch_execz .LBB123_65
; %bb.60:
	v_mul_lo_u32 v1, v1, s10
	s_and_saveexec_b64 s[6:7], vcc
	s_cbranch_execnz .LBB123_84
; %bb.61:
	s_or_b64 exec, exec, s[6:7]
	s_and_saveexec_b64 s[6:7], s[0:1]
	s_cbranch_execnz .LBB123_85
.LBB123_62:
	s_or_b64 exec, exec, s[6:7]
	s_and_saveexec_b64 s[0:1], s[2:3]
	s_cbranch_execnz .LBB123_86
.LBB123_63:
	s_or_b64 exec, exec, s[0:1]
	s_and_b64 exec, exec, s[4:5]
	s_cbranch_execz .LBB123_65
.LBB123_64:
	v_add_u32_e32 v0, v1, v4
	v_mov_b32_e32 v1, 0
	v_lshlrev_b64 v[0:1], 2, v[0:1]
	s_waitcnt lgkmcnt(0)
	v_mov_b32_e32 v2, s13
	v_add_co_u32_e32 v0, vcc, s12, v0
	v_addc_co_u32_e32 v1, vcc, v2, v1, vcc
	global_store_dword v[0:1], v37, off
.LBB123_65:
	s_endpgm
.LBB123_66:
	v_add_u32_e32 v6, v5, v0
	v_mov_b32_e32 v7, 0
	v_lshlrev_b64 v[6:7], 2, v[6:7]
	s_waitcnt lgkmcnt(0)
	v_mov_b32_e32 v8, s13
	v_add_co_u32_e64 v6, s[6:7], s12, v6
	v_addc_co_u32_e64 v7, s[6:7], v8, v7, s[6:7]
	global_store_dword v[6:7], v78, off
	s_or_b64 exec, exec, s[14:15]
	s_and_saveexec_b64 s[14:15], s[0:1]
	s_cbranch_execz .LBB123_26
.LBB123_67:
	v_add_u32_e32 v6, v5, v2
	v_mov_b32_e32 v7, 0
	v_lshlrev_b64 v[6:7], 2, v[6:7]
	s_waitcnt lgkmcnt(0)
	v_mov_b32_e32 v8, s13
	v_add_co_u32_e64 v6, s[6:7], s12, v6
	v_addc_co_u32_e64 v7, s[6:7], v8, v7, s[6:7]
	global_store_dword v[6:7], v66, off
	s_or_b64 exec, exec, s[14:15]
	s_and_saveexec_b64 s[14:15], s[2:3]
	s_cbranch_execz .LBB123_27
.LBB123_68:
	v_add_u32_e32 v6, v5, v3
	v_mov_b32_e32 v7, 0
	v_lshlrev_b64 v[6:7], 2, v[6:7]
	s_waitcnt lgkmcnt(0)
	v_mov_b32_e32 v8, s13
	v_add_co_u32_e64 v6, s[6:7], s12, v6
	v_addc_co_u32_e64 v7, s[6:7], v8, v7, s[6:7]
	global_store_dword v[6:7], v64, off
	s_or_b64 exec, exec, s[14:15]
	s_and_saveexec_b64 s[14:15], s[4:5]
	s_cbranch_execnz .LBB123_28
	s_branch .LBB123_29
.LBB123_69:
	v_add_u32_e32 v6, v5, v0
	v_mov_b32_e32 v7, 0
	v_lshlrev_b64 v[6:7], 2, v[6:7]
	s_waitcnt lgkmcnt(0)
	v_mov_b32_e32 v8, s13
	v_add_co_u32_e64 v6, s[6:7], s12, v6
	v_addc_co_u32_e64 v7, s[6:7], v8, v7, s[6:7]
	global_store_dword v[6:7], v62, off
	s_or_b64 exec, exec, s[14:15]
	s_and_saveexec_b64 s[14:15], s[0:1]
	s_cbranch_execz .LBB123_32
.LBB123_70:
	v_add_u32_e32 v6, v5, v2
	v_mov_b32_e32 v7, 0
	v_lshlrev_b64 v[6:7], 2, v[6:7]
	s_waitcnt lgkmcnt(0)
	v_mov_b32_e32 v8, s13
	v_add_co_u32_e64 v6, s[6:7], s12, v6
	v_addc_co_u32_e64 v7, s[6:7], v8, v7, s[6:7]
	global_store_dword v[6:7], v61, off
	s_or_b64 exec, exec, s[14:15]
	s_and_saveexec_b64 s[14:15], s[2:3]
	s_cbranch_execz .LBB123_33
.LBB123_71:
	v_add_u32_e32 v6, v5, v3
	v_mov_b32_e32 v7, 0
	v_lshlrev_b64 v[6:7], 2, v[6:7]
	s_waitcnt lgkmcnt(0)
	v_mov_b32_e32 v8, s13
	v_add_co_u32_e64 v6, s[6:7], s12, v6
	v_addc_co_u32_e64 v7, s[6:7], v8, v7, s[6:7]
	global_store_dword v[6:7], v59, off
	s_or_b64 exec, exec, s[14:15]
	s_and_saveexec_b64 s[14:15], s[4:5]
	s_cbranch_execnz .LBB123_34
	s_branch .LBB123_35
.LBB123_72:
	v_add_u32_e32 v6, v5, v0
	v_mov_b32_e32 v7, 0
	v_lshlrev_b64 v[6:7], 2, v[6:7]
	s_waitcnt lgkmcnt(0)
	v_mov_b32_e32 v8, s13
	v_add_co_u32_e64 v6, s[6:7], s12, v6
	v_addc_co_u32_e64 v7, s[6:7], v8, v7, s[6:7]
	global_store_dword v[6:7], v56, off
	s_or_b64 exec, exec, s[14:15]
	s_and_saveexec_b64 s[14:15], s[0:1]
	s_cbranch_execz .LBB123_38
.LBB123_73:
	v_add_u32_e32 v6, v5, v2
	v_mov_b32_e32 v7, 0
	v_lshlrev_b64 v[6:7], 2, v[6:7]
	s_waitcnt lgkmcnt(0)
	v_mov_b32_e32 v8, s13
	v_add_co_u32_e64 v6, s[6:7], s12, v6
	v_addc_co_u32_e64 v7, s[6:7], v8, v7, s[6:7]
	global_store_dword v[6:7], v55, off
	s_or_b64 exec, exec, s[14:15]
	s_and_saveexec_b64 s[14:15], s[2:3]
	s_cbranch_execz .LBB123_39
.LBB123_74:
	v_add_u32_e32 v6, v5, v3
	v_mov_b32_e32 v7, 0
	v_lshlrev_b64 v[6:7], 2, v[6:7]
	s_waitcnt lgkmcnt(0)
	v_mov_b32_e32 v8, s13
	v_add_co_u32_e64 v6, s[6:7], s12, v6
	v_addc_co_u32_e64 v7, s[6:7], v8, v7, s[6:7]
	global_store_dword v[6:7], v54, off
	s_or_b64 exec, exec, s[14:15]
	s_and_saveexec_b64 s[14:15], s[4:5]
	s_cbranch_execnz .LBB123_40
	s_branch .LBB123_41
.LBB123_75:
	v_add_u32_e32 v6, v5, v0
	v_mov_b32_e32 v7, 0
	v_lshlrev_b64 v[6:7], 2, v[6:7]
	s_waitcnt lgkmcnt(0)
	v_mov_b32_e32 v8, s13
	v_add_co_u32_e64 v6, s[6:7], s12, v6
	v_addc_co_u32_e64 v7, s[6:7], v8, v7, s[6:7]
	global_store_dword v[6:7], v52, off
	s_or_b64 exec, exec, s[14:15]
	s_and_saveexec_b64 s[14:15], s[0:1]
	s_cbranch_execz .LBB123_44
.LBB123_76:
	v_add_u32_e32 v6, v5, v2
	v_mov_b32_e32 v7, 0
	v_lshlrev_b64 v[6:7], 2, v[6:7]
	s_waitcnt lgkmcnt(0)
	v_mov_b32_e32 v8, s13
	v_add_co_u32_e64 v6, s[6:7], s12, v6
	v_addc_co_u32_e64 v7, s[6:7], v8, v7, s[6:7]
	global_store_dword v[6:7], v51, off
	s_or_b64 exec, exec, s[14:15]
	s_and_saveexec_b64 s[14:15], s[2:3]
	s_cbranch_execz .LBB123_45
.LBB123_77:
	v_add_u32_e32 v6, v5, v3
	v_mov_b32_e32 v7, 0
	v_lshlrev_b64 v[6:7], 2, v[6:7]
	s_waitcnt lgkmcnt(0)
	v_mov_b32_e32 v8, s13
	v_add_co_u32_e64 v6, s[6:7], s12, v6
	v_addc_co_u32_e64 v7, s[6:7], v8, v7, s[6:7]
	global_store_dword v[6:7], v50, off
	s_or_b64 exec, exec, s[14:15]
	s_and_saveexec_b64 s[14:15], s[4:5]
	s_cbranch_execnz .LBB123_46
	s_branch .LBB123_47
.LBB123_78:
	v_add_u32_e32 v6, v5, v0
	v_mov_b32_e32 v7, 0
	v_lshlrev_b64 v[6:7], 2, v[6:7]
	s_waitcnt lgkmcnt(0)
	v_mov_b32_e32 v8, s13
	v_add_co_u32_e64 v6, s[6:7], s12, v6
	v_addc_co_u32_e64 v7, s[6:7], v8, v7, s[6:7]
	global_store_dword v[6:7], v48, off
	s_or_b64 exec, exec, s[14:15]
	s_and_saveexec_b64 s[14:15], s[0:1]
	s_cbranch_execz .LBB123_50
.LBB123_79:
	v_add_u32_e32 v6, v5, v2
	v_mov_b32_e32 v7, 0
	v_lshlrev_b64 v[6:7], 2, v[6:7]
	s_waitcnt lgkmcnt(0)
	v_mov_b32_e32 v8, s13
	v_add_co_u32_e64 v6, s[6:7], s12, v6
	v_addc_co_u32_e64 v7, s[6:7], v8, v7, s[6:7]
	global_store_dword v[6:7], v47, off
	s_or_b64 exec, exec, s[14:15]
	s_and_saveexec_b64 s[14:15], s[2:3]
	s_cbranch_execz .LBB123_51
.LBB123_80:
	v_add_u32_e32 v6, v5, v3
	v_mov_b32_e32 v7, 0
	v_lshlrev_b64 v[6:7], 2, v[6:7]
	s_waitcnt lgkmcnt(0)
	v_mov_b32_e32 v8, s13
	v_add_co_u32_e64 v6, s[6:7], s12, v6
	v_addc_co_u32_e64 v7, s[6:7], v8, v7, s[6:7]
	global_store_dword v[6:7], v46, off
	s_or_b64 exec, exec, s[14:15]
	s_and_saveexec_b64 s[14:15], s[4:5]
	s_cbranch_execnz .LBB123_52
	s_branch .LBB123_53
.LBB123_81:
	v_add_u32_e32 v6, v5, v0
	v_mov_b32_e32 v7, 0
	v_lshlrev_b64 v[6:7], 2, v[6:7]
	s_waitcnt lgkmcnt(0)
	v_mov_b32_e32 v8, s13
	v_add_co_u32_e64 v6, s[6:7], s12, v6
	v_addc_co_u32_e64 v7, s[6:7], v8, v7, s[6:7]
	global_store_dword v[6:7], v44, off
	s_or_b64 exec, exec, s[14:15]
	s_and_saveexec_b64 s[14:15], s[0:1]
	s_cbranch_execz .LBB123_56
.LBB123_82:
	v_add_u32_e32 v6, v5, v2
	v_mov_b32_e32 v7, 0
	v_lshlrev_b64 v[6:7], 2, v[6:7]
	s_waitcnt lgkmcnt(0)
	v_mov_b32_e32 v8, s13
	v_add_co_u32_e64 v6, s[6:7], s12, v6
	v_addc_co_u32_e64 v7, s[6:7], v8, v7, s[6:7]
	global_store_dword v[6:7], v43, off
	s_or_b64 exec, exec, s[14:15]
	s_and_saveexec_b64 s[14:15], s[2:3]
	s_cbranch_execz .LBB123_57
.LBB123_83:
	v_add_u32_e32 v6, v5, v3
	v_mov_b32_e32 v7, 0
	v_lshlrev_b64 v[6:7], 2, v[6:7]
	s_waitcnt lgkmcnt(0)
	v_mov_b32_e32 v8, s13
	v_add_co_u32_e64 v6, s[6:7], s12, v6
	v_addc_co_u32_e64 v7, s[6:7], v8, v7, s[6:7]
	global_store_dword v[6:7], v42, off
	s_or_b64 exec, exec, s[14:15]
	s_and_saveexec_b64 s[14:15], s[4:5]
	s_cbranch_execnz .LBB123_58
	s_branch .LBB123_59
.LBB123_84:
	v_add_u32_e32 v5, v1, v0
	v_mov_b32_e32 v6, 0
	v_lshlrev_b64 v[5:6], 2, v[5:6]
	s_waitcnt lgkmcnt(0)
	v_mov_b32_e32 v0, s13
	v_add_co_u32_e32 v5, vcc, s12, v5
	v_addc_co_u32_e32 v6, vcc, v0, v6, vcc
	global_store_dword v[5:6], v40, off
	s_or_b64 exec, exec, s[6:7]
	s_and_saveexec_b64 s[6:7], s[0:1]
	s_cbranch_execz .LBB123_62
.LBB123_85:
	v_add_u32_e32 v5, v1, v2
	v_mov_b32_e32 v6, 0
	v_lshlrev_b64 v[5:6], 2, v[5:6]
	s_waitcnt lgkmcnt(0)
	v_mov_b32_e32 v0, s13
	v_add_co_u32_e32 v5, vcc, s12, v5
	v_addc_co_u32_e32 v6, vcc, v0, v6, vcc
	global_store_dword v[5:6], v39, off
	s_or_b64 exec, exec, s[6:7]
	s_and_saveexec_b64 s[0:1], s[2:3]
	s_cbranch_execz .LBB123_63
.LBB123_86:
	v_add_u32_e32 v2, v1, v3
	v_mov_b32_e32 v3, 0
	v_lshlrev_b64 v[2:3], 2, v[2:3]
	s_waitcnt lgkmcnt(0)
	v_mov_b32_e32 v0, s13
	v_add_co_u32_e32 v2, vcc, s12, v2
	v_addc_co_u32_e32 v3, vcc, v0, v3, vcc
	global_store_dword v[2:3], v38, off
	s_or_b64 exec, exec, s[0:1]
	s_and_b64 exec, exec, s[4:5]
	s_cbranch_execnz .LBB123_64
	s_branch .LBB123_65
	.section	.rodata,"a",@progbits
	.p2align	6, 0x0
	.amdhsa_kernel _ZL12mul_mat_q5_1IfLb0EEvPKvS1_PT_iiiii
		.amdhsa_group_segment_fixed_size 46720
		.amdhsa_private_segment_fixed_size 0
		.amdhsa_kernarg_size 44
		.amdhsa_user_sgpr_count 6
		.amdhsa_user_sgpr_private_segment_buffer 1
		.amdhsa_user_sgpr_dispatch_ptr 0
		.amdhsa_user_sgpr_queue_ptr 0
		.amdhsa_user_sgpr_kernarg_segment_ptr 1
		.amdhsa_user_sgpr_dispatch_id 0
		.amdhsa_user_sgpr_flat_scratch_init 0
		.amdhsa_user_sgpr_private_segment_size 0
		.amdhsa_uses_dynamic_stack 0
		.amdhsa_system_sgpr_private_segment_wavefront_offset 0
		.amdhsa_system_sgpr_workgroup_id_x 1
		.amdhsa_system_sgpr_workgroup_id_y 1
		.amdhsa_system_sgpr_workgroup_id_z 0
		.amdhsa_system_sgpr_workgroup_info 0
		.amdhsa_system_vgpr_workitem_id 1
		.amdhsa_next_free_vgpr 168
		.amdhsa_next_free_sgpr 98
		.amdhsa_reserve_vcc 1
		.amdhsa_reserve_flat_scratch 0
		.amdhsa_float_round_mode_32 0
		.amdhsa_float_round_mode_16_64 0
		.amdhsa_float_denorm_mode_32 3
		.amdhsa_float_denorm_mode_16_64 3
		.amdhsa_dx10_clamp 1
		.amdhsa_ieee_mode 1
		.amdhsa_fp16_overflow 0
		.amdhsa_exception_fp_ieee_invalid_op 0
		.amdhsa_exception_fp_denorm_src 0
		.amdhsa_exception_fp_ieee_div_zero 0
		.amdhsa_exception_fp_ieee_overflow 0
		.amdhsa_exception_fp_ieee_underflow 0
		.amdhsa_exception_fp_ieee_inexact 0
		.amdhsa_exception_int_div_zero 0
	.end_amdhsa_kernel
	.section	.text._ZL12mul_mat_q5_1IfLb0EEvPKvS1_PT_iiiii,"axG",@progbits,_ZL12mul_mat_q5_1IfLb0EEvPKvS1_PT_iiiii,comdat
.Lfunc_end123:
	.size	_ZL12mul_mat_q5_1IfLb0EEvPKvS1_PT_iiiii, .Lfunc_end123-_ZL12mul_mat_q5_1IfLb0EEvPKvS1_PT_iiiii
                                        ; -- End function
	.set _ZL12mul_mat_q5_1IfLb0EEvPKvS1_PT_iiiii.num_vgpr, 168
	.set _ZL12mul_mat_q5_1IfLb0EEvPKvS1_PT_iiiii.num_agpr, 0
	.set _ZL12mul_mat_q5_1IfLb0EEvPKvS1_PT_iiiii.numbered_sgpr, 18
	.set _ZL12mul_mat_q5_1IfLb0EEvPKvS1_PT_iiiii.num_named_barrier, 0
	.set _ZL12mul_mat_q5_1IfLb0EEvPKvS1_PT_iiiii.private_seg_size, 0
	.set _ZL12mul_mat_q5_1IfLb0EEvPKvS1_PT_iiiii.uses_vcc, 1
	.set _ZL12mul_mat_q5_1IfLb0EEvPKvS1_PT_iiiii.uses_flat_scratch, 0
	.set _ZL12mul_mat_q5_1IfLb0EEvPKvS1_PT_iiiii.has_dyn_sized_stack, 0
	.set _ZL12mul_mat_q5_1IfLb0EEvPKvS1_PT_iiiii.has_recursion, 0
	.set _ZL12mul_mat_q5_1IfLb0EEvPKvS1_PT_iiiii.has_indirect_call, 0
	.section	.AMDGPU.csdata,"",@progbits
; Kernel info:
; codeLenInByte = 14592
; TotalNumSgprs: 22
; NumVgprs: 168
; ScratchSize: 0
; MemoryBound: 0
; FloatMode: 240
; IeeeMode: 1
; LDSByteSize: 46720 bytes/workgroup (compile time only)
; SGPRBlocks: 12
; VGPRBlocks: 41
; NumSGPRsForWavesPerEU: 102
; NumVGPRsForWavesPerEU: 168
; Occupancy: 1
; WaveLimiterHint : 0
; COMPUTE_PGM_RSRC2:SCRATCH_EN: 0
; COMPUTE_PGM_RSRC2:USER_SGPR: 6
; COMPUTE_PGM_RSRC2:TRAP_HANDLER: 0
; COMPUTE_PGM_RSRC2:TGID_X_EN: 1
; COMPUTE_PGM_RSRC2:TGID_Y_EN: 1
; COMPUTE_PGM_RSRC2:TGID_Z_EN: 0
; COMPUTE_PGM_RSRC2:TIDIG_COMP_CNT: 1
	.section	.text._ZL12mul_mat_q5_1IfLb1EEvPKvS1_PT_iiiii,"axG",@progbits,_ZL12mul_mat_q5_1IfLb1EEvPKvS1_PT_iiiii,comdat
	.globl	_ZL12mul_mat_q5_1IfLb1EEvPKvS1_PT_iiiii ; -- Begin function _ZL12mul_mat_q5_1IfLb1EEvPKvS1_PT_iiiii
	.p2align	8
	.type	_ZL12mul_mat_q5_1IfLb1EEvPKvS1_PT_iiiii,@function
_ZL12mul_mat_q5_1IfLb1EEvPKvS1_PT_iiiii: ; @_ZL12mul_mat_q5_1IfLb1EEvPKvS1_PT_iiiii
; %bb.0:
	s_load_dwordx4 s[8:11], s[4:5], 0x18
	s_load_dword s14, s[4:5], 0x28
	s_lshl_b32 s15, s7, 6
	v_add_u32_e32 v72, s15, v1
	s_waitcnt lgkmcnt(0)
	s_cmp_gt_i32 s8, 31
	s_cbranch_scc1 .LBB124_2
; %bb.1:
	v_add_u32_e32 v2, s15, v1
	s_mov_b64 s[0:1], 0
	s_branch .LBB124_3
.LBB124_2:
	s_mov_b64 s[0:1], -1
                                        ; implicit-def: $vgpr2
.LBB124_3:
	s_load_dwordx2 s[12:13], s[4:5], 0x10
	s_lshl_b32 s6, s6, 7
	v_mov_b32_e32 v53, 0
	s_andn2_b64 vcc, exec, s[0:1]
	v_mov_b32_e32 v57, 0
	v_mov_b32_e32 v61, 0
	;; [unrolled: 1-line block ×31, first 2 shown]
	s_cbranch_vccnz .LBB124_14
; %bb.4:
	s_load_dwordx4 s[0:3], s[4:5], 0x0
	s_ashr_i32 s4, s8, 31
	s_lshr_b32 s4, s4, 27
	s_ashr_i32 s5, s11, 31
	s_add_i32 s4, s8, s4
	s_lshr_b32 s5, s5, 27
	s_ashr_i32 s4, s4, 5
	s_add_i32 s5, s11, s5
	s_ashr_i32 s11, s5, 5
	s_mul_i32 s5, s4, s6
	s_mul_hi_i32 s7, s5, 24
	s_mul_i32 s5, s5, 24
	s_waitcnt lgkmcnt(0)
	s_add_u32 s5, s0, s5
	s_addc_u32 s7, s1, s7
	s_not_b32 s0, s6
	s_add_i32 s1, s9, s0
	v_and_b32_e32 v19, 3, v0
	v_min_i32_e32 v2, s1, v1
	v_lshlrev_b32_e32 v18, 3, v0
	s_movk_i32 s0, 0x104
	v_mul_lo_u32 v81, v2, s4
	v_mad_u64_u32 v[2:3], s[8:9], v2, s0, v[18:19]
	v_add_u32_e32 v28, 8, v1
	v_min_i32_e32 v3, s1, v28
	v_mul_lo_u32 v83, v3, s4
	v_mad_u64_u32 v[3:4], s[8:9], v3, s0, v[18:19]
	v_add_u32_e32 v29, 16, v1
	v_min_i32_e32 v4, s1, v29
	;; [unrolled: 4-line block ×15, first 2 shown]
	v_mul_lo_u32 v100, v17, s4
	v_mad_u64_u32 v[17:18], s[8:9], v17, s0, v[18:19]
	v_lshrrev_b32_e32 v102, 3, v0
	v_lshl_add_u32 v18, v1, 2, v102
	v_min_i32_e32 v20, s1, v18
	v_ashrrev_i32_e32 v21, 31, v20
	v_lshrrev_b32_e32 v21, 30, v21
	v_and_b32_e32 v101, 7, v0
	v_mul_lo_u32 v103, v20, s4
	v_add_u32_e32 v21, v20, v21
	v_lshlrev_b32_e32 v38, 5, v20
	v_add_u32_e32 v20, 32, v18
	v_and_b32_e32 v21, -4, v21
	v_lshlrev_b32_e32 v22, 2, v101
	s_mov_b32 s8, 0xa200
	v_min_i32_e32 v20, s1, v20
	v_add3_u32 v37, v21, v22, s8
	v_ashrrev_i32_e32 v21, 31, v20
	v_lshrrev_b32_e32 v21, 30, v21
	v_mul_lo_u32 v105, v20, s4
	v_add_u32_e32 v21, v20, v21
	v_lshlrev_b32_e32 v40, 5, v20
	v_add_u32_e32 v20, 64, v18
	v_and_b32_e32 v21, -4, v21
	v_min_i32_e32 v20, s1, v20
	v_add3_u32 v39, v21, v22, s8
	v_ashrrev_i32_e32 v21, 31, v20
	v_add_u32_e32 v18, 0x60, v18
	v_lshrrev_b32_e32 v21, 30, v21
	v_min_i32_e32 v18, s1, v18
	v_mul_lo_u32 v106, v20, s4
	v_add_u32_e32 v21, v20, v21
	v_lshlrev_b32_e32 v42, 5, v20
	v_ashrrev_i32_e32 v20, 31, v18
	v_lshrrev_b32_e32 v20, 30, v20
	v_add_u32_e32 v20, v18, v20
	v_and_b32_e32 v21, -4, v21
	v_and_b32_e32 v20, -4, v20
	v_add3_u32 v41, v21, v22, s8
	v_add3_u32 v43, v20, v22, s8
	s_add_i32 s1, s10, -1
	v_lshlrev_b32_e32 v22, 2, v0
	v_lshrrev_b32_e32 v79, 2, v0
	v_mul_lo_u32 v108, v18, s4
	v_lshlrev_b32_e32 v44, 5, v18
	v_cvt_f64_i32_e32 v[20:21], s1
	v_and_b32_e32 v18, 31, v0
	v_and_b32_e32 v45, 28, v22
	v_mov_b32_e32 v24, 0x8200
	v_cvt_f64_u32_e32 v[22:23], v72
	v_lshl_or_b32 v46, v18, 2, v24
	v_lshl_add_u32 v18, v1, 3, v79
	v_and_b32_e32 v30, 63, v18
	v_add_u32_e32 v18, 8, v72
	v_cvt_f64_u32_e32 v[24:25], v18
	v_add_u32_e32 v18, 16, v72
	v_min_f64 v[22:23], v[22:23], v[20:21]
	v_cvt_f64_u32_e32 v[26:27], v18
	v_min_f64 v[24:25], v[24:25], v[20:21]
	v_or_b32_e32 v18, s15, v30
	v_min_i32_e32 v18, s1, v18
	v_min_f64 v[26:27], v[26:27], v[20:21]
	v_lshlrev_b32_e32 v80, 2, v19
	v_mad_u64_u32 v[18:19], s[8:9], v18, s11, v[19:20]
	v_cvt_i32_f64_e32 v22, v[22:23]
	v_lshl_or_b32 v19, v30, 4, v80
	v_add_u32_e32 v110, 0xb280, v19
	v_cvt_i32_f64_e32 v19, v[24:25]
	v_mul_lo_u32 v111, s11, v22
	v_cvt_i32_f64_e32 v22, v[26:27]
	v_lshlrev_b32_e32 v48, 7, v28
	v_mul_lo_u32 v112, s11, v19
	v_add_u32_e32 v19, 24, v72
	v_mul_lo_u32 v113, s11, v22
	v_cvt_f64_u32_e32 v[22:23], v19
	v_add_u32_e32 v19, 32, v72
	v_cvt_f64_u32_e32 v[24:25], v19
	v_add_u32_e32 v19, 40, v72
	v_min_f64 v[22:23], v[22:23], v[20:21]
	v_cvt_f64_u32_e32 v[26:27], v19
	v_add_u32_e32 v19, 48, v72
	v_lshlrev_b32_e32 v49, 7, v29
	v_cvt_f64_u32_e32 v[28:29], v19
	v_add_u32_e32 v19, 56, v72
	v_cvt_f64_u32_e32 v[30:31], v19
	v_min_f64 v[24:25], v[24:25], v[20:21]
	v_min_f64 v[26:27], v[26:27], v[20:21]
	v_cvt_i32_f64_e32 v50, v[22:23]
	v_min_f64 v[22:23], v[28:29], v[20:21]
	v_min_f64 v[19:20], v[30:31], v[20:21]
	v_add_u32_e32 v28, 0x60, v0
	v_mul_lo_u32 v114, s11, v50
	v_lshlrev_b32_e32 v29, 5, v0
	v_cvt_i32_f64_e32 v24, v[24:25]
	v_cvt_i32_f64_e32 v25, v[26:27]
	v_add_u32_e32 v26, 32, v0
	v_cvt_i32_f64_e32 v22, v[22:23]
	v_cvt_i32_f64_e32 v19, v[19:20]
	v_mul_lo_u32 v115, s11, v24
	v_mul_lo_u32 v116, s11, v25
	;; [unrolled: 1-line block ×4, first 2 shown]
	v_add_u32_e32 v27, 64, v0
	v_lshrrev_b32_e32 v120, 3, v26
	v_and_b32_e32 v26, 0x1fc, v26
	v_and_b32_e32 v28, 0x1fc, v28
	;; [unrolled: 1-line block ×3, first 2 shown]
	v_add_u32_e32 v26, v29, v26
	v_and_b32_e32 v30, 0xfc, v0
	v_lshlrev_b32_e32 v47, 7, v1
	v_lshlrev_b32_e32 v21, 7, v32
	v_lshlrev_b32_e32 v24, 7, v33
	v_lshlrev_b32_e32 v23, 7, v34
	v_lshlrev_b32_e32 v22, 7, v35
	v_lshlrev_b32_e32 v25, 7, v36
	v_mov_b32_e32 v20, s3
	v_add_co_u32_e32 v19, vcc, s2, v45
	v_add_u32_e32 v28, v29, v28
	v_add_u32_e32 v27, v29, v27
	;; [unrolled: 1-line block ×4, first 2 shown]
	v_mov_b32_e32 v30, 0xb280
	v_add_u32_e32 v129, 0xa610, v26
	v_mov_b32_e32 v26, 0x80
	v_mov_b32_e32 v74, 0
	s_add_i32 s8, s4, 3
	v_mul_u32_u24_e32 v119, 0x104, v0
	v_addc_co_u32_e32 v20, vcc, 0, v20, vcc
	v_add_u32_e32 v121, 0xae00, v28
	v_add_u32_e32 v122, 0xaa00, v27
	;; [unrolled: 1-line block ×3, first 2 shown]
	v_lshl_add_u32 v125, v1, 4, v30
	v_add_u32_e32 v126, 0x8200, v47
	v_add_u32_e32 v127, 0xae10, v28
	;; [unrolled: 1-line block ×4, first 2 shown]
	v_mad_u32_u24 v131, v0, s0, v26
	s_mov_b32 s9, 0
	v_add_u32_e32 v132, v37, v38
	v_add_u32_e32 v133, v39, v40
	;; [unrolled: 1-line block ×12, first 2 shown]
	v_mov_b32_e32 v96, 0
	v_mov_b32_e32 v78, 0
	;; [unrolled: 1-line block ×31, first 2 shown]
	s_branch .LBB124_6
.LBB124_5:                              ;   in Loop: Header=BB124_6 Depth=1
	s_add_i32 s9, s9, 8
	s_add_i32 s8, s8, -8
	s_cmp_ge_i32 s9, s4
	s_cbranch_scc1 .LBB124_13
.LBB124_6:                              ; =>This Loop Header: Depth=1
                                        ;     Child Loop BB124_8 Depth 2
                                        ;     Child Loop BB124_11 Depth 2
	s_mul_i32 s0, s9, 24
	s_mul_hi_u32 s1, s9, 24
	s_add_u32 s0, s5, s0
	s_addc_u32 s1, s7, s1
	v_mad_u64_u32 v[21:22], s[16:17], v79, 24, s[0:1]
	s_cmp_gt_u32 s8, 3
	v_mad_i64_i32 v[23:24], s[16:17], v81, 24, v[21:22]
	v_mad_i64_i32 v[29:30], s[16:17], v85, 24, v[21:22]
	v_add_co_u32_e32 v25, vcc, v23, v80
	v_mad_i64_i32 v[27:28], s[16:17], v84, 24, v[21:22]
	v_addc_co_u32_e32 v26, vcc, 0, v24, vcc
	v_mad_i64_i32 v[31:32], s[16:17], v83, 24, v[21:22]
	global_load_dword v39, v[25:26], off offset:8
	global_load_dword v40, v[29:30], off offset:4
	;; [unrolled: 1-line block ×4, first 2 shown]
                                        ; kill: killed $vgpr25 killed $vgpr26
	global_load_dword v43, v[23:24], off offset:4
	v_add_co_u32_e32 v23, vcc, v31, v80
	v_addc_co_u32_e32 v24, vcc, 0, v32, vcc
	global_load_dword v44, v[23:24], off offset:8
	v_add_co_u32_e32 v23, vcc, v27, v80
	v_addc_co_u32_e32 v24, vcc, 0, v28, vcc
	v_add_co_u32_e32 v25, vcc, v29, v80
	v_addc_co_u32_e32 v26, vcc, 0, v30, vcc
	global_load_dword v45, v[23:24], off offset:8
	global_load_dword v46, v[25:26], off offset:8
	v_mad_i64_i32 v[23:24], s[16:17], v87, 24, v[21:22]
	v_mad_i64_i32 v[25:26], s[16:17], v88, 24, v[21:22]
	;; [unrolled: 1-line block ×3, first 2 shown]
	v_add_co_u32_e32 v31, vcc, v23, v80
	v_addc_co_u32_e32 v32, vcc, 0, v24, vcc
	v_mad_i64_i32 v[29:30], s[16:17], v90, 24, v[21:22]
	v_add_co_u32_e32 v33, vcc, v25, v80
	v_addc_co_u32_e32 v34, vcc, 0, v26, vcc
	v_add_co_u32_e32 v35, vcc, v27, v80
	v_addc_co_u32_e32 v36, vcc, 0, v28, vcc
	;; [unrolled: 2-line block ×3, first 2 shown]
	global_load_dword v31, v[31:32], off offset:8
	s_nop 0
	global_load_dword v47, v[33:34], off offset:8
	global_load_dword v48, v[35:36], off offset:8
	;; [unrolled: 1-line block ×6, first 2 shown]
	s_nop 0
	global_load_dword v23, v[23:24], off offset:4
	s_waitcnt vmcnt(15)
	v_lshrrev_b32_e32 v26, 4, v39
	v_and_b32_e32 v25, 0xf0f0f0f, v39
	v_and_b32_e32 v26, 0xf0f0f0f, v26
	s_waitcnt vmcnt(12)
	v_ashrrev_i32_e32 v27, v80, v42
	v_lshlrev_b32_e32 v37, 4, v27
	s_waitcnt vmcnt(11)
	v_ashrrev_i32_e32 v24, v80, v43
	v_lshlrev_b32_e32 v29, 4, v24
	v_lshlrev_b32_e32 v30, 11, v24
	v_lshrrev_b32_e32 v34, 12, v24
	v_lshrrev_b32_e32 v35, 5, v24
	v_lshlrev_b32_e32 v32, 18, v24
	v_lshlrev_b32_e32 v33, 25, v24
	;; [unrolled: 1-line block ×4, first 2 shown]
	v_and_b32_e32 v29, 16, v29
	v_and_b32_e32 v30, 0x1000, v30
	;; [unrolled: 1-line block ×8, first 2 shown]
	v_or3_b32 v25, v29, v25, v30
	v_or3_b32 v26, v34, v26, v35
	;; [unrolled: 1-line block ×4, first 2 shown]
	ds_write2_b32 v2, v25, v24 offset1:1
	v_lshlrev_b32_e32 v25, 11, v27
	s_waitcnt vmcnt(10)
	v_and_b32_e32 v28, 0xf0f0f0f, v44
	v_and_b32_e32 v24, 16, v37
	;; [unrolled: 1-line block ×3, first 2 shown]
	v_or3_b32 v24, v24, v28, v25
	v_lshlrev_b32_e32 v25, 18, v27
	v_lshlrev_b32_e32 v26, 25, v27
	v_and_b32_e32 v25, 0x100000, v25
	v_and_b32_e32 v26, 0x10000000, v26
	v_or3_b32 v24, v24, v25, v26
	v_lshrrev_b32_e32 v25, 4, v44
	v_lshrrev_b32_e32 v26, 12, v27
	;; [unrolled: 1-line block ×3, first 2 shown]
	v_and_b32_e32 v25, 0xf0f0f0f, v25
	v_and_b32_e32 v26, 16, v26
	;; [unrolled: 1-line block ×3, first 2 shown]
	v_or3_b32 v25, v26, v25, v28
	v_lshlrev_b32_e32 v26, 2, v27
	v_lshlrev_b32_e32 v27, 9, v27
	v_and_b32_e32 v26, 0x100000, v26
	v_and_b32_e32 v27, 0x10000000, v27
	v_or3_b32 v25, v25, v26, v27
	ds_write2_b32 v3, v24, v25 offset1:1
	v_ashrrev_i32_e32 v24, v80, v41
	v_lshlrev_b32_e32 v26, 4, v24
	v_lshlrev_b32_e32 v27, 11, v24
	s_waitcnt vmcnt(9)
	v_and_b32_e32 v25, 0xf0f0f0f, v45
	v_and_b32_e32 v26, 16, v26
	v_and_b32_e32 v27, 0x1000, v27
	v_or3_b32 v25, v26, v25, v27
	v_lshlrev_b32_e32 v26, 18, v24
	v_lshlrev_b32_e32 v27, 25, v24
	v_and_b32_e32 v26, 0x100000, v26
	v_and_b32_e32 v27, 0x10000000, v27
	v_or3_b32 v25, v25, v26, v27
	v_lshrrev_b32_e32 v26, 4, v45
	v_lshrrev_b32_e32 v27, 12, v24
	;; [unrolled: 1-line block ×3, first 2 shown]
	v_and_b32_e32 v26, 0xf0f0f0f, v26
	v_and_b32_e32 v27, 16, v27
	;; [unrolled: 1-line block ×3, first 2 shown]
	v_or3_b32 v26, v27, v26, v28
	v_lshlrev_b32_e32 v27, 2, v24
	v_lshlrev_b32_e32 v24, 9, v24
	v_and_b32_e32 v27, 0x100000, v27
	v_and_b32_e32 v24, 0x10000000, v24
	v_or3_b32 v24, v26, v27, v24
	ds_write2_b32 v4, v25, v24 offset1:1
	v_ashrrev_i32_e32 v24, v80, v40
	v_lshlrev_b32_e32 v26, 4, v24
	v_lshlrev_b32_e32 v27, 11, v24
	s_waitcnt vmcnt(8)
	v_and_b32_e32 v25, 0xf0f0f0f, v46
	v_and_b32_e32 v26, 16, v26
	;; [unrolled: 1-line block ×3, first 2 shown]
	v_or3_b32 v25, v26, v25, v27
	v_lshlrev_b32_e32 v26, 18, v24
	v_lshlrev_b32_e32 v27, 25, v24
	v_and_b32_e32 v26, 0x100000, v26
	v_and_b32_e32 v27, 0x10000000, v27
	v_or3_b32 v25, v25, v26, v27
	v_lshrrev_b32_e32 v26, 4, v46
	v_lshrrev_b32_e32 v27, 12, v24
	v_lshrrev_b32_e32 v28, 5, v24
	v_and_b32_e32 v26, 0xf0f0f0f, v26
	v_and_b32_e32 v27, 16, v27
	;; [unrolled: 1-line block ×3, first 2 shown]
	v_or3_b32 v26, v27, v26, v28
	v_lshlrev_b32_e32 v27, 2, v24
	v_lshlrev_b32_e32 v24, 9, v24
	v_and_b32_e32 v27, 0x100000, v27
	v_and_b32_e32 v24, 0x10000000, v24
	v_or3_b32 v24, v26, v27, v24
	s_waitcnt vmcnt(0)
	v_ashrrev_i32_e32 v39, v80, v23
	ds_write2_b32 v5, v25, v24 offset1:1
	v_lshlrev_b32_e32 v24, 4, v39
	v_lshlrev_b32_e32 v25, 11, v39
	v_and_b32_e32 v23, 0xf0f0f0f, v31
	v_and_b32_e32 v24, 16, v24
	;; [unrolled: 1-line block ×3, first 2 shown]
	v_or3_b32 v23, v24, v23, v25
	v_lshlrev_b32_e32 v24, 18, v39
	v_lshlrev_b32_e32 v25, 25, v39
	v_and_b32_e32 v24, 0x100000, v24
	v_and_b32_e32 v25, 0x10000000, v25
	v_or3_b32 v40, v23, v24, v25
	v_lshrrev_b32_e32 v23, 4, v31
	v_lshrrev_b32_e32 v24, 12, v39
	;; [unrolled: 1-line block ×3, first 2 shown]
	v_and_b32_e32 v23, 0xf0f0f0f, v23
	v_and_b32_e32 v24, 16, v24
	v_and_b32_e32 v25, 0x1000, v25
	v_or3_b32 v41, v24, v23, v25
	v_lshlrev_b32_e32 v23, 2, v39
	v_and_b32_e32 v42, 0x100000, v23
	v_mad_i64_i32 v[23:24], s[16:17], v92, 24, v[21:22]
	v_mad_i64_i32 v[25:26], s[16:17], v93, 24, v[21:22]
	v_add_co_u32_e32 v27, vcc, v23, v80
	v_mad_i64_i32 v[31:32], s[16:17], v94, 24, v[21:22]
	v_addc_co_u32_e32 v28, vcc, 0, v24, vcc
	v_add_co_u32_e32 v29, vcc, v25, v80
	v_mad_i64_i32 v[33:34], s[16:17], v95, 24, v[21:22]
	v_addc_co_u32_e32 v30, vcc, 0, v26, vcc
	v_add_co_u32_e32 v35, vcc, v31, v80
	v_addc_co_u32_e32 v36, vcc, 0, v32, vcc
	v_add_co_u32_e32 v37, vcc, v33, v80
	v_addc_co_u32_e32 v38, vcc, 0, v34, vcc
	global_load_dword v27, v[27:28], off offset:8
	s_nop 0
	global_load_dword v43, v[29:30], off offset:8
	global_load_dword v44, v[35:36], off offset:8
	s_nop 0
	global_load_dword v37, v[37:38], off offset:8
	s_nop 0
	global_load_dword v38, v[33:34], off offset:4
	global_load_dword v45, v[31:32], off offset:4
	;; [unrolled: 1-line block ×3, first 2 shown]
	s_nop 0
	global_load_dword v23, v[23:24], off offset:4
	v_lshlrev_b32_e32 v24, 9, v39
	v_and_b32_e32 v24, 0x10000000, v24
	v_or3_b32 v24, v41, v42, v24
	ds_write2_b32 v6, v40, v24 offset1:1
	v_ashrrev_i32_e32 v24, v80, v52
	v_lshlrev_b32_e32 v26, 4, v24
	v_lshlrev_b32_e32 v28, 11, v24
	v_and_b32_e32 v25, 0xf0f0f0f, v47
	v_and_b32_e32 v26, 16, v26
	v_and_b32_e32 v28, 0x1000, v28
	v_or3_b32 v25, v26, v25, v28
	v_lshlrev_b32_e32 v26, 18, v24
	v_lshlrev_b32_e32 v28, 25, v24
	v_and_b32_e32 v26, 0x100000, v26
	v_and_b32_e32 v28, 0x10000000, v28
	v_or3_b32 v25, v25, v26, v28
	v_lshrrev_b32_e32 v26, 4, v47
	v_lshrrev_b32_e32 v28, 12, v24
	v_lshrrev_b32_e32 v29, 5, v24
	v_and_b32_e32 v26, 0xf0f0f0f, v26
	v_and_b32_e32 v28, 16, v28
	v_and_b32_e32 v29, 0x1000, v29
	v_or3_b32 v26, v28, v26, v29
	v_lshlrev_b32_e32 v28, 2, v24
	v_lshlrev_b32_e32 v24, 9, v24
	v_and_b32_e32 v28, 0x100000, v28
	v_and_b32_e32 v24, 0x10000000, v24
	v_or3_b32 v24, v26, v28, v24
	ds_write2_b32 v7, v25, v24 offset1:1
	v_ashrrev_i32_e32 v24, v80, v51
	v_lshlrev_b32_e32 v26, 4, v24
	v_lshlrev_b32_e32 v28, 11, v24
	v_and_b32_e32 v25, 0xf0f0f0f, v48
	v_and_b32_e32 v26, 16, v26
	v_and_b32_e32 v28, 0x1000, v28
	v_or3_b32 v25, v26, v25, v28
	v_lshlrev_b32_e32 v26, 18, v24
	v_lshlrev_b32_e32 v28, 25, v24
	v_and_b32_e32 v26, 0x100000, v26
	v_and_b32_e32 v28, 0x10000000, v28
	v_or3_b32 v25, v25, v26, v28
	v_lshrrev_b32_e32 v26, 4, v48
	v_lshrrev_b32_e32 v28, 12, v24
	v_lshrrev_b32_e32 v29, 5, v24
	v_and_b32_e32 v26, 0xf0f0f0f, v26
	v_and_b32_e32 v28, 16, v28
	v_and_b32_e32 v29, 0x1000, v29
	v_or3_b32 v26, v28, v26, v29
	v_lshlrev_b32_e32 v28, 2, v24
	v_lshlrev_b32_e32 v24, 9, v24
	v_and_b32_e32 v28, 0x100000, v28
	;; [unrolled: 25-line block ×3, first 2 shown]
	v_and_b32_e32 v24, 0x10000000, v24
	v_or3_b32 v24, v26, v28, v24
	ds_write2_b32 v9, v25, v24 offset1:1
	s_waitcnt vmcnt(0)
	v_ashrrev_i32_e32 v39, v80, v23
	v_lshlrev_b32_e32 v24, 4, v39
	v_lshlrev_b32_e32 v25, 11, v39
	v_and_b32_e32 v23, 0xf0f0f0f, v27
	v_and_b32_e32 v24, 16, v24
	;; [unrolled: 1-line block ×3, first 2 shown]
	v_or3_b32 v23, v24, v23, v25
	v_lshlrev_b32_e32 v24, 18, v39
	v_lshlrev_b32_e32 v25, 25, v39
	v_and_b32_e32 v24, 0x100000, v24
	v_and_b32_e32 v25, 0x10000000, v25
	v_or3_b32 v40, v23, v24, v25
	v_lshrrev_b32_e32 v23, 4, v27
	v_lshrrev_b32_e32 v24, 12, v39
	;; [unrolled: 1-line block ×3, first 2 shown]
	v_and_b32_e32 v23, 0xf0f0f0f, v23
	v_and_b32_e32 v24, 16, v24
	;; [unrolled: 1-line block ×3, first 2 shown]
	v_or3_b32 v41, v24, v23, v25
	v_lshlrev_b32_e32 v23, 2, v39
	v_and_b32_e32 v42, 0x100000, v23
	v_mad_i64_i32 v[23:24], s[16:17], v97, 24, v[21:22]
	v_mad_i64_i32 v[25:26], s[16:17], v98, 24, v[21:22]
	v_add_co_u32_e32 v27, vcc, v23, v80
	v_mad_i64_i32 v[31:32], s[16:17], v99, 24, v[21:22]
	v_addc_co_u32_e32 v28, vcc, 0, v24, vcc
	v_add_co_u32_e32 v29, vcc, v25, v80
	v_mad_i64_i32 v[21:22], s[16:17], v100, 24, v[21:22]
	v_addc_co_u32_e32 v30, vcc, 0, v26, vcc
	v_add_co_u32_e32 v33, vcc, v31, v80
	v_addc_co_u32_e32 v34, vcc, 0, v32, vcc
	v_add_co_u32_e32 v35, vcc, v21, v80
	v_addc_co_u32_e32 v36, vcc, 0, v22, vcc
	global_load_dword v27, v[27:28], off offset:8
	s_nop 0
	global_load_dword v29, v[29:30], off offset:8
	s_nop 0
	;; [unrolled: 2-line block ×3, first 2 shown]
	global_load_dword v33, v[35:36], off offset:8
	global_load_dword v34, v[21:22], off offset:4
	s_nop 0
	global_load_dword v31, v[31:32], off offset:4
	s_nop 0
	global_load_dword v32, v[25:26], off offset:4
	global_load_dword v21, v[23:24], off offset:4
	v_lshlrev_b32_e32 v22, 9, v39
	v_and_b32_e32 v22, 0x10000000, v22
	v_or3_b32 v22, v41, v42, v22
	ds_write2_b32 v10, v40, v22 offset1:1
	v_ashrrev_i32_e32 v22, v80, v46
	v_lshlrev_b32_e32 v24, 4, v22
	v_lshlrev_b32_e32 v25, 11, v22
	v_and_b32_e32 v23, 0xf0f0f0f, v43
	v_and_b32_e32 v24, 16, v24
	v_and_b32_e32 v25, 0x1000, v25
	v_or3_b32 v23, v24, v23, v25
	v_lshlrev_b32_e32 v24, 18, v22
	v_lshlrev_b32_e32 v25, 25, v22
	v_and_b32_e32 v24, 0x100000, v24
	v_and_b32_e32 v25, 0x10000000, v25
	v_or3_b32 v23, v23, v24, v25
	v_lshrrev_b32_e32 v24, 4, v43
	v_lshrrev_b32_e32 v25, 12, v22
	v_lshrrev_b32_e32 v26, 5, v22
	v_and_b32_e32 v24, 0xf0f0f0f, v24
	v_and_b32_e32 v25, 16, v25
	v_and_b32_e32 v26, 0x1000, v26
	v_or3_b32 v24, v25, v24, v26
	v_lshlrev_b32_e32 v25, 2, v22
	v_lshlrev_b32_e32 v22, 9, v22
	v_and_b32_e32 v25, 0x100000, v25
	v_and_b32_e32 v22, 0x10000000, v22
	v_or3_b32 v22, v24, v25, v22
	ds_write2_b32 v11, v23, v22 offset1:1
	v_ashrrev_i32_e32 v22, v80, v45
	v_lshlrev_b32_e32 v24, 4, v22
	v_lshlrev_b32_e32 v25, 11, v22
	v_and_b32_e32 v23, 0xf0f0f0f, v44
	v_and_b32_e32 v24, 16, v24
	v_and_b32_e32 v25, 0x1000, v25
	v_or3_b32 v23, v24, v23, v25
	v_lshlrev_b32_e32 v24, 18, v22
	v_lshlrev_b32_e32 v25, 25, v22
	v_and_b32_e32 v24, 0x100000, v24
	v_and_b32_e32 v25, 0x10000000, v25
	v_or3_b32 v23, v23, v24, v25
	v_lshrrev_b32_e32 v24, 4, v44
	v_lshrrev_b32_e32 v25, 12, v22
	v_lshrrev_b32_e32 v26, 5, v22
	v_and_b32_e32 v24, 0xf0f0f0f, v24
	v_and_b32_e32 v25, 16, v25
	v_and_b32_e32 v26, 0x1000, v26
	v_or3_b32 v24, v25, v24, v26
	v_lshlrev_b32_e32 v25, 2, v22
	v_lshlrev_b32_e32 v22, 9, v22
	v_and_b32_e32 v25, 0x100000, v25
	;; [unrolled: 25-line block ×3, first 2 shown]
	v_and_b32_e32 v22, 0x10000000, v22
	v_or3_b32 v22, v24, v25, v22
	ds_write2_b32 v13, v23, v22 offset1:1
	s_waitcnt vmcnt(0)
	v_ashrrev_i32_e32 v21, v80, v21
	v_lshlrev_b32_e32 v23, 4, v21
	v_lshlrev_b32_e32 v24, 11, v21
	v_and_b32_e32 v22, 0xf0f0f0f, v27
	v_and_b32_e32 v23, 16, v23
	;; [unrolled: 1-line block ×3, first 2 shown]
	v_or3_b32 v22, v23, v22, v24
	v_lshlrev_b32_e32 v23, 18, v21
	v_lshlrev_b32_e32 v24, 25, v21
	v_and_b32_e32 v23, 0x100000, v23
	v_and_b32_e32 v24, 0x10000000, v24
	v_or3_b32 v35, v22, v23, v24
	v_lshrrev_b32_e32 v22, 4, v27
	v_lshrrev_b32_e32 v23, 12, v21
	;; [unrolled: 1-line block ×3, first 2 shown]
	v_and_b32_e32 v22, 0xf0f0f0f, v22
	v_and_b32_e32 v23, 16, v23
	;; [unrolled: 1-line block ×3, first 2 shown]
	v_or3_b32 v23, v23, v22, v24
	v_lshlrev_b32_e32 v22, 2, v21
	v_and_b32_e32 v24, 0x100000, v22
	v_lshlrev_b32_e32 v25, 9, v21
	v_mad_u64_u32 v[21:22], s[0:1], v101, 24, s[0:1]
	v_and_b32_e32 v25, 0x10000000, v25
	v_or3_b32 v36, v23, v24, v25
	v_mad_i64_i32 v[23:24], s[0:1], v103, 24, v[21:22]
	v_mad_i64_i32 v[25:26], s[0:1], v105, 24, v[21:22]
	;; [unrolled: 1-line block ×4, first 2 shown]
	global_load_dword v23, v[23:24], off
	s_nop 0
	global_load_dword v24, v[25:26], off
	s_nop 0
	global_load_dword v25, v[27:28], off
	v_and_b32_e32 v26, 0xf0f0f0f, v29
	global_load_dword v21, v[21:22], off
	v_ashrrev_i32_e32 v22, v80, v32
	v_lshlrev_b32_e32 v27, 4, v22
	v_lshlrev_b32_e32 v28, 11, v22
	v_and_b32_e32 v27, 16, v27
	v_and_b32_e32 v28, 0x1000, v28
	v_or3_b32 v26, v27, v26, v28
	v_lshlrev_b32_e32 v27, 18, v22
	v_lshlrev_b32_e32 v28, 25, v22
	v_and_b32_e32 v27, 0x100000, v27
	v_and_b32_e32 v28, 0x10000000, v28
	v_or3_b32 v26, v26, v27, v28
	v_lshrrev_b32_e32 v27, 4, v29
	v_lshrrev_b32_e32 v28, 12, v22
	;; [unrolled: 1-line block ×3, first 2 shown]
	v_and_b32_e32 v27, 0xf0f0f0f, v27
	v_and_b32_e32 v28, 16, v28
	;; [unrolled: 1-line block ×3, first 2 shown]
	v_or3_b32 v27, v28, v27, v29
	v_lshlrev_b32_e32 v28, 2, v22
	v_lshlrev_b32_e32 v22, 9, v22
	v_and_b32_e32 v28, 0x100000, v28
	v_and_b32_e32 v22, 0x10000000, v22
	v_or3_b32 v22, v27, v28, v22
	ds_write2_b32 v14, v35, v36 offset1:1
	ds_write2_b32 v15, v26, v22 offset1:1
	v_ashrrev_i32_e32 v22, v80, v31
	v_lshlrev_b32_e32 v27, 4, v22
	v_lshlrev_b32_e32 v28, 11, v22
	v_and_b32_e32 v26, 0xf0f0f0f, v30
	v_and_b32_e32 v27, 16, v27
	;; [unrolled: 1-line block ×3, first 2 shown]
	v_or3_b32 v26, v27, v26, v28
	v_lshlrev_b32_e32 v27, 18, v22
	v_lshlrev_b32_e32 v28, 25, v22
	v_and_b32_e32 v27, 0x100000, v27
	v_and_b32_e32 v28, 0x10000000, v28
	v_or3_b32 v26, v26, v27, v28
	v_lshrrev_b32_e32 v27, 4, v30
	v_lshrrev_b32_e32 v28, 12, v22
	;; [unrolled: 1-line block ×3, first 2 shown]
	v_and_b32_e32 v27, 0xf0f0f0f, v27
	v_and_b32_e32 v28, 16, v28
	;; [unrolled: 1-line block ×3, first 2 shown]
	v_or3_b32 v27, v28, v27, v29
	v_lshlrev_b32_e32 v28, 2, v22
	v_lshlrev_b32_e32 v22, 9, v22
	v_and_b32_e32 v28, 0x100000, v28
	v_and_b32_e32 v22, 0x10000000, v22
	v_or3_b32 v22, v27, v28, v22
	ds_write2_b32 v16, v26, v22 offset1:1
	v_ashrrev_i32_e32 v22, v80, v34
	v_lshlrev_b32_e32 v27, 4, v22
	v_lshlrev_b32_e32 v28, 11, v22
	v_and_b32_e32 v26, 0xf0f0f0f, v33
	v_and_b32_e32 v27, 16, v27
	;; [unrolled: 1-line block ×3, first 2 shown]
	v_or3_b32 v26, v27, v26, v28
	v_lshlrev_b32_e32 v27, 18, v22
	v_lshlrev_b32_e32 v28, 25, v22
	v_and_b32_e32 v27, 0x100000, v27
	v_and_b32_e32 v28, 0x10000000, v28
	v_or3_b32 v26, v26, v27, v28
	v_lshrrev_b32_e32 v27, 4, v33
	v_lshrrev_b32_e32 v28, 12, v22
	;; [unrolled: 1-line block ×3, first 2 shown]
	v_and_b32_e32 v27, 0xf0f0f0f, v27
	v_and_b32_e32 v28, 16, v28
	;; [unrolled: 1-line block ×3, first 2 shown]
	v_or3_b32 v27, v28, v27, v29
	v_lshlrev_b32_e32 v28, 2, v22
	v_lshlrev_b32_e32 v22, 9, v22
	v_and_b32_e32 v28, 0x100000, v28
	v_and_b32_e32 v22, 0x10000000, v22
	v_or3_b32 v22, v27, v28, v22
	ds_write2_b32 v17, v26, v22 offset1:1
	s_waitcnt vmcnt(3)
	ds_write_b32 v132, v23
	s_waitcnt vmcnt(2)
	ds_write_b32 v133, v24
	;; [unrolled: 2-line block ×4, first 2 shown]
	s_cbranch_scc0 .LBB124_5
; %bb.7:                                ;   in Loop: Header=BB124_6 Depth=1
	v_add_u32_e32 v144, s9, v18
	v_add_u32_e32 v37, s9, v102
	;; [unrolled: 1-line block ×3, first 2 shown]
	v_mad_u64_u32 v[35:36], s[0:1], v144, 36, s[2:3]
	v_mad_i64_i32 v[21:22], s[0:1], v21, 36, v[19:20]
	v_add_u32_e32 v23, v37, v112
	v_mad_i64_i32 v[23:24], s[0:1], v23, 36, v[19:20]
	v_add_u32_e32 v25, v37, v113
	v_add_u32_e32 v27, v37, v114
	v_mad_i64_i32 v[25:26], s[0:1], v25, 36, v[19:20]
	v_mad_i64_i32 v[27:28], s[0:1], v27, 36, v[19:20]
	v_add_u32_e32 v29, v37, v115
	v_add_u32_e32 v31, v37, v116
	;; [unrolled: 1-line block ×4, first 2 shown]
	v_mad_i64_i32 v[29:30], s[0:1], v29, 36, v[19:20]
	v_mad_i64_i32 v[31:32], s[0:1], v31, 36, v[19:20]
	;; [unrolled: 1-line block ×4, first 2 shown]
	global_load_dword v35, v[35:36], off
	s_nop 0
	global_load_dword v21, v[21:22], off offset:4
	s_nop 0
	global_load_dword v22, v[23:24], off offset:4
	;; [unrolled: 2-line block ×3, first 2 shown]
	global_load_dword v24, v[27:28], off offset:4
	s_nop 0
	global_load_dword v25, v[29:30], off offset:4
	global_load_dword v26, v[31:32], off offset:4
                                        ; kill: killed $vgpr29_vgpr30
                                        ; kill: killed $vgpr31_vgpr32
	global_load_dword v27, v[33:34], off offset:4
	global_load_dword v28, v[37:38], off offset:4
	s_mov_b32 s0, -4
	v_mov_b32_e32 v145, v126
	v_mov_b32_e32 v146, v119
	;; [unrolled: 1-line block ×7, first 2 shown]
	s_waitcnt vmcnt(8)
	ds_write_b32 v110, v35
	s_waitcnt vmcnt(7)
	ds_write_b32 v136, v21
	;; [unrolled: 2-line block ×9, first 2 shown]
	s_waitcnt lgkmcnt(0)
	s_barrier
.LBB124_8:                              ;   Parent Loop BB124_6 Depth=1
                                        ; =>  This Inner Loop Header: Depth=2
	ds_read_b128 v[156:159], v145
	ds_read_b128 v[160:163], v145 offset:16
	ds_read2_b32 v[164:165], v147 offset1:32
	ds_read_b32 v152, v148
	ds_read2_b32 v[21:22], v146 offset1:1
	s_add_i32 s0, s0, 4
	v_add_u32_e32 v148, 4, v148
	s_cmp_lt_u32 s0, 12
	s_waitcnt lgkmcnt(1)
	v_pk_mul_f16 v30, v164, v152
	s_waitcnt lgkmcnt(0)
	v_dot4_i32_i8 v23, v21, v156, 0
	v_dot4_i32_i8 v25, v22, v160, v23
	ds_read2_b32 v[23:24], v146 offset0:2 offset1:3
	v_pk_mul_f16 v166, v152, v165
	s_waitcnt lgkmcnt(0)
	v_dot4_i32_i8 v25, v23, v157, v25
	v_dot4_i32_i8 v27, v24, v161, v25
	ds_read2_b32 v[25:26], v146 offset0:4 offset1:5
	s_waitcnt lgkmcnt(0)
	v_dot4_i32_i8 v27, v25, v158, v27
	v_dot4_i32_i8 v29, v26, v162, v27
	ds_read2_b32 v[27:28], v146 offset0:6 offset1:7
	s_waitcnt lgkmcnt(0)
	v_dot4_i32_i8 v29, v27, v159, v29
	v_dot4_i32_i8 v29, v28, v163, v29
	v_cvt_f32_i32_e32 v29, v29
	v_fma_mix_f32 v29, v30, v29, v30 op_sel:[0,0,1] op_sel_hi:[1,0,1]
	v_add_f32_e32 v74, v74, v29
	v_add_u32_e32 v29, 0x2080, v146
	ds_read_b32 v153, v149
	ds_read2_b32 v[29:30], v29 offset1:1
	v_add_u32_e32 v149, 4, v149
	s_waitcnt lgkmcnt(1)
	v_pk_mul_f16 v38, v164, v153
	s_waitcnt lgkmcnt(0)
	v_dot4_i32_i8 v31, v29, v156, 0
	v_dot4_i32_i8 v33, v30, v160, v31
	v_add_u32_e32 v31, 0x2088, v146
	ds_read2_b32 v[31:32], v31 offset1:1
	s_waitcnt lgkmcnt(0)
	v_dot4_i32_i8 v33, v31, v157, v33
	v_dot4_i32_i8 v35, v32, v161, v33
	v_add_u32_e32 v33, 0x2090, v146
	ds_read2_b32 v[33:34], v33 offset1:1
	;; [unrolled: 5-line block ×3, first 2 shown]
	s_waitcnt lgkmcnt(0)
	v_dot4_i32_i8 v37, v35, v159, v37
	v_dot4_i32_i8 v37, v36, v163, v37
	v_cvt_f32_i32_e32 v37, v37
	v_fma_mix_f32 v37, v38, v37, v38 op_sel:[0,0,1] op_sel_hi:[1,0,1]
	v_add_f32_e32 v109, v109, v37
	v_add_u32_e32 v37, 0x4100, v146
	ds_read_b32 v154, v150
	ds_read2_b32 v[37:38], v37 offset1:1
	v_add_u32_e32 v150, 4, v150
	s_waitcnt lgkmcnt(1)
	v_pk_mul_f16 v46, v164, v154
	s_waitcnt lgkmcnt(0)
	v_dot4_i32_i8 v39, v37, v156, 0
	v_dot4_i32_i8 v41, v38, v160, v39
	v_add_u32_e32 v39, 0x4108, v146
	ds_read2_b32 v[39:40], v39 offset1:1
	s_waitcnt lgkmcnt(0)
	v_dot4_i32_i8 v41, v39, v157, v41
	v_dot4_i32_i8 v43, v40, v161, v41
	v_add_u32_e32 v41, 0x4110, v146
	ds_read2_b32 v[41:42], v41 offset1:1
	;; [unrolled: 5-line block ×3, first 2 shown]
	s_waitcnt lgkmcnt(0)
	v_dot4_i32_i8 v45, v43, v159, v45
	v_dot4_i32_i8 v45, v44, v163, v45
	v_cvt_f32_i32_e32 v45, v45
	v_fma_mix_f32 v45, v46, v45, v46 op_sel:[0,0,1] op_sel_hi:[1,0,1]
	v_add_f32_e32 v107, v107, v45
	v_add_u32_e32 v45, 0x6180, v146
	ds_read_b32 v155, v151
	ds_read2_b32 v[45:46], v45 offset1:1
	v_add_u32_e32 v151, 4, v151
	s_waitcnt lgkmcnt(0)
	v_dot4_i32_i8 v47, v45, v156, 0
	v_dot4_i32_i8 v49, v46, v160, v47
	v_add_u32_e32 v47, 0x6188, v146
	ds_read2_b32 v[47:48], v47 offset1:1
	s_waitcnt lgkmcnt(0)
	v_dot4_i32_i8 v49, v47, v157, v49
	v_dot4_i32_i8 v51, v48, v161, v49
	v_add_u32_e32 v49, 0x6190, v146
	ds_read2_b32 v[49:50], v49 offset1:1
	v_pk_mul_f16 v157, v164, v155
	s_waitcnt lgkmcnt(0)
	v_dot4_i32_i8 v51, v49, v158, v51
	v_dot4_i32_i8 v156, v50, v162, v51
	v_add_u32_e32 v51, 0x6198, v146
	ds_read2_b32 v[51:52], v51 offset1:1
	v_add_u32_e32 v146, 32, v146
	s_waitcnt lgkmcnt(0)
	v_dot4_i32_i8 v156, v51, v159, v156
	v_dot4_i32_i8 v156, v52, v163, v156
	v_cvt_f32_i32_e32 v156, v156
	v_fma_mix_f32 v156, v157, v156, v157 op_sel:[0,0,1] op_sel_hi:[1,0,1]
	v_add_f32_e32 v104, v104, v156
	ds_read_b128 v[156:159], v145 offset:1024
	ds_read_b128 v[160:163], v145 offset:1040
	s_waitcnt lgkmcnt(1)
	v_dot4_i32_i8 v164, v21, v156, 0
	s_waitcnt lgkmcnt(0)
	v_dot4_i32_i8 v164, v22, v160, v164
	v_dot4_i32_i8 v164, v23, v157, v164
	;; [unrolled: 1-line block ×7, first 2 shown]
	v_cvt_f32_i32_e32 v164, v164
	v_fma_mix_f32 v164, v164, v166, v166 op_sel:[0,0,1] op_sel_hi:[0,1,1]
	v_add_f32_e32 v96, v96, v164
	v_dot4_i32_i8 v164, v29, v156, 0
	v_dot4_i32_i8 v164, v30, v160, v164
	;; [unrolled: 1-line block ×8, first 2 shown]
	v_cvt_f32_i32_e32 v164, v164
	v_pk_mul_f16 v166, v153, v165
	v_fma_mix_f32 v164, v164, v166, v166 op_sel:[0,0,1] op_sel_hi:[0,1,1]
	v_add_f32_e32 v91, v91, v164
	v_dot4_i32_i8 v164, v37, v156, 0
	v_dot4_i32_i8 v156, v45, v156, 0
	;; [unrolled: 1-line block ×16, first 2 shown]
	v_cvt_f32_i32_e32 v164, v164
	v_cvt_f32_i32_e32 v156, v156
	v_pk_mul_f16 v166, v154, v165
	v_pk_mul_f16 v157, v155, v165
	v_fma_mix_f32 v164, v164, v166, v166 op_sel:[0,0,1] op_sel_hi:[0,1,1]
	v_fma_mix_f32 v156, v156, v157, v157 op_sel:[0,0,1] op_sel_hi:[0,1,1]
	v_add_f32_e32 v86, v86, v164
	v_add_f32_e32 v82, v82, v156
	ds_read_b128 v[156:159], v145 offset:2048
	ds_read_b128 v[160:163], v145 offset:2064
	ds_read2_b32 v[164:165], v147 offset0:64 offset1:96
	s_waitcnt lgkmcnt(2)
	v_dot4_i32_i8 v166, v21, v156, 0
	s_waitcnt lgkmcnt(1)
	v_dot4_i32_i8 v166, v22, v160, v166
	v_dot4_i32_i8 v166, v23, v157, v166
	;; [unrolled: 1-line block ×7, first 2 shown]
	v_cvt_f32_i32_e32 v166, v166
	s_waitcnt lgkmcnt(0)
	v_pk_mul_f16 v167, v152, v164
	v_fma_mix_f32 v166, v166, v167, v167 op_sel:[0,0,1] op_sel_hi:[0,1,1]
	v_add_f32_e32 v78, v78, v166
	v_dot4_i32_i8 v166, v29, v156, 0
	v_dot4_i32_i8 v166, v30, v160, v166
	;; [unrolled: 1-line block ×8, first 2 shown]
	v_cvt_f32_i32_e32 v166, v166
	v_pk_mul_f16 v167, v153, v164
	v_fma_mix_f32 v166, v166, v167, v167 op_sel:[0,0,1] op_sel_hi:[0,1,1]
	v_add_f32_e32 v77, v77, v166
	v_dot4_i32_i8 v166, v37, v156, 0
	v_dot4_i32_i8 v156, v45, v156, 0
	;; [unrolled: 1-line block ×11, first 2 shown]
	v_cvt_f32_i32_e32 v156, v156
	v_dot4_i32_i8 v166, v40, v161, v166
	v_dot4_i32_i8 v166, v41, v158, v166
	;; [unrolled: 1-line block ×3, first 2 shown]
	v_pk_mul_f16 v157, v155, v164
	v_dot4_i32_i8 v166, v43, v159, v166
	v_fma_mix_f32 v156, v156, v157, v157 op_sel:[0,0,1] op_sel_hi:[0,1,1]
	v_dot4_i32_i8 v166, v44, v163, v166
	v_add_f32_e32 v75, v75, v156
	ds_read_b128 v[156:159], v145 offset:3072
	ds_read_b128 v[160:163], v145 offset:3088
	v_pk_mul_f16 v167, v154, v164
	v_cvt_f32_i32_e32 v166, v166
	s_waitcnt lgkmcnt(1)
	v_dot4_i32_i8 v164, v21, v156, 0
	s_waitcnt lgkmcnt(0)
	v_dot4_i32_i8 v164, v22, v160, v164
	v_dot4_i32_i8 v164, v23, v157, v164
	;; [unrolled: 1-line block ×7, first 2 shown]
	v_cvt_f32_i32_e32 v164, v164
	v_fma_mix_f32 v166, v166, v167, v167 op_sel:[0,0,1] op_sel_hi:[0,1,1]
	v_add_f32_e32 v76, v76, v166
	v_pk_mul_f16 v166, v152, v165
	v_fma_mix_f32 v164, v164, v166, v166 op_sel:[0,0,1] op_sel_hi:[0,1,1]
	v_add_f32_e32 v73, v73, v164
	v_dot4_i32_i8 v164, v29, v156, 0
	v_dot4_i32_i8 v164, v30, v160, v164
	;; [unrolled: 1-line block ×8, first 2 shown]
	v_cvt_f32_i32_e32 v164, v164
	v_pk_mul_f16 v166, v153, v165
	v_fma_mix_f32 v164, v164, v166, v166 op_sel:[0,0,1] op_sel_hi:[0,1,1]
	v_add_f32_e32 v71, v71, v164
	v_dot4_i32_i8 v164, v37, v156, 0
	v_dot4_i32_i8 v156, v45, v156, 0
	;; [unrolled: 1-line block ×16, first 2 shown]
	v_cvt_f32_i32_e32 v164, v164
	v_cvt_f32_i32_e32 v156, v156
	v_pk_mul_f16 v166, v154, v165
	v_pk_mul_f16 v157, v155, v165
	v_fma_mix_f32 v164, v164, v166, v166 op_sel:[0,0,1] op_sel_hi:[0,1,1]
	v_fma_mix_f32 v156, v156, v157, v157 op_sel:[0,0,1] op_sel_hi:[0,1,1]
	v_add_f32_e32 v70, v70, v164
	v_add_f32_e32 v69, v69, v156
	ds_read_b128 v[156:159], v145 offset:4096
	ds_read_b128 v[160:163], v145 offset:4112
	ds_read2_b32 v[164:165], v147 offset0:128 offset1:160
	s_waitcnt lgkmcnt(2)
	v_dot4_i32_i8 v166, v21, v156, 0
	s_waitcnt lgkmcnt(1)
	v_dot4_i32_i8 v166, v22, v160, v166
	v_dot4_i32_i8 v166, v23, v157, v166
	;; [unrolled: 1-line block ×7, first 2 shown]
	v_cvt_f32_i32_e32 v166, v166
	s_waitcnt lgkmcnt(0)
	v_pk_mul_f16 v167, v152, v164
	v_fma_mix_f32 v166, v166, v167, v167 op_sel:[0,0,1] op_sel_hi:[0,1,1]
	v_add_f32_e32 v68, v68, v166
	v_dot4_i32_i8 v166, v29, v156, 0
	v_dot4_i32_i8 v166, v30, v160, v166
	v_dot4_i32_i8 v166, v31, v157, v166
	v_dot4_i32_i8 v166, v32, v161, v166
	v_dot4_i32_i8 v166, v33, v158, v166
	v_dot4_i32_i8 v166, v34, v162, v166
	v_dot4_i32_i8 v166, v35, v159, v166
	v_dot4_i32_i8 v166, v36, v163, v166
	v_cvt_f32_i32_e32 v166, v166
	v_pk_mul_f16 v167, v153, v164
	v_fma_mix_f32 v166, v166, v167, v167 op_sel:[0,0,1] op_sel_hi:[0,1,1]
	v_add_f32_e32 v67, v67, v166
	v_dot4_i32_i8 v166, v37, v156, 0
	v_dot4_i32_i8 v156, v45, v156, 0
	;; [unrolled: 1-line block ×11, first 2 shown]
	v_cvt_f32_i32_e32 v156, v156
	v_dot4_i32_i8 v166, v40, v161, v166
	v_dot4_i32_i8 v166, v41, v158, v166
	;; [unrolled: 1-line block ×3, first 2 shown]
	v_pk_mul_f16 v157, v155, v164
	v_dot4_i32_i8 v166, v43, v159, v166
	v_fma_mix_f32 v156, v156, v157, v157 op_sel:[0,0,1] op_sel_hi:[0,1,1]
	v_dot4_i32_i8 v166, v44, v163, v166
	v_add_f32_e32 v65, v65, v156
	ds_read_b128 v[156:159], v145 offset:5120
	ds_read_b128 v[160:163], v145 offset:5136
	v_pk_mul_f16 v167, v154, v164
	v_cvt_f32_i32_e32 v166, v166
	s_waitcnt lgkmcnt(1)
	v_dot4_i32_i8 v164, v21, v156, 0
	s_waitcnt lgkmcnt(0)
	v_dot4_i32_i8 v164, v22, v160, v164
	v_dot4_i32_i8 v164, v23, v157, v164
	;; [unrolled: 1-line block ×7, first 2 shown]
	v_cvt_f32_i32_e32 v164, v164
	v_fma_mix_f32 v166, v166, v167, v167 op_sel:[0,0,1] op_sel_hi:[0,1,1]
	v_add_f32_e32 v66, v66, v166
	v_pk_mul_f16 v166, v152, v165
	v_fma_mix_f32 v164, v164, v166, v166 op_sel:[0,0,1] op_sel_hi:[0,1,1]
	v_add_f32_e32 v64, v64, v164
	v_dot4_i32_i8 v164, v29, v156, 0
	v_dot4_i32_i8 v164, v30, v160, v164
	;; [unrolled: 1-line block ×8, first 2 shown]
	v_cvt_f32_i32_e32 v164, v164
	v_pk_mul_f16 v166, v153, v165
	v_fma_mix_f32 v164, v164, v166, v166 op_sel:[0,0,1] op_sel_hi:[0,1,1]
	v_add_f32_e32 v63, v63, v164
	v_dot4_i32_i8 v164, v37, v156, 0
	v_dot4_i32_i8 v156, v45, v156, 0
	;; [unrolled: 1-line block ×16, first 2 shown]
	v_cvt_f32_i32_e32 v164, v164
	v_cvt_f32_i32_e32 v156, v156
	v_pk_mul_f16 v166, v154, v165
	v_pk_mul_f16 v157, v155, v165
	v_fma_mix_f32 v164, v164, v166, v166 op_sel:[0,0,1] op_sel_hi:[0,1,1]
	v_fma_mix_f32 v156, v156, v157, v157 op_sel:[0,0,1] op_sel_hi:[0,1,1]
	v_add_f32_e32 v62, v62, v164
	v_add_f32_e32 v61, v61, v156
	ds_read_b128 v[156:159], v145 offset:6144
	ds_read_b128 v[160:163], v145 offset:6160
	ds_read2_b32 v[164:165], v147 offset0:192 offset1:224
	v_add_u32_e32 v147, 4, v147
	s_waitcnt lgkmcnt(2)
	v_dot4_i32_i8 v166, v21, v156, 0
	s_waitcnt lgkmcnt(1)
	v_dot4_i32_i8 v166, v22, v160, v166
	v_dot4_i32_i8 v166, v23, v157, v166
	;; [unrolled: 1-line block ×7, first 2 shown]
	v_cvt_f32_i32_e32 v166, v166
	s_waitcnt lgkmcnt(0)
	v_pk_mul_f16 v167, v152, v164
	v_fma_mix_f32 v166, v166, v167, v167 op_sel:[0,0,1] op_sel_hi:[0,1,1]
	v_add_f32_e32 v60, v60, v166
	v_dot4_i32_i8 v166, v29, v156, 0
	v_dot4_i32_i8 v166, v30, v160, v166
	;; [unrolled: 1-line block ×8, first 2 shown]
	v_cvt_f32_i32_e32 v166, v166
	v_pk_mul_f16 v167, v153, v164
	v_fma_mix_f32 v166, v166, v167, v167 op_sel:[0,0,1] op_sel_hi:[0,1,1]
	v_add_f32_e32 v59, v59, v166
	v_dot4_i32_i8 v166, v37, v156, 0
	v_dot4_i32_i8 v156, v45, v156, 0
	;; [unrolled: 1-line block ×11, first 2 shown]
	v_cvt_f32_i32_e32 v156, v156
	v_dot4_i32_i8 v166, v40, v161, v166
	v_dot4_i32_i8 v166, v41, v158, v166
	;; [unrolled: 1-line block ×3, first 2 shown]
	v_pk_mul_f16 v157, v155, v164
	v_dot4_i32_i8 v166, v43, v159, v166
	v_fma_mix_f32 v156, v156, v157, v157 op_sel:[0,0,1] op_sel_hi:[0,1,1]
	v_dot4_i32_i8 v166, v44, v163, v166
	v_add_f32_e32 v57, v57, v156
	ds_read_b128 v[156:159], v145 offset:7168
	ds_read_b128 v[160:163], v145 offset:7184
	v_cvt_f32_i32_e32 v166, v166
	v_pk_mul_f16 v167, v154, v164
	v_add_u32_e32 v145, 32, v145
	s_waitcnt lgkmcnt(1)
	v_dot4_i32_i8 v21, v21, v156, 0
	s_waitcnt lgkmcnt(0)
	v_dot4_i32_i8 v21, v22, v160, v21
	v_dot4_i32_i8 v21, v23, v157, v21
	;; [unrolled: 1-line block ×7, first 2 shown]
	v_cvt_f32_i32_e32 v21, v21
	v_pk_mul_f16 v22, v152, v165
	v_fma_mix_f32 v166, v166, v167, v167 op_sel:[0,0,1] op_sel_hi:[0,1,1]
	v_add_f32_e32 v58, v58, v166
	v_fma_mix_f32 v21, v21, v22, v22 op_sel:[0,0,1] op_sel_hi:[0,1,1]
	v_add_f32_e32 v56, v56, v21
	v_dot4_i32_i8 v21, v29, v156, 0
	v_dot4_i32_i8 v21, v30, v160, v21
	v_dot4_i32_i8 v21, v31, v157, v21
	v_dot4_i32_i8 v21, v32, v161, v21
	v_dot4_i32_i8 v21, v33, v158, v21
	v_dot4_i32_i8 v21, v34, v162, v21
	v_dot4_i32_i8 v21, v35, v159, v21
	v_dot4_i32_i8 v21, v36, v163, v21
	v_cvt_f32_i32_e32 v21, v21
	v_pk_mul_f16 v22, v153, v165
	v_fma_mix_f32 v21, v21, v22, v22 op_sel:[0,0,1] op_sel_hi:[0,1,1]
	v_add_f32_e32 v55, v55, v21
	v_dot4_i32_i8 v21, v37, v156, 0
	v_dot4_i32_i8 v21, v38, v160, v21
	v_dot4_i32_i8 v21, v39, v157, v21
	v_dot4_i32_i8 v21, v40, v161, v21
	v_dot4_i32_i8 v21, v41, v158, v21
	v_dot4_i32_i8 v21, v42, v162, v21
	v_dot4_i32_i8 v21, v43, v159, v21
	v_dot4_i32_i8 v21, v44, v163, v21
	v_cvt_f32_i32_e32 v21, v21
	v_pk_mul_f16 v22, v154, v165
	;; [unrolled: 12-line block ×3, first 2 shown]
	v_fma_mix_f32 v21, v21, v22, v22 op_sel:[0,0,1] op_sel_hi:[0,1,1]
	v_add_f32_e32 v53, v53, v21
	s_cbranch_scc1 .LBB124_8
; %bb.9:                                ;   in Loop: Header=BB124_6 Depth=1
	s_and_b32 s0, s8, -4
	s_cmp_eq_u32 s0, 4
	s_barrier
	s_cbranch_scc1 .LBB124_5
; %bb.10:                               ;   in Loop: Header=BB124_6 Depth=1
	v_add_u32_e32 v37, s9, v120
	v_add_u32_e32 v35, 4, v144
	;; [unrolled: 1-line block ×3, first 2 shown]
	v_mad_u64_u32 v[35:36], s[0:1], v35, 36, s[2:3]
	v_mad_i64_i32 v[21:22], s[0:1], v21, 36, v[19:20]
	v_add_u32_e32 v23, v37, v112
	v_mad_i64_i32 v[23:24], s[0:1], v23, 36, v[19:20]
	v_add_u32_e32 v25, v37, v113
	v_add_u32_e32 v27, v37, v114
	v_mad_i64_i32 v[25:26], s[0:1], v25, 36, v[19:20]
	v_mad_i64_i32 v[27:28], s[0:1], v27, 36, v[19:20]
	v_add_u32_e32 v29, v37, v115
	v_add_u32_e32 v31, v37, v116
	v_add_u32_e32 v33, v37, v117
	v_add_u32_e32 v37, v37, v118
	v_mad_i64_i32 v[29:30], s[0:1], v29, 36, v[19:20]
	v_mad_i64_i32 v[31:32], s[0:1], v31, 36, v[19:20]
	v_mad_i64_i32 v[33:34], s[0:1], v33, 36, v[19:20]
	v_mad_i64_i32 v[37:38], s[0:1], v37, 36, v[19:20]
	global_load_dword v35, v[35:36], off
	s_nop 0
	global_load_dword v21, v[21:22], off offset:4
	s_nop 0
	global_load_dword v22, v[23:24], off offset:4
	;; [unrolled: 2-line block ×3, first 2 shown]
	global_load_dword v24, v[27:28], off offset:4
	s_nop 0
	global_load_dword v25, v[29:30], off offset:4
                                        ; kill: killed $vgpr27_vgpr28
                                        ; kill: killed $vgpr29_vgpr30
	global_load_dword v26, v[31:32], off offset:4
	global_load_dword v27, v[33:34], off offset:4
	;; [unrolled: 1-line block ×3, first 2 shown]
	s_mov_b32 s0, 12
	v_mov_b32_e32 v144, v125
	v_mov_b32_e32 v145, v126
	v_mov_b32_e32 v146, v131
	v_mov_b32_e32 v147, v130
	v_mov_b32_e32 v148, v129
	v_mov_b32_e32 v149, v128
	v_mov_b32_e32 v150, v127
	s_waitcnt vmcnt(8)
	ds_write_b32 v110, v35
	s_waitcnt vmcnt(7)
	ds_write_b32 v136, v21
	s_waitcnt vmcnt(6)
	ds_write_b32 v137, v22
	s_waitcnt vmcnt(5)
	ds_write_b32 v138, v23
	s_waitcnt vmcnt(4)
	ds_write_b32 v139, v24
	s_waitcnt vmcnt(3)
	ds_write_b32 v140, v25
	s_waitcnt vmcnt(2)
	ds_write_b32 v141, v26
	s_waitcnt vmcnt(1)
	ds_write_b32 v142, v27
	s_waitcnt vmcnt(0)
	ds_write_b32 v143, v28
	s_waitcnt lgkmcnt(0)
	s_barrier
.LBB124_11:                             ;   Parent Loop BB124_6 Depth=1
                                        ; =>  This Inner Loop Header: Depth=2
	ds_read_b128 v[155:158], v145
	ds_read_b128 v[159:162], v145 offset:16
	ds_read2_b32 v[163:164], v144 offset1:32
	ds_read_b32 v151, v147
	ds_read2_b32 v[21:22], v146 offset1:1
	s_add_i32 s0, s0, 4
	v_add_u32_e32 v147, 4, v147
	s_cmp_lt_u32 s0, 28
	s_waitcnt lgkmcnt(1)
	v_pk_mul_f16 v30, v163, v151
	s_waitcnt lgkmcnt(0)
	v_dot4_i32_i8 v23, v21, v155, 0
	v_dot4_i32_i8 v25, v22, v159, v23
	ds_read2_b32 v[23:24], v146 offset0:2 offset1:3
	v_pk_mul_f16 v165, v151, v164
	s_waitcnt lgkmcnt(0)
	v_dot4_i32_i8 v25, v23, v156, v25
	v_dot4_i32_i8 v27, v24, v160, v25
	ds_read2_b32 v[25:26], v146 offset0:4 offset1:5
	s_waitcnt lgkmcnt(0)
	v_dot4_i32_i8 v27, v25, v157, v27
	v_dot4_i32_i8 v29, v26, v161, v27
	ds_read2_b32 v[27:28], v146 offset0:6 offset1:7
	s_waitcnt lgkmcnt(0)
	v_dot4_i32_i8 v29, v27, v158, v29
	v_dot4_i32_i8 v29, v28, v162, v29
	v_cvt_f32_i32_e32 v29, v29
	v_fma_mix_f32 v29, v30, v29, v30 op_sel:[0,0,1] op_sel_hi:[1,0,1]
	v_add_f32_e32 v74, v74, v29
	v_add_u32_e32 v29, 0x2080, v146
	ds_read_b32 v152, v148
	ds_read2_b32 v[29:30], v29 offset1:1
	v_add_u32_e32 v148, 4, v148
	s_waitcnt lgkmcnt(1)
	v_pk_mul_f16 v38, v163, v152
	s_waitcnt lgkmcnt(0)
	v_dot4_i32_i8 v31, v29, v155, 0
	v_dot4_i32_i8 v33, v30, v159, v31
	v_add_u32_e32 v31, 0x2088, v146
	ds_read2_b32 v[31:32], v31 offset1:1
	s_waitcnt lgkmcnt(0)
	v_dot4_i32_i8 v33, v31, v156, v33
	v_dot4_i32_i8 v35, v32, v160, v33
	v_add_u32_e32 v33, 0x2090, v146
	ds_read2_b32 v[33:34], v33 offset1:1
	;; [unrolled: 5-line block ×3, first 2 shown]
	s_waitcnt lgkmcnt(0)
	v_dot4_i32_i8 v37, v35, v158, v37
	v_dot4_i32_i8 v37, v36, v162, v37
	v_cvt_f32_i32_e32 v37, v37
	v_fma_mix_f32 v37, v38, v37, v38 op_sel:[0,0,1] op_sel_hi:[1,0,1]
	v_add_f32_e32 v109, v109, v37
	v_add_u32_e32 v37, 0x4100, v146
	ds_read_b32 v153, v149
	ds_read2_b32 v[37:38], v37 offset1:1
	v_add_u32_e32 v149, 4, v149
	s_waitcnt lgkmcnt(1)
	v_pk_mul_f16 v46, v163, v153
	s_waitcnt lgkmcnt(0)
	v_dot4_i32_i8 v39, v37, v155, 0
	v_dot4_i32_i8 v41, v38, v159, v39
	v_add_u32_e32 v39, 0x4108, v146
	ds_read2_b32 v[39:40], v39 offset1:1
	s_waitcnt lgkmcnt(0)
	v_dot4_i32_i8 v41, v39, v156, v41
	v_dot4_i32_i8 v43, v40, v160, v41
	v_add_u32_e32 v41, 0x4110, v146
	ds_read2_b32 v[41:42], v41 offset1:1
	;; [unrolled: 5-line block ×3, first 2 shown]
	s_waitcnt lgkmcnt(0)
	v_dot4_i32_i8 v45, v43, v158, v45
	v_dot4_i32_i8 v45, v44, v162, v45
	v_cvt_f32_i32_e32 v45, v45
	v_fma_mix_f32 v45, v46, v45, v46 op_sel:[0,0,1] op_sel_hi:[1,0,1]
	v_add_f32_e32 v107, v107, v45
	v_add_u32_e32 v45, 0x6180, v146
	ds_read_b32 v154, v150
	ds_read2_b32 v[45:46], v45 offset1:1
	v_add_u32_e32 v150, 4, v150
	s_waitcnt lgkmcnt(0)
	v_dot4_i32_i8 v47, v45, v155, 0
	v_dot4_i32_i8 v49, v46, v159, v47
	v_add_u32_e32 v47, 0x6188, v146
	ds_read2_b32 v[47:48], v47 offset1:1
	s_waitcnt lgkmcnt(0)
	v_dot4_i32_i8 v49, v47, v156, v49
	v_dot4_i32_i8 v51, v48, v160, v49
	v_add_u32_e32 v49, 0x6190, v146
	ds_read2_b32 v[49:50], v49 offset1:1
	v_pk_mul_f16 v156, v163, v154
	s_waitcnt lgkmcnt(0)
	v_dot4_i32_i8 v51, v49, v157, v51
	v_dot4_i32_i8 v155, v50, v161, v51
	v_add_u32_e32 v51, 0x6198, v146
	ds_read2_b32 v[51:52], v51 offset1:1
	v_add_u32_e32 v146, 32, v146
	s_waitcnt lgkmcnt(0)
	v_dot4_i32_i8 v155, v51, v158, v155
	v_dot4_i32_i8 v155, v52, v162, v155
	v_cvt_f32_i32_e32 v155, v155
	v_fma_mix_f32 v155, v156, v155, v156 op_sel:[0,0,1] op_sel_hi:[1,0,1]
	v_add_f32_e32 v104, v104, v155
	ds_read_b128 v[155:158], v145 offset:1024
	ds_read_b128 v[159:162], v145 offset:1040
	s_waitcnt lgkmcnt(1)
	v_dot4_i32_i8 v163, v21, v155, 0
	s_waitcnt lgkmcnt(0)
	v_dot4_i32_i8 v163, v22, v159, v163
	v_dot4_i32_i8 v163, v23, v156, v163
	;; [unrolled: 1-line block ×7, first 2 shown]
	v_cvt_f32_i32_e32 v163, v163
	v_fma_mix_f32 v163, v163, v165, v165 op_sel:[0,0,1] op_sel_hi:[0,1,1]
	v_add_f32_e32 v96, v96, v163
	v_dot4_i32_i8 v163, v29, v155, 0
	v_dot4_i32_i8 v163, v30, v159, v163
	;; [unrolled: 1-line block ×8, first 2 shown]
	v_cvt_f32_i32_e32 v163, v163
	v_pk_mul_f16 v165, v152, v164
	v_fma_mix_f32 v163, v163, v165, v165 op_sel:[0,0,1] op_sel_hi:[0,1,1]
	v_add_f32_e32 v91, v91, v163
	v_dot4_i32_i8 v163, v37, v155, 0
	v_dot4_i32_i8 v155, v45, v155, 0
	;; [unrolled: 1-line block ×16, first 2 shown]
	v_cvt_f32_i32_e32 v163, v163
	v_cvt_f32_i32_e32 v155, v155
	v_pk_mul_f16 v165, v153, v164
	v_pk_mul_f16 v156, v154, v164
	v_fma_mix_f32 v163, v163, v165, v165 op_sel:[0,0,1] op_sel_hi:[0,1,1]
	v_fma_mix_f32 v155, v155, v156, v156 op_sel:[0,0,1] op_sel_hi:[0,1,1]
	v_add_f32_e32 v86, v86, v163
	v_add_f32_e32 v82, v82, v155
	ds_read_b128 v[155:158], v145 offset:2048
	ds_read_b128 v[159:162], v145 offset:2064
	ds_read2_b32 v[163:164], v144 offset0:64 offset1:96
	s_waitcnt lgkmcnt(2)
	v_dot4_i32_i8 v165, v21, v155, 0
	s_waitcnt lgkmcnt(1)
	v_dot4_i32_i8 v165, v22, v159, v165
	v_dot4_i32_i8 v165, v23, v156, v165
	v_dot4_i32_i8 v165, v24, v160, v165
	v_dot4_i32_i8 v165, v25, v157, v165
	v_dot4_i32_i8 v165, v26, v161, v165
	v_dot4_i32_i8 v165, v27, v158, v165
	v_dot4_i32_i8 v165, v28, v162, v165
	v_cvt_f32_i32_e32 v165, v165
	s_waitcnt lgkmcnt(0)
	v_pk_mul_f16 v166, v151, v163
	v_fma_mix_f32 v165, v165, v166, v166 op_sel:[0,0,1] op_sel_hi:[0,1,1]
	v_add_f32_e32 v78, v78, v165
	v_dot4_i32_i8 v165, v29, v155, 0
	v_dot4_i32_i8 v165, v30, v159, v165
	v_dot4_i32_i8 v165, v31, v156, v165
	v_dot4_i32_i8 v165, v32, v160, v165
	v_dot4_i32_i8 v165, v33, v157, v165
	v_dot4_i32_i8 v165, v34, v161, v165
	v_dot4_i32_i8 v165, v35, v158, v165
	v_dot4_i32_i8 v165, v36, v162, v165
	v_cvt_f32_i32_e32 v165, v165
	v_pk_mul_f16 v166, v152, v163
	v_fma_mix_f32 v165, v165, v166, v166 op_sel:[0,0,1] op_sel_hi:[0,1,1]
	v_add_f32_e32 v77, v77, v165
	v_dot4_i32_i8 v165, v37, v155, 0
	v_dot4_i32_i8 v155, v45, v155, 0
	;; [unrolled: 1-line block ×11, first 2 shown]
	v_cvt_f32_i32_e32 v155, v155
	v_dot4_i32_i8 v165, v40, v160, v165
	v_dot4_i32_i8 v165, v41, v157, v165
	;; [unrolled: 1-line block ×3, first 2 shown]
	v_pk_mul_f16 v156, v154, v163
	v_dot4_i32_i8 v165, v43, v158, v165
	v_fma_mix_f32 v155, v155, v156, v156 op_sel:[0,0,1] op_sel_hi:[0,1,1]
	v_dot4_i32_i8 v165, v44, v162, v165
	v_add_f32_e32 v75, v75, v155
	ds_read_b128 v[155:158], v145 offset:3072
	ds_read_b128 v[159:162], v145 offset:3088
	v_pk_mul_f16 v166, v153, v163
	v_cvt_f32_i32_e32 v165, v165
	s_waitcnt lgkmcnt(1)
	v_dot4_i32_i8 v163, v21, v155, 0
	s_waitcnt lgkmcnt(0)
	v_dot4_i32_i8 v163, v22, v159, v163
	v_dot4_i32_i8 v163, v23, v156, v163
	;; [unrolled: 1-line block ×7, first 2 shown]
	v_cvt_f32_i32_e32 v163, v163
	v_fma_mix_f32 v165, v165, v166, v166 op_sel:[0,0,1] op_sel_hi:[0,1,1]
	v_add_f32_e32 v76, v76, v165
	v_pk_mul_f16 v165, v151, v164
	v_fma_mix_f32 v163, v163, v165, v165 op_sel:[0,0,1] op_sel_hi:[0,1,1]
	v_add_f32_e32 v73, v73, v163
	v_dot4_i32_i8 v163, v29, v155, 0
	v_dot4_i32_i8 v163, v30, v159, v163
	;; [unrolled: 1-line block ×8, first 2 shown]
	v_cvt_f32_i32_e32 v163, v163
	v_pk_mul_f16 v165, v152, v164
	v_fma_mix_f32 v163, v163, v165, v165 op_sel:[0,0,1] op_sel_hi:[0,1,1]
	v_add_f32_e32 v71, v71, v163
	v_dot4_i32_i8 v163, v37, v155, 0
	v_dot4_i32_i8 v155, v45, v155, 0
	;; [unrolled: 1-line block ×16, first 2 shown]
	v_cvt_f32_i32_e32 v163, v163
	v_cvt_f32_i32_e32 v155, v155
	v_pk_mul_f16 v165, v153, v164
	v_pk_mul_f16 v156, v154, v164
	v_fma_mix_f32 v163, v163, v165, v165 op_sel:[0,0,1] op_sel_hi:[0,1,1]
	v_fma_mix_f32 v155, v155, v156, v156 op_sel:[0,0,1] op_sel_hi:[0,1,1]
	v_add_f32_e32 v70, v70, v163
	v_add_f32_e32 v69, v69, v155
	ds_read_b128 v[155:158], v145 offset:4096
	ds_read_b128 v[159:162], v145 offset:4112
	ds_read2_b32 v[163:164], v144 offset0:128 offset1:160
	s_waitcnt lgkmcnt(2)
	v_dot4_i32_i8 v165, v21, v155, 0
	s_waitcnt lgkmcnt(1)
	v_dot4_i32_i8 v165, v22, v159, v165
	v_dot4_i32_i8 v165, v23, v156, v165
	;; [unrolled: 1-line block ×7, first 2 shown]
	v_cvt_f32_i32_e32 v165, v165
	s_waitcnt lgkmcnt(0)
	v_pk_mul_f16 v166, v151, v163
	v_fma_mix_f32 v165, v165, v166, v166 op_sel:[0,0,1] op_sel_hi:[0,1,1]
	v_add_f32_e32 v68, v68, v165
	v_dot4_i32_i8 v165, v29, v155, 0
	v_dot4_i32_i8 v165, v30, v159, v165
	v_dot4_i32_i8 v165, v31, v156, v165
	v_dot4_i32_i8 v165, v32, v160, v165
	v_dot4_i32_i8 v165, v33, v157, v165
	v_dot4_i32_i8 v165, v34, v161, v165
	v_dot4_i32_i8 v165, v35, v158, v165
	v_dot4_i32_i8 v165, v36, v162, v165
	v_cvt_f32_i32_e32 v165, v165
	v_pk_mul_f16 v166, v152, v163
	v_fma_mix_f32 v165, v165, v166, v166 op_sel:[0,0,1] op_sel_hi:[0,1,1]
	v_add_f32_e32 v67, v67, v165
	v_dot4_i32_i8 v165, v37, v155, 0
	v_dot4_i32_i8 v155, v45, v155, 0
	;; [unrolled: 1-line block ×11, first 2 shown]
	v_cvt_f32_i32_e32 v155, v155
	v_dot4_i32_i8 v165, v40, v160, v165
	v_dot4_i32_i8 v165, v41, v157, v165
	;; [unrolled: 1-line block ×3, first 2 shown]
	v_pk_mul_f16 v156, v154, v163
	v_dot4_i32_i8 v165, v43, v158, v165
	v_fma_mix_f32 v155, v155, v156, v156 op_sel:[0,0,1] op_sel_hi:[0,1,1]
	v_dot4_i32_i8 v165, v44, v162, v165
	v_add_f32_e32 v65, v65, v155
	ds_read_b128 v[155:158], v145 offset:5120
	ds_read_b128 v[159:162], v145 offset:5136
	v_pk_mul_f16 v166, v153, v163
	v_cvt_f32_i32_e32 v165, v165
	s_waitcnt lgkmcnt(1)
	v_dot4_i32_i8 v163, v21, v155, 0
	s_waitcnt lgkmcnt(0)
	v_dot4_i32_i8 v163, v22, v159, v163
	v_dot4_i32_i8 v163, v23, v156, v163
	;; [unrolled: 1-line block ×7, first 2 shown]
	v_cvt_f32_i32_e32 v163, v163
	v_fma_mix_f32 v165, v165, v166, v166 op_sel:[0,0,1] op_sel_hi:[0,1,1]
	v_add_f32_e32 v66, v66, v165
	v_pk_mul_f16 v165, v151, v164
	v_fma_mix_f32 v163, v163, v165, v165 op_sel:[0,0,1] op_sel_hi:[0,1,1]
	v_add_f32_e32 v64, v64, v163
	v_dot4_i32_i8 v163, v29, v155, 0
	v_dot4_i32_i8 v163, v30, v159, v163
	;; [unrolled: 1-line block ×8, first 2 shown]
	v_cvt_f32_i32_e32 v163, v163
	v_pk_mul_f16 v165, v152, v164
	v_fma_mix_f32 v163, v163, v165, v165 op_sel:[0,0,1] op_sel_hi:[0,1,1]
	v_add_f32_e32 v63, v63, v163
	v_dot4_i32_i8 v163, v37, v155, 0
	v_dot4_i32_i8 v155, v45, v155, 0
	v_dot4_i32_i8 v163, v38, v159, v163
	v_dot4_i32_i8 v155, v46, v159, v155
	v_dot4_i32_i8 v163, v39, v156, v163
	v_dot4_i32_i8 v155, v47, v156, v155
	v_dot4_i32_i8 v163, v40, v160, v163
	v_dot4_i32_i8 v155, v48, v160, v155
	v_dot4_i32_i8 v163, v41, v157, v163
	v_dot4_i32_i8 v155, v49, v157, v155
	v_dot4_i32_i8 v163, v42, v161, v163
	v_dot4_i32_i8 v155, v50, v161, v155
	v_dot4_i32_i8 v163, v43, v158, v163
	v_dot4_i32_i8 v155, v51, v158, v155
	v_dot4_i32_i8 v163, v44, v162, v163
	v_dot4_i32_i8 v155, v52, v162, v155
	v_cvt_f32_i32_e32 v163, v163
	v_cvt_f32_i32_e32 v155, v155
	v_pk_mul_f16 v165, v153, v164
	v_pk_mul_f16 v156, v154, v164
	v_fma_mix_f32 v163, v163, v165, v165 op_sel:[0,0,1] op_sel_hi:[0,1,1]
	v_fma_mix_f32 v155, v155, v156, v156 op_sel:[0,0,1] op_sel_hi:[0,1,1]
	v_add_f32_e32 v62, v62, v163
	v_add_f32_e32 v61, v61, v155
	ds_read_b128 v[155:158], v145 offset:6144
	ds_read_b128 v[159:162], v145 offset:6160
	ds_read2_b32 v[163:164], v144 offset0:192 offset1:224
	v_add_u32_e32 v144, 4, v144
	s_waitcnt lgkmcnt(2)
	v_dot4_i32_i8 v165, v21, v155, 0
	s_waitcnt lgkmcnt(1)
	v_dot4_i32_i8 v165, v22, v159, v165
	v_dot4_i32_i8 v165, v23, v156, v165
	;; [unrolled: 1-line block ×7, first 2 shown]
	v_cvt_f32_i32_e32 v165, v165
	s_waitcnt lgkmcnt(0)
	v_pk_mul_f16 v166, v151, v163
	v_fma_mix_f32 v165, v165, v166, v166 op_sel:[0,0,1] op_sel_hi:[0,1,1]
	v_add_f32_e32 v60, v60, v165
	v_dot4_i32_i8 v165, v29, v155, 0
	v_dot4_i32_i8 v165, v30, v159, v165
	;; [unrolled: 1-line block ×8, first 2 shown]
	v_cvt_f32_i32_e32 v165, v165
	v_pk_mul_f16 v166, v152, v163
	v_fma_mix_f32 v165, v165, v166, v166 op_sel:[0,0,1] op_sel_hi:[0,1,1]
	v_add_f32_e32 v59, v59, v165
	v_dot4_i32_i8 v165, v37, v155, 0
	v_dot4_i32_i8 v155, v45, v155, 0
	;; [unrolled: 1-line block ×11, first 2 shown]
	v_cvt_f32_i32_e32 v155, v155
	v_dot4_i32_i8 v165, v40, v160, v165
	v_dot4_i32_i8 v165, v41, v157, v165
	;; [unrolled: 1-line block ×3, first 2 shown]
	v_pk_mul_f16 v156, v154, v163
	v_dot4_i32_i8 v165, v43, v158, v165
	v_fma_mix_f32 v155, v155, v156, v156 op_sel:[0,0,1] op_sel_hi:[0,1,1]
	v_dot4_i32_i8 v165, v44, v162, v165
	v_add_f32_e32 v57, v57, v155
	ds_read_b128 v[155:158], v145 offset:7168
	ds_read_b128 v[159:162], v145 offset:7184
	v_cvt_f32_i32_e32 v165, v165
	v_pk_mul_f16 v166, v153, v163
	v_add_u32_e32 v145, 32, v145
	s_waitcnt lgkmcnt(1)
	v_dot4_i32_i8 v21, v21, v155, 0
	s_waitcnt lgkmcnt(0)
	v_dot4_i32_i8 v21, v22, v159, v21
	v_dot4_i32_i8 v21, v23, v156, v21
	;; [unrolled: 1-line block ×7, first 2 shown]
	v_cvt_f32_i32_e32 v21, v21
	v_pk_mul_f16 v22, v151, v164
	v_fma_mix_f32 v165, v165, v166, v166 op_sel:[0,0,1] op_sel_hi:[0,1,1]
	v_add_f32_e32 v58, v58, v165
	v_fma_mix_f32 v21, v21, v22, v22 op_sel:[0,0,1] op_sel_hi:[0,1,1]
	v_add_f32_e32 v56, v56, v21
	v_dot4_i32_i8 v21, v29, v155, 0
	v_dot4_i32_i8 v21, v30, v159, v21
	v_dot4_i32_i8 v21, v31, v156, v21
	v_dot4_i32_i8 v21, v32, v160, v21
	v_dot4_i32_i8 v21, v33, v157, v21
	v_dot4_i32_i8 v21, v34, v161, v21
	v_dot4_i32_i8 v21, v35, v158, v21
	v_dot4_i32_i8 v21, v36, v162, v21
	v_cvt_f32_i32_e32 v21, v21
	v_pk_mul_f16 v22, v152, v164
	v_fma_mix_f32 v21, v21, v22, v22 op_sel:[0,0,1] op_sel_hi:[0,1,1]
	v_add_f32_e32 v55, v55, v21
	v_dot4_i32_i8 v21, v37, v155, 0
	v_dot4_i32_i8 v21, v38, v159, v21
	v_dot4_i32_i8 v21, v39, v156, v21
	v_dot4_i32_i8 v21, v40, v160, v21
	v_dot4_i32_i8 v21, v41, v157, v21
	v_dot4_i32_i8 v21, v42, v161, v21
	v_dot4_i32_i8 v21, v43, v158, v21
	v_dot4_i32_i8 v21, v44, v162, v21
	v_cvt_f32_i32_e32 v21, v21
	v_pk_mul_f16 v22, v153, v164
	;; [unrolled: 12-line block ×3, first 2 shown]
	v_fma_mix_f32 v21, v21, v22, v22 op_sel:[0,0,1] op_sel_hi:[0,1,1]
	v_add_f32_e32 v53, v53, v21
	s_cbranch_scc1 .LBB124_11
; %bb.12:                               ;   in Loop: Header=BB124_6 Depth=1
	s_barrier
	s_branch .LBB124_5
.LBB124_13:
	v_mov_b32_e32 v2, v72
.LBB124_14:
	v_cmp_gt_u32_e32 vcc, s10, v2
	s_and_saveexec_b64 s[0:1], vcc
	s_cbranch_execz .LBB124_65
; %bb.15:
	v_mul_lo_u32 v5, v2, s14
	v_add_u32_e32 v0, s6, v0
	v_cmp_gt_u32_e32 vcc, s14, v0
	s_and_saveexec_b64 s[2:3], vcc
	s_cbranch_execz .LBB124_17
; %bb.16:
	v_add_u32_e32 v2, v0, v5
	v_mov_b32_e32 v3, 0
	v_lshlrev_b64 v[2:3], 2, v[2:3]
	s_waitcnt lgkmcnt(0)
	v_mov_b32_e32 v4, s13
	v_add_co_u32_e64 v2, s[0:1], s12, v2
	v_addc_co_u32_e64 v3, s[0:1], v4, v3, s[0:1]
	global_store_dword v[2:3], v74, off
.LBB124_17:
	s_or_b64 exec, exec, s[2:3]
	v_add_u32_e32 v2, 32, v0
	v_cmp_gt_u32_e64 s[0:1], s14, v2
	s_and_saveexec_b64 s[4:5], s[0:1]
	s_cbranch_execz .LBB124_19
; %bb.18:
	v_add_u32_e32 v3, v2, v5
	v_mov_b32_e32 v4, 0
	v_lshlrev_b64 v[3:4], 2, v[3:4]
	s_waitcnt lgkmcnt(0)
	v_mov_b32_e32 v6, s13
	v_add_co_u32_e64 v3, s[2:3], s12, v3
	v_addc_co_u32_e64 v4, s[2:3], v6, v4, s[2:3]
	global_store_dword v[3:4], v109, off
.LBB124_19:
	s_or_b64 exec, exec, s[4:5]
	v_add_u32_e32 v3, 64, v0
	v_cmp_gt_u32_e64 s[2:3], s14, v3
	s_and_saveexec_b64 s[6:7], s[2:3]
	;; [unrolled: 15-line block ×3, first 2 shown]
	s_cbranch_execz .LBB124_23
; %bb.22:
	v_add_u32_e32 v5, v4, v5
	v_mov_b32_e32 v6, 0
	v_lshlrev_b64 v[5:6], 2, v[5:6]
	s_waitcnt lgkmcnt(0)
	v_mov_b32_e32 v7, s13
	v_add_co_u32_e64 v5, s[6:7], s12, v5
	v_addc_co_u32_e64 v6, s[6:7], v7, v6, s[6:7]
	global_store_dword v[5:6], v104, off
.LBB124_23:
	s_or_b64 exec, exec, s[8:9]
	v_add3_u32 v5, v1, s15, 8
	v_cmp_gt_u32_e64 s[6:7], s10, v5
	s_and_b64 exec, exec, s[6:7]
	s_cbranch_execz .LBB124_65
; %bb.24:
	v_mul_lo_u32 v5, v5, s14
	s_and_saveexec_b64 s[8:9], vcc
	s_cbranch_execnz .LBB124_66
; %bb.25:
	s_or_b64 exec, exec, s[8:9]
	s_and_saveexec_b64 s[8:9], s[0:1]
	s_cbranch_execnz .LBB124_67
.LBB124_26:
	s_or_b64 exec, exec, s[8:9]
	s_and_saveexec_b64 s[8:9], s[2:3]
	s_cbranch_execnz .LBB124_68
.LBB124_27:
	s_or_b64 exec, exec, s[8:9]
	s_and_saveexec_b64 s[8:9], s[4:5]
	s_cbranch_execz .LBB124_29
.LBB124_28:
	v_add_u32_e32 v5, v5, v4
	v_mov_b32_e32 v6, 0
	v_lshlrev_b64 v[5:6], 2, v[5:6]
	s_waitcnt lgkmcnt(0)
	v_mov_b32_e32 v7, s13
	v_add_co_u32_e64 v5, s[6:7], s12, v5
	v_addc_co_u32_e64 v6, s[6:7], v7, v6, s[6:7]
	global_store_dword v[5:6], v82, off
.LBB124_29:
	s_or_b64 exec, exec, s[8:9]
	v_add3_u32 v5, v1, s15, 16
	v_cmp_gt_u32_e64 s[6:7], s10, v5
	s_and_b64 exec, exec, s[6:7]
	s_cbranch_execz .LBB124_65
; %bb.30:
	v_mul_lo_u32 v5, v5, s14
	s_and_saveexec_b64 s[8:9], vcc
	s_cbranch_execnz .LBB124_69
; %bb.31:
	s_or_b64 exec, exec, s[8:9]
	s_and_saveexec_b64 s[8:9], s[0:1]
	s_cbranch_execnz .LBB124_70
.LBB124_32:
	s_or_b64 exec, exec, s[8:9]
	s_and_saveexec_b64 s[8:9], s[2:3]
	s_cbranch_execnz .LBB124_71
.LBB124_33:
	s_or_b64 exec, exec, s[8:9]
	s_and_saveexec_b64 s[8:9], s[4:5]
	s_cbranch_execz .LBB124_35
.LBB124_34:
	v_add_u32_e32 v5, v5, v4
	v_mov_b32_e32 v6, 0
	v_lshlrev_b64 v[5:6], 2, v[5:6]
	s_waitcnt lgkmcnt(0)
	v_mov_b32_e32 v7, s13
	v_add_co_u32_e64 v5, s[6:7], s12, v5
	v_addc_co_u32_e64 v6, s[6:7], v7, v6, s[6:7]
	global_store_dword v[5:6], v75, off
.LBB124_35:
	s_or_b64 exec, exec, s[8:9]
	v_add3_u32 v5, v1, s15, 24
	v_cmp_gt_u32_e64 s[6:7], s10, v5
	s_and_b64 exec, exec, s[6:7]
	s_cbranch_execz .LBB124_65
; %bb.36:
	v_mul_lo_u32 v5, v5, s14
	s_and_saveexec_b64 s[8:9], vcc
	s_cbranch_execnz .LBB124_72
; %bb.37:
	s_or_b64 exec, exec, s[8:9]
	s_and_saveexec_b64 s[8:9], s[0:1]
	s_cbranch_execnz .LBB124_73
.LBB124_38:
	s_or_b64 exec, exec, s[8:9]
	s_and_saveexec_b64 s[8:9], s[2:3]
	s_cbranch_execnz .LBB124_74
.LBB124_39:
	s_or_b64 exec, exec, s[8:9]
	s_and_saveexec_b64 s[8:9], s[4:5]
	s_cbranch_execz .LBB124_41
.LBB124_40:
	v_add_u32_e32 v5, v5, v4
	v_mov_b32_e32 v6, 0
	v_lshlrev_b64 v[5:6], 2, v[5:6]
	s_waitcnt lgkmcnt(0)
	v_mov_b32_e32 v7, s13
	v_add_co_u32_e64 v5, s[6:7], s12, v5
	v_addc_co_u32_e64 v6, s[6:7], v7, v6, s[6:7]
	global_store_dword v[5:6], v69, off
.LBB124_41:
	s_or_b64 exec, exec, s[8:9]
	v_add3_u32 v5, v1, s15, 32
	v_cmp_gt_u32_e64 s[6:7], s10, v5
	s_and_b64 exec, exec, s[6:7]
	s_cbranch_execz .LBB124_65
; %bb.42:
	v_mul_lo_u32 v5, v5, s14
	s_and_saveexec_b64 s[8:9], vcc
	s_cbranch_execnz .LBB124_75
; %bb.43:
	s_or_b64 exec, exec, s[8:9]
	s_and_saveexec_b64 s[8:9], s[0:1]
	s_cbranch_execnz .LBB124_76
.LBB124_44:
	s_or_b64 exec, exec, s[8:9]
	s_and_saveexec_b64 s[8:9], s[2:3]
	s_cbranch_execnz .LBB124_77
.LBB124_45:
	s_or_b64 exec, exec, s[8:9]
	s_and_saveexec_b64 s[8:9], s[4:5]
	s_cbranch_execz .LBB124_47
.LBB124_46:
	v_add_u32_e32 v5, v5, v4
	v_mov_b32_e32 v6, 0
	v_lshlrev_b64 v[5:6], 2, v[5:6]
	s_waitcnt lgkmcnt(0)
	v_mov_b32_e32 v7, s13
	v_add_co_u32_e64 v5, s[6:7], s12, v5
	v_addc_co_u32_e64 v6, s[6:7], v7, v6, s[6:7]
	global_store_dword v[5:6], v65, off
.LBB124_47:
	s_or_b64 exec, exec, s[8:9]
	v_add3_u32 v5, v1, s15, 40
	v_cmp_gt_u32_e64 s[6:7], s10, v5
	s_and_b64 exec, exec, s[6:7]
	s_cbranch_execz .LBB124_65
; %bb.48:
	v_mul_lo_u32 v5, v5, s14
	s_and_saveexec_b64 s[8:9], vcc
	s_cbranch_execnz .LBB124_78
; %bb.49:
	s_or_b64 exec, exec, s[8:9]
	s_and_saveexec_b64 s[8:9], s[0:1]
	s_cbranch_execnz .LBB124_79
.LBB124_50:
	s_or_b64 exec, exec, s[8:9]
	s_and_saveexec_b64 s[8:9], s[2:3]
	s_cbranch_execnz .LBB124_80
.LBB124_51:
	s_or_b64 exec, exec, s[8:9]
	s_and_saveexec_b64 s[8:9], s[4:5]
	s_cbranch_execz .LBB124_53
.LBB124_52:
	v_add_u32_e32 v5, v5, v4
	v_mov_b32_e32 v6, 0
	v_lshlrev_b64 v[5:6], 2, v[5:6]
	s_waitcnt lgkmcnt(0)
	v_mov_b32_e32 v7, s13
	v_add_co_u32_e64 v5, s[6:7], s12, v5
	v_addc_co_u32_e64 v6, s[6:7], v7, v6, s[6:7]
	global_store_dword v[5:6], v61, off
.LBB124_53:
	s_or_b64 exec, exec, s[8:9]
	v_add3_u32 v5, v1, s15, 48
	v_cmp_gt_u32_e64 s[6:7], s10, v5
	s_and_b64 exec, exec, s[6:7]
	s_cbranch_execz .LBB124_65
; %bb.54:
	v_mul_lo_u32 v5, v5, s14
	s_and_saveexec_b64 s[8:9], vcc
	s_cbranch_execnz .LBB124_81
; %bb.55:
	s_or_b64 exec, exec, s[8:9]
	s_and_saveexec_b64 s[8:9], s[0:1]
	s_cbranch_execnz .LBB124_82
.LBB124_56:
	s_or_b64 exec, exec, s[8:9]
	s_and_saveexec_b64 s[8:9], s[2:3]
	s_cbranch_execnz .LBB124_83
.LBB124_57:
	s_or_b64 exec, exec, s[8:9]
	s_and_saveexec_b64 s[8:9], s[4:5]
	s_cbranch_execz .LBB124_59
.LBB124_58:
	v_add_u32_e32 v5, v5, v4
	v_mov_b32_e32 v6, 0
	v_lshlrev_b64 v[5:6], 2, v[5:6]
	s_waitcnt lgkmcnt(0)
	v_mov_b32_e32 v7, s13
	v_add_co_u32_e64 v5, s[6:7], s12, v5
	v_addc_co_u32_e64 v6, s[6:7], v7, v6, s[6:7]
	global_store_dword v[5:6], v57, off
.LBB124_59:
	s_or_b64 exec, exec, s[8:9]
	v_add3_u32 v1, v1, s15, 56
	v_cmp_gt_u32_e64 s[6:7], s10, v1
	s_and_b64 exec, exec, s[6:7]
	s_cbranch_execz .LBB124_65
; %bb.60:
	v_mul_lo_u32 v1, v1, s14
	s_and_saveexec_b64 s[6:7], vcc
	s_cbranch_execnz .LBB124_84
; %bb.61:
	s_or_b64 exec, exec, s[6:7]
	s_and_saveexec_b64 s[6:7], s[0:1]
	s_cbranch_execnz .LBB124_85
.LBB124_62:
	s_or_b64 exec, exec, s[6:7]
	s_and_saveexec_b64 s[0:1], s[2:3]
	s_cbranch_execnz .LBB124_86
.LBB124_63:
	s_or_b64 exec, exec, s[0:1]
	s_and_b64 exec, exec, s[4:5]
	s_cbranch_execz .LBB124_65
.LBB124_64:
	v_add_u32_e32 v0, v1, v4
	v_mov_b32_e32 v1, 0
	v_lshlrev_b64 v[0:1], 2, v[0:1]
	s_waitcnt lgkmcnt(0)
	v_mov_b32_e32 v2, s13
	v_add_co_u32_e32 v0, vcc, s12, v0
	v_addc_co_u32_e32 v1, vcc, v2, v1, vcc
	global_store_dword v[0:1], v53, off
.LBB124_65:
	s_endpgm
.LBB124_66:
	v_add_u32_e32 v6, v5, v0
	v_mov_b32_e32 v7, 0
	v_lshlrev_b64 v[6:7], 2, v[6:7]
	s_waitcnt lgkmcnt(0)
	v_mov_b32_e32 v8, s13
	v_add_co_u32_e64 v6, s[6:7], s12, v6
	v_addc_co_u32_e64 v7, s[6:7], v8, v7, s[6:7]
	global_store_dword v[6:7], v96, off
	s_or_b64 exec, exec, s[8:9]
	s_and_saveexec_b64 s[8:9], s[0:1]
	s_cbranch_execz .LBB124_26
.LBB124_67:
	v_add_u32_e32 v6, v5, v2
	v_mov_b32_e32 v7, 0
	v_lshlrev_b64 v[6:7], 2, v[6:7]
	s_waitcnt lgkmcnt(0)
	v_mov_b32_e32 v8, s13
	v_add_co_u32_e64 v6, s[6:7], s12, v6
	v_addc_co_u32_e64 v7, s[6:7], v8, v7, s[6:7]
	global_store_dword v[6:7], v91, off
	s_or_b64 exec, exec, s[8:9]
	s_and_saveexec_b64 s[8:9], s[2:3]
	s_cbranch_execz .LBB124_27
.LBB124_68:
	v_add_u32_e32 v6, v5, v3
	v_mov_b32_e32 v7, 0
	v_lshlrev_b64 v[6:7], 2, v[6:7]
	s_waitcnt lgkmcnt(0)
	v_mov_b32_e32 v8, s13
	v_add_co_u32_e64 v6, s[6:7], s12, v6
	v_addc_co_u32_e64 v7, s[6:7], v8, v7, s[6:7]
	global_store_dword v[6:7], v86, off
	s_or_b64 exec, exec, s[8:9]
	s_and_saveexec_b64 s[8:9], s[4:5]
	s_cbranch_execnz .LBB124_28
	s_branch .LBB124_29
.LBB124_69:
	v_add_u32_e32 v6, v5, v0
	v_mov_b32_e32 v7, 0
	v_lshlrev_b64 v[6:7], 2, v[6:7]
	s_waitcnt lgkmcnt(0)
	v_mov_b32_e32 v8, s13
	v_add_co_u32_e64 v6, s[6:7], s12, v6
	v_addc_co_u32_e64 v7, s[6:7], v8, v7, s[6:7]
	global_store_dword v[6:7], v78, off
	s_or_b64 exec, exec, s[8:9]
	s_and_saveexec_b64 s[8:9], s[0:1]
	s_cbranch_execz .LBB124_32
.LBB124_70:
	v_add_u32_e32 v6, v5, v2
	v_mov_b32_e32 v7, 0
	v_lshlrev_b64 v[6:7], 2, v[6:7]
	s_waitcnt lgkmcnt(0)
	v_mov_b32_e32 v8, s13
	v_add_co_u32_e64 v6, s[6:7], s12, v6
	v_addc_co_u32_e64 v7, s[6:7], v8, v7, s[6:7]
	global_store_dword v[6:7], v77, off
	s_or_b64 exec, exec, s[8:9]
	s_and_saveexec_b64 s[8:9], s[2:3]
	s_cbranch_execz .LBB124_33
.LBB124_71:
	v_add_u32_e32 v6, v5, v3
	v_mov_b32_e32 v7, 0
	v_lshlrev_b64 v[6:7], 2, v[6:7]
	s_waitcnt lgkmcnt(0)
	v_mov_b32_e32 v8, s13
	v_add_co_u32_e64 v6, s[6:7], s12, v6
	v_addc_co_u32_e64 v7, s[6:7], v8, v7, s[6:7]
	global_store_dword v[6:7], v76, off
	s_or_b64 exec, exec, s[8:9]
	s_and_saveexec_b64 s[8:9], s[4:5]
	s_cbranch_execnz .LBB124_34
	s_branch .LBB124_35
.LBB124_72:
	v_add_u32_e32 v6, v5, v0
	v_mov_b32_e32 v7, 0
	v_lshlrev_b64 v[6:7], 2, v[6:7]
	s_waitcnt lgkmcnt(0)
	v_mov_b32_e32 v8, s13
	v_add_co_u32_e64 v6, s[6:7], s12, v6
	v_addc_co_u32_e64 v7, s[6:7], v8, v7, s[6:7]
	global_store_dword v[6:7], v73, off
	s_or_b64 exec, exec, s[8:9]
	s_and_saveexec_b64 s[8:9], s[0:1]
	s_cbranch_execz .LBB124_38
.LBB124_73:
	v_add_u32_e32 v6, v5, v2
	v_mov_b32_e32 v7, 0
	v_lshlrev_b64 v[6:7], 2, v[6:7]
	s_waitcnt lgkmcnt(0)
	v_mov_b32_e32 v8, s13
	v_add_co_u32_e64 v6, s[6:7], s12, v6
	v_addc_co_u32_e64 v7, s[6:7], v8, v7, s[6:7]
	global_store_dword v[6:7], v71, off
	s_or_b64 exec, exec, s[8:9]
	s_and_saveexec_b64 s[8:9], s[2:3]
	s_cbranch_execz .LBB124_39
.LBB124_74:
	v_add_u32_e32 v6, v5, v3
	v_mov_b32_e32 v7, 0
	v_lshlrev_b64 v[6:7], 2, v[6:7]
	s_waitcnt lgkmcnt(0)
	v_mov_b32_e32 v8, s13
	v_add_co_u32_e64 v6, s[6:7], s12, v6
	v_addc_co_u32_e64 v7, s[6:7], v8, v7, s[6:7]
	global_store_dword v[6:7], v70, off
	s_or_b64 exec, exec, s[8:9]
	s_and_saveexec_b64 s[8:9], s[4:5]
	s_cbranch_execnz .LBB124_40
	s_branch .LBB124_41
.LBB124_75:
	v_add_u32_e32 v6, v5, v0
	v_mov_b32_e32 v7, 0
	v_lshlrev_b64 v[6:7], 2, v[6:7]
	s_waitcnt lgkmcnt(0)
	v_mov_b32_e32 v8, s13
	v_add_co_u32_e64 v6, s[6:7], s12, v6
	v_addc_co_u32_e64 v7, s[6:7], v8, v7, s[6:7]
	global_store_dword v[6:7], v68, off
	s_or_b64 exec, exec, s[8:9]
	s_and_saveexec_b64 s[8:9], s[0:1]
	s_cbranch_execz .LBB124_44
.LBB124_76:
	v_add_u32_e32 v6, v5, v2
	v_mov_b32_e32 v7, 0
	v_lshlrev_b64 v[6:7], 2, v[6:7]
	s_waitcnt lgkmcnt(0)
	v_mov_b32_e32 v8, s13
	v_add_co_u32_e64 v6, s[6:7], s12, v6
	v_addc_co_u32_e64 v7, s[6:7], v8, v7, s[6:7]
	global_store_dword v[6:7], v67, off
	s_or_b64 exec, exec, s[8:9]
	s_and_saveexec_b64 s[8:9], s[2:3]
	s_cbranch_execz .LBB124_45
.LBB124_77:
	v_add_u32_e32 v6, v5, v3
	v_mov_b32_e32 v7, 0
	v_lshlrev_b64 v[6:7], 2, v[6:7]
	s_waitcnt lgkmcnt(0)
	v_mov_b32_e32 v8, s13
	v_add_co_u32_e64 v6, s[6:7], s12, v6
	v_addc_co_u32_e64 v7, s[6:7], v8, v7, s[6:7]
	global_store_dword v[6:7], v66, off
	s_or_b64 exec, exec, s[8:9]
	s_and_saveexec_b64 s[8:9], s[4:5]
	s_cbranch_execnz .LBB124_46
	s_branch .LBB124_47
.LBB124_78:
	v_add_u32_e32 v6, v5, v0
	v_mov_b32_e32 v7, 0
	v_lshlrev_b64 v[6:7], 2, v[6:7]
	s_waitcnt lgkmcnt(0)
	v_mov_b32_e32 v8, s13
	v_add_co_u32_e64 v6, s[6:7], s12, v6
	v_addc_co_u32_e64 v7, s[6:7], v8, v7, s[6:7]
	global_store_dword v[6:7], v64, off
	s_or_b64 exec, exec, s[8:9]
	s_and_saveexec_b64 s[8:9], s[0:1]
	s_cbranch_execz .LBB124_50
.LBB124_79:
	v_add_u32_e32 v6, v5, v2
	v_mov_b32_e32 v7, 0
	v_lshlrev_b64 v[6:7], 2, v[6:7]
	s_waitcnt lgkmcnt(0)
	v_mov_b32_e32 v8, s13
	v_add_co_u32_e64 v6, s[6:7], s12, v6
	v_addc_co_u32_e64 v7, s[6:7], v8, v7, s[6:7]
	global_store_dword v[6:7], v63, off
	s_or_b64 exec, exec, s[8:9]
	s_and_saveexec_b64 s[8:9], s[2:3]
	s_cbranch_execz .LBB124_51
.LBB124_80:
	v_add_u32_e32 v6, v5, v3
	v_mov_b32_e32 v7, 0
	v_lshlrev_b64 v[6:7], 2, v[6:7]
	s_waitcnt lgkmcnt(0)
	v_mov_b32_e32 v8, s13
	v_add_co_u32_e64 v6, s[6:7], s12, v6
	v_addc_co_u32_e64 v7, s[6:7], v8, v7, s[6:7]
	global_store_dword v[6:7], v62, off
	s_or_b64 exec, exec, s[8:9]
	s_and_saveexec_b64 s[8:9], s[4:5]
	s_cbranch_execnz .LBB124_52
	s_branch .LBB124_53
.LBB124_81:
	v_add_u32_e32 v6, v5, v0
	v_mov_b32_e32 v7, 0
	v_lshlrev_b64 v[6:7], 2, v[6:7]
	s_waitcnt lgkmcnt(0)
	v_mov_b32_e32 v8, s13
	v_add_co_u32_e64 v6, s[6:7], s12, v6
	v_addc_co_u32_e64 v7, s[6:7], v8, v7, s[6:7]
	global_store_dword v[6:7], v60, off
	s_or_b64 exec, exec, s[8:9]
	s_and_saveexec_b64 s[8:9], s[0:1]
	s_cbranch_execz .LBB124_56
.LBB124_82:
	v_add_u32_e32 v6, v5, v2
	v_mov_b32_e32 v7, 0
	v_lshlrev_b64 v[6:7], 2, v[6:7]
	s_waitcnt lgkmcnt(0)
	v_mov_b32_e32 v8, s13
	v_add_co_u32_e64 v6, s[6:7], s12, v6
	v_addc_co_u32_e64 v7, s[6:7], v8, v7, s[6:7]
	global_store_dword v[6:7], v59, off
	s_or_b64 exec, exec, s[8:9]
	s_and_saveexec_b64 s[8:9], s[2:3]
	s_cbranch_execz .LBB124_57
.LBB124_83:
	v_add_u32_e32 v6, v5, v3
	v_mov_b32_e32 v7, 0
	v_lshlrev_b64 v[6:7], 2, v[6:7]
	s_waitcnt lgkmcnt(0)
	v_mov_b32_e32 v8, s13
	v_add_co_u32_e64 v6, s[6:7], s12, v6
	v_addc_co_u32_e64 v7, s[6:7], v8, v7, s[6:7]
	global_store_dword v[6:7], v58, off
	s_or_b64 exec, exec, s[8:9]
	s_and_saveexec_b64 s[8:9], s[4:5]
	s_cbranch_execnz .LBB124_58
	s_branch .LBB124_59
.LBB124_84:
	v_add_u32_e32 v5, v1, v0
	v_mov_b32_e32 v6, 0
	v_lshlrev_b64 v[5:6], 2, v[5:6]
	s_waitcnt lgkmcnt(0)
	v_mov_b32_e32 v0, s13
	v_add_co_u32_e32 v5, vcc, s12, v5
	v_addc_co_u32_e32 v6, vcc, v0, v6, vcc
	global_store_dword v[5:6], v56, off
	s_or_b64 exec, exec, s[6:7]
	s_and_saveexec_b64 s[6:7], s[0:1]
	s_cbranch_execz .LBB124_62
.LBB124_85:
	v_add_u32_e32 v5, v1, v2
	v_mov_b32_e32 v6, 0
	v_lshlrev_b64 v[5:6], 2, v[5:6]
	s_waitcnt lgkmcnt(0)
	v_mov_b32_e32 v0, s13
	v_add_co_u32_e32 v5, vcc, s12, v5
	v_addc_co_u32_e32 v6, vcc, v0, v6, vcc
	global_store_dword v[5:6], v55, off
	s_or_b64 exec, exec, s[6:7]
	s_and_saveexec_b64 s[0:1], s[2:3]
	s_cbranch_execz .LBB124_63
.LBB124_86:
	v_add_u32_e32 v2, v1, v3
	v_mov_b32_e32 v3, 0
	v_lshlrev_b64 v[2:3], 2, v[2:3]
	s_waitcnt lgkmcnt(0)
	v_mov_b32_e32 v0, s13
	v_add_co_u32_e32 v2, vcc, s12, v2
	v_addc_co_u32_e32 v3, vcc, v0, v3, vcc
	global_store_dword v[2:3], v54, off
	s_or_b64 exec, exec, s[0:1]
	s_and_b64 exec, exec, s[4:5]
	s_cbranch_execnz .LBB124_64
	s_branch .LBB124_65
	.section	.rodata,"a",@progbits
	.p2align	6, 0x0
	.amdhsa_kernel _ZL12mul_mat_q5_1IfLb1EEvPKvS1_PT_iiiii
		.amdhsa_group_segment_fixed_size 46720
		.amdhsa_private_segment_fixed_size 0
		.amdhsa_kernarg_size 44
		.amdhsa_user_sgpr_count 6
		.amdhsa_user_sgpr_private_segment_buffer 1
		.amdhsa_user_sgpr_dispatch_ptr 0
		.amdhsa_user_sgpr_queue_ptr 0
		.amdhsa_user_sgpr_kernarg_segment_ptr 1
		.amdhsa_user_sgpr_dispatch_id 0
		.amdhsa_user_sgpr_flat_scratch_init 0
		.amdhsa_user_sgpr_private_segment_size 0
		.amdhsa_uses_dynamic_stack 0
		.amdhsa_system_sgpr_private_segment_wavefront_offset 0
		.amdhsa_system_sgpr_workgroup_id_x 1
		.amdhsa_system_sgpr_workgroup_id_y 1
		.amdhsa_system_sgpr_workgroup_id_z 0
		.amdhsa_system_sgpr_workgroup_info 0
		.amdhsa_system_vgpr_workitem_id 1
		.amdhsa_next_free_vgpr 168
		.amdhsa_next_free_sgpr 98
		.amdhsa_reserve_vcc 1
		.amdhsa_reserve_flat_scratch 0
		.amdhsa_float_round_mode_32 0
		.amdhsa_float_round_mode_16_64 0
		.amdhsa_float_denorm_mode_32 3
		.amdhsa_float_denorm_mode_16_64 3
		.amdhsa_dx10_clamp 1
		.amdhsa_ieee_mode 1
		.amdhsa_fp16_overflow 0
		.amdhsa_exception_fp_ieee_invalid_op 0
		.amdhsa_exception_fp_denorm_src 0
		.amdhsa_exception_fp_ieee_div_zero 0
		.amdhsa_exception_fp_ieee_overflow 0
		.amdhsa_exception_fp_ieee_underflow 0
		.amdhsa_exception_fp_ieee_inexact 0
		.amdhsa_exception_int_div_zero 0
	.end_amdhsa_kernel
	.section	.text._ZL12mul_mat_q5_1IfLb1EEvPKvS1_PT_iiiii,"axG",@progbits,_ZL12mul_mat_q5_1IfLb1EEvPKvS1_PT_iiiii,comdat
.Lfunc_end124:
	.size	_ZL12mul_mat_q5_1IfLb1EEvPKvS1_PT_iiiii, .Lfunc_end124-_ZL12mul_mat_q5_1IfLb1EEvPKvS1_PT_iiiii
                                        ; -- End function
	.set _ZL12mul_mat_q5_1IfLb1EEvPKvS1_PT_iiiii.num_vgpr, 168
	.set _ZL12mul_mat_q5_1IfLb1EEvPKvS1_PT_iiiii.num_agpr, 0
	.set _ZL12mul_mat_q5_1IfLb1EEvPKvS1_PT_iiiii.numbered_sgpr, 18
	.set _ZL12mul_mat_q5_1IfLb1EEvPKvS1_PT_iiiii.num_named_barrier, 0
	.set _ZL12mul_mat_q5_1IfLb1EEvPKvS1_PT_iiiii.private_seg_size, 0
	.set _ZL12mul_mat_q5_1IfLb1EEvPKvS1_PT_iiiii.uses_vcc, 1
	.set _ZL12mul_mat_q5_1IfLb1EEvPKvS1_PT_iiiii.uses_flat_scratch, 0
	.set _ZL12mul_mat_q5_1IfLb1EEvPKvS1_PT_iiiii.has_dyn_sized_stack, 0
	.set _ZL12mul_mat_q5_1IfLb1EEvPKvS1_PT_iiiii.has_recursion, 0
	.set _ZL12mul_mat_q5_1IfLb1EEvPKvS1_PT_iiiii.has_indirect_call, 0
	.section	.AMDGPU.csdata,"",@progbits
; Kernel info:
; codeLenInByte = 14836
; TotalNumSgprs: 22
; NumVgprs: 168
; ScratchSize: 0
; MemoryBound: 0
; FloatMode: 240
; IeeeMode: 1
; LDSByteSize: 46720 bytes/workgroup (compile time only)
; SGPRBlocks: 12
; VGPRBlocks: 41
; NumSGPRsForWavesPerEU: 102
; NumVGPRsForWavesPerEU: 168
; Occupancy: 1
; WaveLimiterHint : 0
; COMPUTE_PGM_RSRC2:SCRATCH_EN: 0
; COMPUTE_PGM_RSRC2:USER_SGPR: 6
; COMPUTE_PGM_RSRC2:TRAP_HANDLER: 0
; COMPUTE_PGM_RSRC2:TGID_X_EN: 1
; COMPUTE_PGM_RSRC2:TGID_Y_EN: 1
; COMPUTE_PGM_RSRC2:TGID_Z_EN: 0
; COMPUTE_PGM_RSRC2:TIDIG_COMP_CNT: 1
	.section	.text._ZL12mul_mat_q8_0IfLb0EEvPKvS1_PT_iiiii,"axG",@progbits,_ZL12mul_mat_q8_0IfLb0EEvPKvS1_PT_iiiii,comdat
	.globl	_ZL12mul_mat_q8_0IfLb0EEvPKvS1_PT_iiiii ; -- Begin function _ZL12mul_mat_q8_0IfLb0EEvPKvS1_PT_iiiii
	.p2align	8
	.type	_ZL12mul_mat_q8_0IfLb0EEvPKvS1_PT_iiiii,@function
_ZL12mul_mat_q8_0IfLb0EEvPKvS1_PT_iiiii: ; @_ZL12mul_mat_q8_0IfLb0EEvPKvS1_PT_iiiii
; %bb.0:
	s_mov_b64 s[18:19], s[2:3]
	s_mov_b64 s[16:17], s[0:1]
	s_add_u32 s16, s16, s8
	s_load_dword s14, s[4:5], 0x18
	s_load_dwordx4 s[8:11], s[4:5], 0x20
	s_addc_u32 s17, s17, 0
	v_mov_b32_e32 v20, v1
	s_waitcnt lgkmcnt(0)
	s_lshl_b32 s11, s7, 6
	s_cmp_gt_i32 s14, 31
	v_add_u32_e32 v12, s11, v20
	s_cbranch_scc1 .LBB125_2
; %bb.1:
	v_add_u32_e32 v1, s11, v20
	s_mov_b64 s[0:1], 0
	s_branch .LBB125_3
.LBB125_2:
	s_mov_b64 s[0:1], -1
                                        ; implicit-def: $vgpr1
.LBB125_3:
	s_load_dwordx2 s[12:13], s[4:5], 0x10
	s_lshl_b32 s6, s6, 7
	v_mov_b32_e32 v48, 0
	s_andn2_b64 vcc, exec, s[0:1]
	v_mov_b32_e32 v52, 0
	v_mov_b32_e32 v56, 0
	;; [unrolled: 1-line block ×31, first 2 shown]
	s_cbranch_vccnz .LBB125_9
; %bb.4:
	s_load_dwordx4 s[0:3], s[4:5], 0x0
	s_ashr_i32 s4, s14, 31
	s_lshr_b32 s4, s4, 27
	s_ashr_i32 s5, s9, 31
	s_add_i32 s14, s14, s4
	s_lshr_b32 s5, s5, 27
	s_ashr_i32 s4, s14, 5
	s_add_i32 s5, s9, s5
	s_ashr_i32 s9, s5, 5
	s_mul_i32 s5, s4, s6
	v_mul_lo_u32 v2, s4, v20
	s_mul_hi_i32 s7, s5, 34
	s_mul_i32 s5, s5, 34
	s_waitcnt lgkmcnt(0)
	s_add_u32 s5, s0, s5
	v_lshlrev_b32_e32 v1, 2, v0
	s_movk_i32 s0, 0x84
	s_addc_u32 s7, s1, s7
	v_mad_u32_u24 v81, v20, s0, v1
	s_lshl_b32 s0, s4, 3
	v_add_u32_e32 v106, s0, v2
	v_add_u32_e32 v80, s0, v106
	v_and_b32_e32 v79, 28, v1
	v_add_u32_e32 v1, s0, v80
	buffer_store_dword v1, off, s[16:19], 0 offset:4 ; 4-byte Folded Spill
	v_add_u32_e32 v1, s0, v1
	v_add_u32_e32 v86, s0, v1
	;; [unrolled: 1-line block ×11, first 2 shown]
	buffer_store_dword v1, off, s[16:19], 0 offset:8 ; 4-byte Folded Spill
	v_add_u32_e32 v1, s0, v96
	buffer_store_dword v2, off, s[16:19], 0 ; 4-byte Folded Spill
	buffer_store_dword v1, off, s[16:19], 0 offset:12 ; 4-byte Folded Spill
	v_lshlrev_b32_e32 v1, 3, v20
	v_lshrrev_b32_e32 v2, 2, v0
	v_add_u32_e32 v5, v2, v1
	v_add_u16_e32 v1, v2, v1
	v_and_b32_e32 v13, 3, v0
	v_lshrrev_b16_e32 v1, 1, v1
	v_and_b32_e32 v1, 0x7fc, v1
	v_lshlrev_b32_e32 v9, 2, v13
	s_movk_i32 s14, 0x6200
	v_add3_u32 v14, v1, v9, s14
	v_add_u32_e32 v1, 64, v5
	v_lshrrev_b32_e32 v2, 1, v1
	v_and_b32_e32 v2, 0xffc, v2
	s_add_i32 s0, s8, -1
	v_add3_u32 v16, v2, v9, s14
	v_lshlrev_b32_e32 v17, 4, v1
	v_cvt_f64_i32_e32 v[1:2], s0
	v_cvt_f64_u32_e32 v[3:4], v12
	v_and_b32_e32 v6, 31, v0
	v_mov_b32_e32 v7, 0x4200
	v_lshl_or_b32 v101, v6, 2, v7
	v_min_f64 v[3:4], v[3:4], v[1:2]
	v_add_u32_e32 v7, 16, v12
	v_mul_lo_u32 v99, s4, v5
	v_lshlrev_b32_e32 v15, 4, v5
	v_and_b32_e32 v10, 63, v5
	v_add_u32_e32 v5, 8, v12
	v_cvt_f64_u32_e32 v[7:8], v7
	v_cvt_f64_u32_e32 v[5:6], v5
	v_cvt_i32_f64_e32 v3, v[3:4]
	v_or_b32_e32 v11, s11, v10
	v_min_f64 v[7:8], v[7:8], v[1:2]
	v_min_f64 v[5:6], v[5:6], v[1:2]
	v_min_i32_e32 v11, s0, v11
	v_mad_u64_u32 v[18:19], s[0:1], v11, s9, v[13:14]
	v_mul_lo_u32 v3, s9, v3
	v_lshl_or_b32 v4, v10, 4, v9
	buffer_store_dword v18, off, s[16:19], 0 offset:16 ; 4-byte Folded Spill
	s_nop 0
	buffer_store_dword v19, off, s[16:19], 0 offset:20 ; 4-byte Folded Spill
	v_add_u32_e32 v4, 0x6a40, v4
	buffer_store_dword v3, off, s[16:19], 0 offset:28 ; 4-byte Folded Spill
	v_cvt_i32_f64_e32 v3, v[7:8]
	buffer_store_dword v4, off, s[16:19], 0 offset:24 ; 4-byte Folded Spill
	v_cvt_i32_f64_e32 v4, v[5:6]
	v_add_u32_e32 v7, 40, v12
	v_mul_lo_u32 v3, s9, v3
	v_cvt_f64_u32_e32 v[7:8], v7
	v_mul_lo_u32 v4, s9, v4
	v_add_u32_e32 v5, 32, v12
	buffer_store_dword v3, off, s[16:19], 0 offset:36 ; 4-byte Folded Spill
	v_add_u32_e32 v3, 24, v12
	buffer_store_dword v4, off, s[16:19], 0 offset:32 ; 4-byte Folded Spill
	v_cvt_f64_u32_e32 v[3:4], v3
	v_add_u32_e32 v9, 48, v12
	v_add_u32_e32 v11, 56, v12
	v_cvt_f64_u32_e32 v[5:6], v5
	v_min_f64 v[3:4], v[3:4], v[1:2]
	v_cvt_f64_u32_e32 v[9:10], v9
	buffer_store_dword v12, off, s[16:19], 0 offset:44 ; 4-byte Folded Spill
	v_cvt_f64_u32_e32 v[11:12], v11
	v_min_f64 v[7:8], v[7:8], v[1:2]
	v_min_f64 v[5:6], v[5:6], v[1:2]
	s_movk_i32 s0, 0x6800
	v_lshrrev_b32_e32 v21, 3, v0
	v_cvt_i32_f64_e32 v13, v[3:4]
	v_min_f64 v[3:4], v[9:10], v[1:2]
	v_min_f64 v[1:2], v[11:12], v[1:2]
	v_mov_b32_e32 v9, s3
	v_cvt_i32_f64_e32 v7, v[7:8]
	v_cvt_i32_f64_e32 v5, v[5:6]
	v_add_u32_e32 v8, 0x60, v0
	v_add_co_u32_e32 v12, vcc, s2, v79
	v_cvt_i32_f64_e32 v3, v[3:4]
	v_cvt_i32_f64_e32 v1, v[1:2]
	v_mul_lo_u32 v109, s9, v7
	v_add_u32_e32 v7, 64, v0
	v_lshrrev_b32_e32 v8, 1, v8
	v_mul_lo_u32 v107, s9, v13
	v_addc_co_u32_e32 v13, vcc, 0, v9, vcc
	v_lshlrev_b32_e32 v9, 4, v0
	v_and_b32_e32 v8, 0xfc, v8
	v_lshrrev_b32_e32 v7, 1, v7
	v_mul_lo_u32 v108, s9, v5
	v_mul_lo_u32 v110, s9, v3
	;; [unrolled: 1-line block ×3, first 2 shown]
	v_add_u32_e32 v1, 32, v0
	v_add3_u32 v78, v9, v8, s0
	v_and_b32_e32 v7, 0xfc, v7
	s_movk_i32 s0, 0x6600
	v_lshlrev_b32_e32 v104, 7, v20
	v_add3_u32 v10, v9, v7, s0
	v_lshrrev_b32_e32 v1, 1, v1
	v_lshlrev_b32_e32 v7, 2, v21
	v_add_u32_e32 v18, 0x400, v104
	v_add_u32_e32 v19, 0x800, v104
	;; [unrolled: 1-line block ×7, first 2 shown]
	v_and_b32_e32 v1, 0xfc, v1
	s_movk_i32 s0, 0x6400
	v_add3_u32 v70, v9, v7, s14
	v_mov_b32_e32 v7, 0x6a40
	v_mov_b32_e32 v72, 0
	v_add3_u32 v1, v9, v1, s0
	v_lshl_add_u32 v116, v20, 4, v7
	s_mov_b32 s9, 0
	v_add_u32_e32 v117, v14, v15
	v_add_u32_e32 v118, v16, v17
	;; [unrolled: 1-line block ×9, first 2 shown]
	v_mov_b32_e32 v77, 0
	v_mov_b32_e32 v73, 0
	;; [unrolled: 1-line block ×31, first 2 shown]
	buffer_store_dword v20, off, s[16:19], 0 offset:40 ; 4-byte Folded Spill
.LBB125_5:                              ; =>This Loop Header: Depth=1
                                        ;     Child Loop BB125_6 Depth 2
	buffer_load_dword v4, off, s[16:19], 0  ; 4-byte Folded Reload
	buffer_load_dword v11, off, s[16:19], 0 offset:4 ; 4-byte Folded Reload
	s_mul_i32 s0, s9, 34
	s_mul_hi_u32 s1, s9, 34
	s_add_u32 s0, s5, s0
	s_addc_u32 s1, s7, s1
	v_lshrrev_b32_e32 v41, 3, v0
	v_mad_u64_u32 v[2:3], s[14:15], v41, 34, s[0:1]
	v_lshl_add_u32 v33, s4, 6, v99
	v_add_u32_e32 v126, 0x4200, v104
	v_mad_u64_u32 v[6:7], s[14:15], v106, 34, v[2:3]
	v_mad_u64_u32 v[8:9], s[14:15], v80, 34, v[2:3]
	v_mad_u64_u32 v[18:19], s[14:15], v86, 34, v[2:3]
	v_mad_u64_u32 v[22:23], s[14:15], v89, 34, v[2:3]
	v_mad_u64_u32 v[26:27], s[14:15], v90, 34, v[2:3]
	v_mov_b32_e32 v127, v116
	v_mov_b32_e32 v115, v70
	;; [unrolled: 1-line block ×5, first 2 shown]
	v_mul_u32_u24_e32 v98, 0x84, v0
	s_waitcnt vmcnt(1)
	v_mad_u64_u32 v[4:5], s[14:15], v4, 34, v[2:3]
	s_waitcnt vmcnt(0)
	v_mad_u64_u32 v[14:15], s[14:15], v11, 34, v[2:3]
	buffer_load_dword v11, off, s[16:19], 0 offset:8 ; 4-byte Folded Reload
	v_add_co_u32_e32 v4, vcc, v4, v79
	v_addc_co_u32_e32 v5, vcc, 0, v5, vcc
	v_add_co_u32_e32 v6, vcc, v6, v79
	v_addc_co_u32_e32 v7, vcc, 0, v7, vcc
	;; [unrolled: 2-line block ×4, first 2 shown]
	s_waitcnt vmcnt(0)
	v_mad_u64_u32 v[14:15], s[14:15], v11, 34, v[2:3]
	v_add_co_u32_e32 v20, vcc, v14, v79
	v_addc_co_u32_e32 v21, vcc, 0, v15, vcc
	v_mad_u64_u32 v[14:15], s[14:15], v87, 34, v[2:3]
	v_add_co_u32_e32 v18, vcc, v18, v79
	v_addc_co_u32_e32 v19, vcc, 0, v19, vcc
	v_add_co_u32_e32 v24, vcc, v14, v79
	v_addc_co_u32_e32 v25, vcc, 0, v15, vcc
	;; [unrolled: 2-line block ×3, first 2 shown]
	global_load_dword v14, v[4:5], off offset:2
	global_load_dword v11, v[6:7], off offset:2
	s_nop 0
	global_load_dword v9, v[8:9], off offset:2
	s_nop 0
	global_load_dword v8, v[16:17], off offset:2
	global_load_dword v7, v[20:21], off offset:2
	global_load_dword v6, v[18:19], off offset:2
	global_load_dword v5, v[24:25], off offset:2
	global_load_dword v4, v[22:23], off offset:2
	buffer_load_dword v29, off, s[16:19], 0 offset:12 ; 4-byte Folded Reload
	v_mad_u64_u32 v[17:18], s[14:15], v91, 34, v[2:3]
	v_add_co_u32_e32 v15, vcc, v26, v79
	v_mad_u64_u32 v[19:20], s[14:15], v92, 34, v[2:3]
	v_addc_co_u32_e32 v16, vcc, 0, v27, vcc
	v_add_co_u32_e32 v17, vcc, v17, v79
	v_mad_u64_u32 v[21:22], s[14:15], v93, 34, v[2:3]
	v_addc_co_u32_e32 v18, vcc, 0, v18, vcc
	;; [unrolled: 3-line block ×5, first 2 shown]
	v_add_co_u32_e32 v25, vcc, v25, v79
	v_addc_co_u32_e32 v26, vcc, 0, v26, vcc
	v_add_co_u32_e32 v27, vcc, v27, v79
	v_addc_co_u32_e32 v28, vcc, 0, v28, vcc
	s_waitcnt vmcnt(0)
	v_mad_u64_u32 v[2:3], s[14:15], v29, 34, v[2:3]
	v_and_b32_e32 v29, 3, v0
	v_mad_u64_u32 v[29:30], s[0:1], v29, 34, s[0:1]
	v_add_co_u32_e32 v2, vcc, v2, v79
	v_addc_co_u32_e32 v3, vcc, 0, v3, vcc
	v_mad_u64_u32 v[31:32], s[0:1], v99, 34, v[29:30]
	v_mad_u64_u32 v[29:30], s[0:1], v33, 34, v[29:30]
	global_load_dword v33, v[15:16], off offset:2
	global_load_dword v34, v[17:18], off offset:2
	;; [unrolled: 1-line block ×8, first 2 shown]
	s_nop 0
	global_load_ushort v31, v[31:32], off
	s_nop 0
	global_load_ushort v32, v[29:30], off
	buffer_load_dword v2, off, s[16:19], 0 offset:16 ; 4-byte Folded Reload
	buffer_load_dword v3, off, s[16:19], 0 offset:20 ; 4-byte Folded Reload
	;; [unrolled: 1-line block ×5, first 2 shown]
	v_add_u32_e32 v29, s9, v41
	v_add_u32_e32 v21, v29, v107
	v_mad_i64_i32 v[21:22], s[0:1], v21, 36, v[12:13]
	v_add_u32_e32 v23, v29, v108
	v_add_u32_e32 v25, v29, v109
	;; [unrolled: 1-line block ×3, first 2 shown]
	v_mad_i64_i32 v[23:24], s[0:1], v23, 36, v[12:13]
	v_mad_i64_i32 v[25:26], s[0:1], v25, 36, v[12:13]
	;; [unrolled: 1-line block ×3, first 2 shown]
	s_waitcnt vmcnt(4)
	v_add_u32_e32 v2, s9, v2
	s_waitcnt vmcnt(3)
	v_mad_u64_u32 v[2:3], s[0:1], v2, 36, s[2:3]
	s_waitcnt vmcnt(2)
	v_add_u32_e32 v15, v29, v15
	v_mad_i64_i32 v[15:16], s[0:1], v15, 36, v[12:13]
	s_waitcnt vmcnt(1)
	v_add_u32_e32 v17, v29, v17
	v_mad_i64_i32 v[17:18], s[0:1], v17, 36, v[12:13]
	;; [unrolled: 3-line block ×3, first 2 shown]
	v_add_u32_e32 v29, v29, v111
	v_mad_i64_i32 v[29:30], s[0:1], v29, 36, v[12:13]
	global_load_dword v15, v[15:16], off offset:4
	s_nop 0
	global_load_dword v16, v[17:18], off offset:4
	s_nop 0
	global_load_dword v17, v[19:20], off offset:4
	global_load_dword v18, v[21:22], off offset:4
	s_nop 0
	global_load_dword v19, v[23:24], off offset:4
	s_nop 0
	global_load_dword v2, v[2:3], off
	s_nop 0
	global_load_dword v3, v[25:26], off offset:4
	global_load_dword v20, v[27:28], off offset:4
	global_load_dword v21, v[29:30], off offset:4
	ds_write_b32 v81, v14
	v_add_u32_e32 v14, 0x420, v81
	ds_write_b32 v14, v11
	v_add_u32_e32 v11, 0x840, v81
	;; [unrolled: 2-line block ×14, first 2 shown]
	ds_write_b32 v4, v39
	v_cvt_f32_f16_e32 v4, v31
	v_cvt_f32_f16_e32 v5, v32
	v_add_u32_e32 v6, 0x3de0, v81
	ds_write_b32 v6, v40
	ds_write_b32 v117, v4
	ds_write_b32 v118, v5
	v_add_u32_e32 v4, v101, v104
	s_mov_b32 s0, -8
	s_waitcnt vmcnt(8)
	ds_write_b32 v4, v15
	s_waitcnt vmcnt(7)
	ds_write_b32 v119, v16
	;; [unrolled: 2-line block ×8, first 2 shown]
	buffer_load_dword v3, off, s[16:19], 0 offset:24 ; 4-byte Folded Reload
	v_cvt_f32_f16_e32 v2, v2
	s_waitcnt vmcnt(0)
	ds_write_b32 v3, v2
	s_waitcnt lgkmcnt(0)
	s_barrier
.LBB125_6:                              ;   Parent Loop BB125_5 Depth=1
                                        ; =>  This Inner Loop Header: Depth=2
	ds_read2_b32 v[46:47], v127 offset1:32
	ds_read_b128 v[6:9], v126
	ds_read_b128 v[2:5], v126 offset:16
	ds_read_b32 v102, v115
	ds_read2_b32 v[14:15], v98 offset1:1
	ds_read2_b32 v[16:17], v98 offset0:2 offset1:3
	ds_read2_b32 v[20:21], v98 offset0:4 offset1:5
	;; [unrolled: 1-line block ×3, first 2 shown]
	s_waitcnt lgkmcnt(4)
	v_mul_f32_e32 v18, v46, v102
	s_waitcnt lgkmcnt(3)
	v_dot4_i32_i8 v11, v14, v6, 0
	v_dot4_i32_i8 v11, v15, v7, v11
	s_waitcnt lgkmcnt(2)
	v_dot4_i32_i8 v11, v16, v8, v11
	v_dot4_i32_i8 v11, v17, v9, v11
	;; [unrolled: 3-line block ×4, first 2 shown]
	v_cvt_f32_i32_e32 v11, v11
	v_add_u32_e32 v24, 0x1088, v98
	v_add_u32_e32 v26, 0x1090, v98
	;; [unrolled: 1-line block ×3, first 2 shown]
	v_fmac_f32_e32 v72, v18, v11
	v_add_u32_e32 v11, 0x1080, v98
	ds_read_b32 v103, v114
	ds_read2_b32 v[18:19], v11 offset1:1
	ds_read2_b32 v[24:25], v24 offset1:1
	;; [unrolled: 1-line block ×4, first 2 shown]
	s_waitcnt lgkmcnt(4)
	v_mul_f32_e32 v28, v46, v103
	s_waitcnt lgkmcnt(3)
	v_dot4_i32_i8 v11, v18, v6, 0
	v_dot4_i32_i8 v11, v19, v7, v11
	s_waitcnt lgkmcnt(2)
	v_dot4_i32_i8 v11, v24, v8, v11
	v_dot4_i32_i8 v11, v25, v9, v11
	;; [unrolled: 3-line block ×4, first 2 shown]
	v_cvt_f32_i32_e32 v11, v11
	v_add_u32_e32 v30, 0x2108, v98
	v_mul_f32_e32 v82, v102, v47
	s_add_i32 s0, s0, 8
	v_fmac_f32_e32 v100, v28, v11
	v_add_u32_e32 v11, 0x2100, v98
	ds_read_b32 v105, v113
	ds_read2_b32 v[28:29], v11 offset1:1
	ds_read2_b32 v[36:37], v30 offset1:1
	v_add_u32_e32 v30, 0x2110, v98
	ds_read2_b32 v[40:41], v30 offset1:1
	v_add_u32_e32 v30, 0x2118, v98
	s_waitcnt lgkmcnt(2)
	v_dot4_i32_i8 v11, v28, v6, 0
	v_dot4_i32_i8 v11, v29, v7, v11
	ds_read2_b32 v[44:45], v30 offset1:1
	s_waitcnt lgkmcnt(2)
	v_dot4_i32_i8 v11, v36, v8, v11
	v_dot4_i32_i8 v11, v37, v9, v11
	s_waitcnt lgkmcnt(1)
	v_dot4_i32_i8 v11, v40, v2, v11
	v_dot4_i32_i8 v11, v41, v3, v11
	;; [unrolled: 3-line block ×3, first 2 shown]
	v_cvt_f32_i32_e32 v11, v11
	v_mul_f32_e32 v30, v46, v105
	v_add_u32_e32 v113, 4, v113
	v_add_u32_e32 v114, 4, v114
	v_fmac_f32_e32 v97, v30, v11
	v_add_u32_e32 v30, 0x3180, v98
	ds_read_b32 v11, v112
	ds_read2_b32 v[42:43], v30 offset1:1
	v_add_u32_e32 v112, 4, v112
	v_add_u32_e32 v115, 4, v115
	s_cmp_lt_u32 s0, 24
	s_waitcnt lgkmcnt(0)
	v_dot4_i32_i8 v6, v42, v6, 0
	v_dot4_i32_i8 v6, v43, v7, v6
	v_add_u32_e32 v7, 0x3188, v98
	ds_read2_b32 v[30:31], v7 offset1:1
	v_add_u32_e32 v7, 0x3190, v98
	ds_read2_b32 v[34:35], v7 offset1:1
	s_waitcnt lgkmcnt(1)
	v_dot4_i32_i8 v6, v30, v8, v6
	v_dot4_i32_i8 v6, v31, v9, v6
	s_waitcnt lgkmcnt(0)
	v_dot4_i32_i8 v2, v34, v2, v6
	v_dot4_i32_i8 v2, v35, v3, v2
	v_add_u32_e32 v3, 0x3198, v98
	ds_read2_b32 v[38:39], v3 offset1:1
	v_mul_f32_e32 v3, v46, v11
	v_add_u32_e32 v98, 32, v98
	s_waitcnt lgkmcnt(0)
	v_dot4_i32_i8 v2, v38, v4, v2
	v_dot4_i32_i8 v2, v39, v5, v2
	v_cvt_f32_i32_e32 v2, v2
	v_fmac_f32_e32 v88, v3, v2
	ds_read_b128 v[2:5], v126 offset:1024
	ds_read_b128 v[6:9], v126 offset:1040
	s_waitcnt lgkmcnt(1)
	v_dot4_i32_i8 v46, v14, v2, 0
	v_dot4_i32_i8 v46, v15, v3, v46
	;; [unrolled: 1-line block ×4, first 2 shown]
	s_waitcnt lgkmcnt(0)
	v_dot4_i32_i8 v46, v20, v6, v46
	v_dot4_i32_i8 v46, v21, v7, v46
	;; [unrolled: 1-line block ×4, first 2 shown]
	v_cvt_f32_i32_e32 v46, v46
	v_fmac_f32_e32 v77, v82, v46
	v_dot4_i32_i8 v46, v18, v2, 0
	v_dot4_i32_i8 v46, v19, v3, v46
	;; [unrolled: 1-line block ×8, first 2 shown]
	v_cvt_f32_i32_e32 v46, v46
	v_mul_f32_e32 v82, v103, v47
	v_fmac_f32_e32 v76, v82, v46
	v_dot4_i32_i8 v46, v28, v2, 0
	v_dot4_i32_i8 v2, v42, v2, 0
	;; [unrolled: 1-line block ×16, first 2 shown]
	v_cvt_f32_i32_e32 v46, v46
	v_cvt_f32_i32_e32 v2, v2
	v_mul_f32_e32 v82, v105, v47
	v_mul_f32_e32 v3, v11, v47
	v_fmac_f32_e32 v75, v82, v46
	v_fmac_f32_e32 v74, v3, v2
	ds_read2_b32 v[2:3], v127 offset0:64 offset1:96
	ds_read_b128 v[4:7], v126 offset:2048
	ds_read_b128 v[82:85], v126 offset:2064
	s_waitcnt lgkmcnt(2)
	v_mul_f32_e32 v9, v102, v2
	s_waitcnt lgkmcnt(1)
	v_dot4_i32_i8 v8, v14, v4, 0
	v_dot4_i32_i8 v8, v15, v5, v8
	;; [unrolled: 1-line block ×4, first 2 shown]
	s_waitcnt lgkmcnt(0)
	v_dot4_i32_i8 v8, v20, v82, v8
	v_dot4_i32_i8 v8, v21, v83, v8
	v_dot4_i32_i8 v8, v22, v84, v8
	v_dot4_i32_i8 v8, v23, v85, v8
	v_cvt_f32_i32_e32 v8, v8
	v_fmac_f32_e32 v73, v9, v8
	v_dot4_i32_i8 v8, v18, v4, 0
	v_dot4_i32_i8 v8, v19, v5, v8
	v_dot4_i32_i8 v8, v24, v6, v8
	v_dot4_i32_i8 v8, v25, v7, v8
	v_dot4_i32_i8 v8, v26, v82, v8
	v_dot4_i32_i8 v8, v27, v83, v8
	v_dot4_i32_i8 v8, v32, v84, v8
	v_dot4_i32_i8 v8, v33, v85, v8
	v_cvt_f32_i32_e32 v8, v8
	v_mul_f32_e32 v9, v103, v2
	v_fmac_f32_e32 v71, v9, v8
	v_dot4_i32_i8 v8, v28, v4, 0
	v_dot4_i32_i8 v4, v42, v4, 0
	;; [unrolled: 1-line block ×12, first 2 shown]
	v_cvt_f32_i32_e32 v4, v4
	v_dot4_i32_i8 v8, v40, v82, v8
	v_dot4_i32_i8 v8, v41, v83, v8
	;; [unrolled: 1-line block ×3, first 2 shown]
	v_mul_f32_e32 v9, v105, v2
	v_mul_f32_e32 v2, v11, v2
	v_dot4_i32_i8 v8, v45, v85, v8
	v_fmac_f32_e32 v68, v2, v4
	ds_read_b128 v[4:7], v126 offset:3072
	ds_read_b128 v[82:85], v126 offset:3088
	v_cvt_f32_i32_e32 v8, v8
	s_waitcnt lgkmcnt(1)
	v_dot4_i32_i8 v2, v14, v4, 0
	v_dot4_i32_i8 v2, v15, v5, v2
	;; [unrolled: 1-line block ×4, first 2 shown]
	s_waitcnt lgkmcnt(0)
	v_dot4_i32_i8 v2, v20, v82, v2
	v_dot4_i32_i8 v2, v21, v83, v2
	;; [unrolled: 1-line block ×4, first 2 shown]
	v_cvt_f32_i32_e32 v2, v2
	v_fmac_f32_e32 v69, v9, v8
	v_mul_f32_e32 v8, v102, v3
	v_fmac_f32_e32 v67, v8, v2
	v_dot4_i32_i8 v2, v18, v4, 0
	v_dot4_i32_i8 v2, v19, v5, v2
	;; [unrolled: 1-line block ×8, first 2 shown]
	v_cvt_f32_i32_e32 v2, v2
	v_mul_f32_e32 v8, v103, v3
	v_fmac_f32_e32 v66, v8, v2
	v_dot4_i32_i8 v2, v28, v4, 0
	v_dot4_i32_i8 v2, v29, v5, v2
	v_dot4_i32_i8 v2, v36, v6, v2
	v_dot4_i32_i8 v2, v37, v7, v2
	v_dot4_i32_i8 v2, v40, v82, v2
	v_dot4_i32_i8 v2, v41, v83, v2
	v_dot4_i32_i8 v2, v44, v84, v2
	v_dot4_i32_i8 v2, v45, v85, v2
	v_cvt_f32_i32_e32 v2, v2
	v_mul_f32_e32 v8, v105, v3
	v_mul_f32_e32 v3, v11, v3
	v_fmac_f32_e32 v65, v8, v2
	v_dot4_i32_i8 v2, v42, v4, 0
	v_dot4_i32_i8 v2, v43, v5, v2
	;; [unrolled: 1-line block ×8, first 2 shown]
	v_cvt_f32_i32_e32 v2, v2
	v_fmac_f32_e32 v64, v3, v2
	ds_read2_b32 v[46:47], v127 offset0:128 offset1:160
	ds_read_b128 v[2:5], v126 offset:4096
	ds_read_b128 v[6:9], v126 offset:4112
	s_waitcnt lgkmcnt(2)
	v_mul_f32_e32 v83, v102, v46
	s_waitcnt lgkmcnt(1)
	v_dot4_i32_i8 v82, v14, v2, 0
	v_dot4_i32_i8 v82, v15, v3, v82
	v_dot4_i32_i8 v82, v16, v4, v82
	v_dot4_i32_i8 v82, v17, v5, v82
	s_waitcnt lgkmcnt(0)
	v_dot4_i32_i8 v82, v20, v6, v82
	v_dot4_i32_i8 v82, v21, v7, v82
	;; [unrolled: 1-line block ×4, first 2 shown]
	v_cvt_f32_i32_e32 v82, v82
	v_fmac_f32_e32 v63, v83, v82
	v_dot4_i32_i8 v82, v18, v2, 0
	v_dot4_i32_i8 v82, v19, v3, v82
	;; [unrolled: 1-line block ×8, first 2 shown]
	v_cvt_f32_i32_e32 v82, v82
	v_mul_f32_e32 v83, v103, v46
	v_fmac_f32_e32 v62, v83, v82
	v_dot4_i32_i8 v82, v28, v2, 0
	v_dot4_i32_i8 v2, v42, v2, 0
	;; [unrolled: 1-line block ×12, first 2 shown]
	v_cvt_f32_i32_e32 v2, v2
	v_dot4_i32_i8 v82, v40, v6, v82
	v_dot4_i32_i8 v82, v41, v7, v82
	;; [unrolled: 1-line block ×3, first 2 shown]
	v_mul_f32_e32 v3, v11, v46
	v_dot4_i32_i8 v82, v45, v9, v82
	v_fmac_f32_e32 v60, v3, v2
	ds_read_b128 v[6:9], v126 offset:5120
	ds_read_b128 v[2:5], v126 offset:5136
	v_mul_f32_e32 v83, v105, v46
	v_cvt_f32_i32_e32 v82, v82
	s_waitcnt lgkmcnt(1)
	v_dot4_i32_i8 v46, v14, v6, 0
	v_dot4_i32_i8 v46, v15, v7, v46
	;; [unrolled: 1-line block ×4, first 2 shown]
	s_waitcnt lgkmcnt(0)
	v_dot4_i32_i8 v46, v20, v2, v46
	v_dot4_i32_i8 v46, v21, v3, v46
	;; [unrolled: 1-line block ×4, first 2 shown]
	v_cvt_f32_i32_e32 v46, v46
	v_fmac_f32_e32 v61, v83, v82
	v_mul_f32_e32 v82, v102, v47
	v_fmac_f32_e32 v59, v82, v46
	v_dot4_i32_i8 v46, v18, v6, 0
	v_dot4_i32_i8 v46, v19, v7, v46
	;; [unrolled: 1-line block ×8, first 2 shown]
	v_cvt_f32_i32_e32 v46, v46
	v_mul_f32_e32 v82, v103, v47
	v_fmac_f32_e32 v58, v82, v46
	v_dot4_i32_i8 v46, v28, v6, 0
	v_dot4_i32_i8 v6, v42, v6, 0
	;; [unrolled: 1-line block ×16, first 2 shown]
	v_cvt_f32_i32_e32 v46, v46
	v_cvt_f32_i32_e32 v2, v2
	v_mul_f32_e32 v82, v105, v47
	v_mul_f32_e32 v3, v11, v47
	v_fmac_f32_e32 v57, v82, v46
	v_fmac_f32_e32 v56, v3, v2
	ds_read2_b32 v[46:47], v127 offset0:192 offset1:224
	ds_read_b128 v[2:5], v126 offset:6144
	ds_read_b128 v[6:9], v126 offset:6160
	v_add_u32_e32 v127, 4, v127
	s_waitcnt lgkmcnt(2)
	v_mul_f32_e32 v83, v102, v46
	s_waitcnt lgkmcnt(1)
	v_dot4_i32_i8 v82, v14, v2, 0
	v_dot4_i32_i8 v82, v15, v3, v82
	;; [unrolled: 1-line block ×4, first 2 shown]
	s_waitcnt lgkmcnt(0)
	v_dot4_i32_i8 v82, v20, v6, v82
	v_dot4_i32_i8 v82, v21, v7, v82
	;; [unrolled: 1-line block ×4, first 2 shown]
	v_cvt_f32_i32_e32 v82, v82
	v_fmac_f32_e32 v55, v83, v82
	v_dot4_i32_i8 v82, v18, v2, 0
	v_dot4_i32_i8 v82, v19, v3, v82
	v_dot4_i32_i8 v82, v24, v4, v82
	v_dot4_i32_i8 v82, v25, v5, v82
	v_dot4_i32_i8 v82, v26, v6, v82
	v_dot4_i32_i8 v82, v27, v7, v82
	v_dot4_i32_i8 v82, v32, v8, v82
	v_dot4_i32_i8 v82, v33, v9, v82
	v_cvt_f32_i32_e32 v82, v82
	v_mul_f32_e32 v83, v103, v46
	v_fmac_f32_e32 v54, v83, v82
	v_dot4_i32_i8 v82, v28, v2, 0
	v_dot4_i32_i8 v2, v42, v2, 0
	;; [unrolled: 1-line block ×12, first 2 shown]
	v_cvt_f32_i32_e32 v2, v2
	v_dot4_i32_i8 v82, v40, v6, v82
	v_dot4_i32_i8 v82, v41, v7, v82
	;; [unrolled: 1-line block ×3, first 2 shown]
	v_mul_f32_e32 v3, v11, v46
	v_dot4_i32_i8 v82, v45, v9, v82
	v_fmac_f32_e32 v52, v3, v2
	ds_read_b128 v[6:9], v126 offset:7168
	ds_read_b128 v[2:5], v126 offset:7184
	v_cvt_f32_i32_e32 v82, v82
	v_mul_f32_e32 v83, v105, v46
	v_add_u32_e32 v126, 32, v126
	s_waitcnt lgkmcnt(1)
	v_dot4_i32_i8 v14, v14, v6, 0
	v_dot4_i32_i8 v14, v15, v7, v14
	;; [unrolled: 1-line block ×4, first 2 shown]
	s_waitcnt lgkmcnt(0)
	v_dot4_i32_i8 v14, v20, v2, v14
	v_dot4_i32_i8 v14, v21, v3, v14
	;; [unrolled: 1-line block ×4, first 2 shown]
	v_cvt_f32_i32_e32 v14, v14
	v_mul_f32_e32 v15, v102, v47
	v_fmac_f32_e32 v53, v83, v82
	v_fmac_f32_e32 v51, v15, v14
	v_dot4_i32_i8 v14, v18, v6, 0
	v_dot4_i32_i8 v14, v19, v7, v14
	;; [unrolled: 1-line block ×8, first 2 shown]
	v_cvt_f32_i32_e32 v14, v14
	v_mul_f32_e32 v15, v103, v47
	v_fmac_f32_e32 v50, v15, v14
	v_dot4_i32_i8 v14, v28, v6, 0
	v_dot4_i32_i8 v6, v42, v6, 0
	;; [unrolled: 1-line block ×16, first 2 shown]
	v_cvt_f32_i32_e32 v14, v14
	v_cvt_f32_i32_e32 v2, v2
	v_mul_f32_e32 v15, v105, v47
	v_mul_f32_e32 v3, v11, v47
	v_fmac_f32_e32 v49, v15, v14
	v_fmac_f32_e32 v48, v3, v2
	s_cbranch_scc1 .LBB125_6
; %bb.7:                                ;   in Loop: Header=BB125_5 Depth=1
	s_add_i32 s9, s9, 4
	s_cmp_ge_i32 s9, s4
	s_barrier
	s_cbranch_scc0 .LBB125_5
; %bb.8:
	buffer_load_dword v1, off, s[16:19], 0 offset:44 ; 4-byte Folded Reload
	buffer_load_dword v20, off, s[16:19], 0 offset:40 ; 4-byte Folded Reload
.LBB125_9:
	s_waitcnt vmcnt(1)
	v_cmp_gt_u32_e32 vcc, s8, v1
	s_and_saveexec_b64 s[0:1], vcc
	s_cbranch_execz .LBB125_60
; %bb.10:
	v_mul_lo_u32 v4, v1, s10
	v_add_u32_e32 v0, s6, v0
	v_cmp_gt_u32_e32 vcc, s10, v0
	s_and_saveexec_b64 s[2:3], vcc
	s_cbranch_execz .LBB125_12
; %bb.11:
	v_add_u32_e32 v1, v0, v4
	v_mov_b32_e32 v2, 0
	v_lshlrev_b64 v[1:2], 2, v[1:2]
	s_waitcnt lgkmcnt(0)
	v_mov_b32_e32 v3, s13
	v_add_co_u32_e64 v1, s[0:1], s12, v1
	v_addc_co_u32_e64 v2, s[0:1], v3, v2, s[0:1]
	global_store_dword v[1:2], v72, off
.LBB125_12:
	s_or_b64 exec, exec, s[2:3]
	v_add_u32_e32 v1, 32, v0
	v_cmp_gt_u32_e64 s[0:1], s10, v1
	s_and_saveexec_b64 s[4:5], s[0:1]
	s_cbranch_execz .LBB125_14
; %bb.13:
	v_add_u32_e32 v2, v1, v4
	v_mov_b32_e32 v3, 0
	v_lshlrev_b64 v[2:3], 2, v[2:3]
	s_waitcnt lgkmcnt(0)
	v_mov_b32_e32 v5, s13
	v_add_co_u32_e64 v2, s[2:3], s12, v2
	v_addc_co_u32_e64 v3, s[2:3], v5, v3, s[2:3]
	global_store_dword v[2:3], v100, off
.LBB125_14:
	s_or_b64 exec, exec, s[4:5]
	v_add_u32_e32 v2, 64, v0
	v_cmp_gt_u32_e64 s[2:3], s10, v2
	s_and_saveexec_b64 s[6:7], s[2:3]
	;; [unrolled: 15-line block ×3, first 2 shown]
	s_cbranch_execz .LBB125_18
; %bb.17:
	v_add_u32_e32 v4, v3, v4
	v_mov_b32_e32 v5, 0
	v_lshlrev_b64 v[4:5], 2, v[4:5]
	s_waitcnt lgkmcnt(0)
	v_mov_b32_e32 v6, s13
	v_add_co_u32_e64 v4, s[6:7], s12, v4
	v_addc_co_u32_e64 v5, s[6:7], v6, v5, s[6:7]
	global_store_dword v[4:5], v88, off
.LBB125_18:
	s_or_b64 exec, exec, s[14:15]
	s_waitcnt vmcnt(0)
	v_add3_u32 v4, v20, s11, 8
	v_cmp_gt_u32_e64 s[6:7], s8, v4
	s_and_b64 exec, exec, s[6:7]
	s_cbranch_execz .LBB125_60
; %bb.19:
	v_mul_lo_u32 v4, v4, s10
	s_and_saveexec_b64 s[14:15], vcc
	s_cbranch_execnz .LBB125_61
; %bb.20:
	s_or_b64 exec, exec, s[14:15]
	s_and_saveexec_b64 s[14:15], s[0:1]
	s_cbranch_execnz .LBB125_62
.LBB125_21:
	s_or_b64 exec, exec, s[14:15]
	s_and_saveexec_b64 s[14:15], s[2:3]
	s_cbranch_execnz .LBB125_63
.LBB125_22:
	s_or_b64 exec, exec, s[14:15]
	s_and_saveexec_b64 s[14:15], s[4:5]
	s_cbranch_execz .LBB125_24
.LBB125_23:
	v_add_u32_e32 v4, v4, v3
	v_mov_b32_e32 v5, 0
	v_lshlrev_b64 v[4:5], 2, v[4:5]
	s_waitcnt lgkmcnt(0)
	v_mov_b32_e32 v6, s13
	v_add_co_u32_e64 v4, s[6:7], s12, v4
	v_addc_co_u32_e64 v5, s[6:7], v6, v5, s[6:7]
	global_store_dword v[4:5], v74, off
.LBB125_24:
	s_or_b64 exec, exec, s[14:15]
	v_add3_u32 v4, v20, s11, 16
	v_cmp_gt_u32_e64 s[6:7], s8, v4
	s_and_b64 exec, exec, s[6:7]
	s_cbranch_execz .LBB125_60
; %bb.25:
	v_mul_lo_u32 v4, v4, s10
	s_and_saveexec_b64 s[14:15], vcc
	s_cbranch_execnz .LBB125_64
; %bb.26:
	s_or_b64 exec, exec, s[14:15]
	s_and_saveexec_b64 s[14:15], s[0:1]
	s_cbranch_execnz .LBB125_65
.LBB125_27:
	s_or_b64 exec, exec, s[14:15]
	s_and_saveexec_b64 s[14:15], s[2:3]
	s_cbranch_execnz .LBB125_66
.LBB125_28:
	s_or_b64 exec, exec, s[14:15]
	s_and_saveexec_b64 s[14:15], s[4:5]
	s_cbranch_execz .LBB125_30
.LBB125_29:
	v_add_u32_e32 v4, v4, v3
	v_mov_b32_e32 v5, 0
	v_lshlrev_b64 v[4:5], 2, v[4:5]
	s_waitcnt lgkmcnt(0)
	v_mov_b32_e32 v6, s13
	v_add_co_u32_e64 v4, s[6:7], s12, v4
	v_addc_co_u32_e64 v5, s[6:7], v6, v5, s[6:7]
	global_store_dword v[4:5], v68, off
.LBB125_30:
	s_or_b64 exec, exec, s[14:15]
	v_add3_u32 v4, v20, s11, 24
	v_cmp_gt_u32_e64 s[6:7], s8, v4
	s_and_b64 exec, exec, s[6:7]
	s_cbranch_execz .LBB125_60
; %bb.31:
	v_mul_lo_u32 v4, v4, s10
	s_and_saveexec_b64 s[14:15], vcc
	s_cbranch_execnz .LBB125_67
; %bb.32:
	s_or_b64 exec, exec, s[14:15]
	s_and_saveexec_b64 s[14:15], s[0:1]
	s_cbranch_execnz .LBB125_68
.LBB125_33:
	s_or_b64 exec, exec, s[14:15]
	s_and_saveexec_b64 s[14:15], s[2:3]
	s_cbranch_execnz .LBB125_69
.LBB125_34:
	s_or_b64 exec, exec, s[14:15]
	s_and_saveexec_b64 s[14:15], s[4:5]
	s_cbranch_execz .LBB125_36
.LBB125_35:
	v_add_u32_e32 v4, v4, v3
	v_mov_b32_e32 v5, 0
	v_lshlrev_b64 v[4:5], 2, v[4:5]
	s_waitcnt lgkmcnt(0)
	v_mov_b32_e32 v6, s13
	v_add_co_u32_e64 v4, s[6:7], s12, v4
	v_addc_co_u32_e64 v5, s[6:7], v6, v5, s[6:7]
	global_store_dword v[4:5], v64, off
.LBB125_36:
	s_or_b64 exec, exec, s[14:15]
	v_add3_u32 v4, v20, s11, 32
	v_cmp_gt_u32_e64 s[6:7], s8, v4
	s_and_b64 exec, exec, s[6:7]
	s_cbranch_execz .LBB125_60
; %bb.37:
	v_mul_lo_u32 v4, v4, s10
	s_and_saveexec_b64 s[14:15], vcc
	s_cbranch_execnz .LBB125_70
; %bb.38:
	s_or_b64 exec, exec, s[14:15]
	s_and_saveexec_b64 s[14:15], s[0:1]
	s_cbranch_execnz .LBB125_71
.LBB125_39:
	s_or_b64 exec, exec, s[14:15]
	s_and_saveexec_b64 s[14:15], s[2:3]
	s_cbranch_execnz .LBB125_72
.LBB125_40:
	s_or_b64 exec, exec, s[14:15]
	s_and_saveexec_b64 s[14:15], s[4:5]
	s_cbranch_execz .LBB125_42
.LBB125_41:
	v_add_u32_e32 v4, v4, v3
	v_mov_b32_e32 v5, 0
	v_lshlrev_b64 v[4:5], 2, v[4:5]
	s_waitcnt lgkmcnt(0)
	v_mov_b32_e32 v6, s13
	v_add_co_u32_e64 v4, s[6:7], s12, v4
	v_addc_co_u32_e64 v5, s[6:7], v6, v5, s[6:7]
	global_store_dword v[4:5], v60, off
.LBB125_42:
	s_or_b64 exec, exec, s[14:15]
	v_add3_u32 v4, v20, s11, 40
	v_cmp_gt_u32_e64 s[6:7], s8, v4
	s_and_b64 exec, exec, s[6:7]
	s_cbranch_execz .LBB125_60
; %bb.43:
	v_mul_lo_u32 v4, v4, s10
	s_and_saveexec_b64 s[14:15], vcc
	s_cbranch_execnz .LBB125_73
; %bb.44:
	s_or_b64 exec, exec, s[14:15]
	s_and_saveexec_b64 s[14:15], s[0:1]
	s_cbranch_execnz .LBB125_74
.LBB125_45:
	s_or_b64 exec, exec, s[14:15]
	s_and_saveexec_b64 s[14:15], s[2:3]
	s_cbranch_execnz .LBB125_75
.LBB125_46:
	s_or_b64 exec, exec, s[14:15]
	s_and_saveexec_b64 s[14:15], s[4:5]
	s_cbranch_execz .LBB125_48
.LBB125_47:
	v_add_u32_e32 v4, v4, v3
	v_mov_b32_e32 v5, 0
	v_lshlrev_b64 v[4:5], 2, v[4:5]
	s_waitcnt lgkmcnt(0)
	v_mov_b32_e32 v6, s13
	v_add_co_u32_e64 v4, s[6:7], s12, v4
	v_addc_co_u32_e64 v5, s[6:7], v6, v5, s[6:7]
	global_store_dword v[4:5], v56, off
.LBB125_48:
	s_or_b64 exec, exec, s[14:15]
	v_add3_u32 v4, v20, s11, 48
	v_cmp_gt_u32_e64 s[6:7], s8, v4
	s_and_b64 exec, exec, s[6:7]
	s_cbranch_execz .LBB125_60
; %bb.49:
	v_mul_lo_u32 v4, v4, s10
	s_and_saveexec_b64 s[14:15], vcc
	s_cbranch_execnz .LBB125_76
; %bb.50:
	s_or_b64 exec, exec, s[14:15]
	s_and_saveexec_b64 s[14:15], s[0:1]
	s_cbranch_execnz .LBB125_77
.LBB125_51:
	s_or_b64 exec, exec, s[14:15]
	s_and_saveexec_b64 s[14:15], s[2:3]
	s_cbranch_execnz .LBB125_78
.LBB125_52:
	s_or_b64 exec, exec, s[14:15]
	s_and_saveexec_b64 s[14:15], s[4:5]
	s_cbranch_execz .LBB125_54
.LBB125_53:
	v_add_u32_e32 v4, v4, v3
	v_mov_b32_e32 v5, 0
	v_lshlrev_b64 v[4:5], 2, v[4:5]
	s_waitcnt lgkmcnt(0)
	v_mov_b32_e32 v6, s13
	v_add_co_u32_e64 v4, s[6:7], s12, v4
	v_addc_co_u32_e64 v5, s[6:7], v6, v5, s[6:7]
	global_store_dword v[4:5], v52, off
.LBB125_54:
	s_or_b64 exec, exec, s[14:15]
	v_add3_u32 v4, v20, s11, 56
	v_cmp_gt_u32_e64 s[6:7], s8, v4
	s_and_b64 exec, exec, s[6:7]
	s_cbranch_execz .LBB125_60
; %bb.55:
	v_mul_lo_u32 v4, v4, s10
	s_and_saveexec_b64 s[6:7], vcc
	s_cbranch_execnz .LBB125_79
; %bb.56:
	s_or_b64 exec, exec, s[6:7]
	s_and_saveexec_b64 s[6:7], s[0:1]
	s_cbranch_execnz .LBB125_80
.LBB125_57:
	s_or_b64 exec, exec, s[6:7]
	s_and_saveexec_b64 s[0:1], s[2:3]
	s_cbranch_execnz .LBB125_81
.LBB125_58:
	s_or_b64 exec, exec, s[0:1]
	s_and_b64 exec, exec, s[4:5]
	s_cbranch_execz .LBB125_60
.LBB125_59:
	v_add_u32_e32 v0, v4, v3
	v_mov_b32_e32 v1, 0
	v_lshlrev_b64 v[0:1], 2, v[0:1]
	s_waitcnt lgkmcnt(0)
	v_mov_b32_e32 v2, s13
	v_add_co_u32_e32 v0, vcc, s12, v0
	v_addc_co_u32_e32 v1, vcc, v2, v1, vcc
	global_store_dword v[0:1], v48, off
.LBB125_60:
	s_endpgm
.LBB125_61:
	v_add_u32_e32 v5, v4, v0
	v_mov_b32_e32 v6, 0
	v_lshlrev_b64 v[5:6], 2, v[5:6]
	s_waitcnt lgkmcnt(0)
	v_mov_b32_e32 v7, s13
	v_add_co_u32_e64 v5, s[6:7], s12, v5
	v_addc_co_u32_e64 v6, s[6:7], v7, v6, s[6:7]
	global_store_dword v[5:6], v77, off
	s_or_b64 exec, exec, s[14:15]
	s_and_saveexec_b64 s[14:15], s[0:1]
	s_cbranch_execz .LBB125_21
.LBB125_62:
	v_add_u32_e32 v5, v4, v1
	v_mov_b32_e32 v6, 0
	v_lshlrev_b64 v[5:6], 2, v[5:6]
	s_waitcnt lgkmcnt(0)
	v_mov_b32_e32 v7, s13
	v_add_co_u32_e64 v5, s[6:7], s12, v5
	v_addc_co_u32_e64 v6, s[6:7], v7, v6, s[6:7]
	global_store_dword v[5:6], v76, off
	s_or_b64 exec, exec, s[14:15]
	s_and_saveexec_b64 s[14:15], s[2:3]
	s_cbranch_execz .LBB125_22
.LBB125_63:
	v_add_u32_e32 v5, v4, v2
	v_mov_b32_e32 v6, 0
	v_lshlrev_b64 v[5:6], 2, v[5:6]
	s_waitcnt lgkmcnt(0)
	v_mov_b32_e32 v7, s13
	v_add_co_u32_e64 v5, s[6:7], s12, v5
	v_addc_co_u32_e64 v6, s[6:7], v7, v6, s[6:7]
	global_store_dword v[5:6], v75, off
	s_or_b64 exec, exec, s[14:15]
	s_and_saveexec_b64 s[14:15], s[4:5]
	s_cbranch_execnz .LBB125_23
	s_branch .LBB125_24
.LBB125_64:
	v_add_u32_e32 v5, v4, v0
	v_mov_b32_e32 v6, 0
	v_lshlrev_b64 v[5:6], 2, v[5:6]
	s_waitcnt lgkmcnt(0)
	v_mov_b32_e32 v7, s13
	v_add_co_u32_e64 v5, s[6:7], s12, v5
	v_addc_co_u32_e64 v6, s[6:7], v7, v6, s[6:7]
	global_store_dword v[5:6], v73, off
	s_or_b64 exec, exec, s[14:15]
	s_and_saveexec_b64 s[14:15], s[0:1]
	s_cbranch_execz .LBB125_27
.LBB125_65:
	v_add_u32_e32 v5, v4, v1
	v_mov_b32_e32 v6, 0
	v_lshlrev_b64 v[5:6], 2, v[5:6]
	s_waitcnt lgkmcnt(0)
	v_mov_b32_e32 v7, s13
	v_add_co_u32_e64 v5, s[6:7], s12, v5
	v_addc_co_u32_e64 v6, s[6:7], v7, v6, s[6:7]
	global_store_dword v[5:6], v71, off
	s_or_b64 exec, exec, s[14:15]
	s_and_saveexec_b64 s[14:15], s[2:3]
	s_cbranch_execz .LBB125_28
.LBB125_66:
	v_add_u32_e32 v5, v4, v2
	v_mov_b32_e32 v6, 0
	v_lshlrev_b64 v[5:6], 2, v[5:6]
	s_waitcnt lgkmcnt(0)
	v_mov_b32_e32 v7, s13
	v_add_co_u32_e64 v5, s[6:7], s12, v5
	v_addc_co_u32_e64 v6, s[6:7], v7, v6, s[6:7]
	global_store_dword v[5:6], v69, off
	s_or_b64 exec, exec, s[14:15]
	s_and_saveexec_b64 s[14:15], s[4:5]
	s_cbranch_execnz .LBB125_29
	s_branch .LBB125_30
.LBB125_67:
	v_add_u32_e32 v5, v4, v0
	v_mov_b32_e32 v6, 0
	v_lshlrev_b64 v[5:6], 2, v[5:6]
	s_waitcnt lgkmcnt(0)
	v_mov_b32_e32 v7, s13
	v_add_co_u32_e64 v5, s[6:7], s12, v5
	v_addc_co_u32_e64 v6, s[6:7], v7, v6, s[6:7]
	global_store_dword v[5:6], v67, off
	s_or_b64 exec, exec, s[14:15]
	s_and_saveexec_b64 s[14:15], s[0:1]
	s_cbranch_execz .LBB125_33
.LBB125_68:
	v_add_u32_e32 v5, v4, v1
	v_mov_b32_e32 v6, 0
	v_lshlrev_b64 v[5:6], 2, v[5:6]
	s_waitcnt lgkmcnt(0)
	v_mov_b32_e32 v7, s13
	v_add_co_u32_e64 v5, s[6:7], s12, v5
	v_addc_co_u32_e64 v6, s[6:7], v7, v6, s[6:7]
	global_store_dword v[5:6], v66, off
	s_or_b64 exec, exec, s[14:15]
	s_and_saveexec_b64 s[14:15], s[2:3]
	s_cbranch_execz .LBB125_34
.LBB125_69:
	v_add_u32_e32 v5, v4, v2
	v_mov_b32_e32 v6, 0
	v_lshlrev_b64 v[5:6], 2, v[5:6]
	s_waitcnt lgkmcnt(0)
	v_mov_b32_e32 v7, s13
	v_add_co_u32_e64 v5, s[6:7], s12, v5
	v_addc_co_u32_e64 v6, s[6:7], v7, v6, s[6:7]
	global_store_dword v[5:6], v65, off
	s_or_b64 exec, exec, s[14:15]
	s_and_saveexec_b64 s[14:15], s[4:5]
	s_cbranch_execnz .LBB125_35
	s_branch .LBB125_36
.LBB125_70:
	v_add_u32_e32 v5, v4, v0
	v_mov_b32_e32 v6, 0
	v_lshlrev_b64 v[5:6], 2, v[5:6]
	s_waitcnt lgkmcnt(0)
	v_mov_b32_e32 v7, s13
	v_add_co_u32_e64 v5, s[6:7], s12, v5
	v_addc_co_u32_e64 v6, s[6:7], v7, v6, s[6:7]
	global_store_dword v[5:6], v63, off
	s_or_b64 exec, exec, s[14:15]
	s_and_saveexec_b64 s[14:15], s[0:1]
	s_cbranch_execz .LBB125_39
.LBB125_71:
	v_add_u32_e32 v5, v4, v1
	v_mov_b32_e32 v6, 0
	v_lshlrev_b64 v[5:6], 2, v[5:6]
	s_waitcnt lgkmcnt(0)
	v_mov_b32_e32 v7, s13
	v_add_co_u32_e64 v5, s[6:7], s12, v5
	v_addc_co_u32_e64 v6, s[6:7], v7, v6, s[6:7]
	global_store_dword v[5:6], v62, off
	s_or_b64 exec, exec, s[14:15]
	s_and_saveexec_b64 s[14:15], s[2:3]
	s_cbranch_execz .LBB125_40
.LBB125_72:
	v_add_u32_e32 v5, v4, v2
	v_mov_b32_e32 v6, 0
	v_lshlrev_b64 v[5:6], 2, v[5:6]
	s_waitcnt lgkmcnt(0)
	v_mov_b32_e32 v7, s13
	v_add_co_u32_e64 v5, s[6:7], s12, v5
	v_addc_co_u32_e64 v6, s[6:7], v7, v6, s[6:7]
	global_store_dword v[5:6], v61, off
	s_or_b64 exec, exec, s[14:15]
	s_and_saveexec_b64 s[14:15], s[4:5]
	s_cbranch_execnz .LBB125_41
	s_branch .LBB125_42
.LBB125_73:
	v_add_u32_e32 v5, v4, v0
	v_mov_b32_e32 v6, 0
	v_lshlrev_b64 v[5:6], 2, v[5:6]
	s_waitcnt lgkmcnt(0)
	v_mov_b32_e32 v7, s13
	v_add_co_u32_e64 v5, s[6:7], s12, v5
	v_addc_co_u32_e64 v6, s[6:7], v7, v6, s[6:7]
	global_store_dword v[5:6], v59, off
	s_or_b64 exec, exec, s[14:15]
	s_and_saveexec_b64 s[14:15], s[0:1]
	s_cbranch_execz .LBB125_45
.LBB125_74:
	v_add_u32_e32 v5, v4, v1
	v_mov_b32_e32 v6, 0
	v_lshlrev_b64 v[5:6], 2, v[5:6]
	s_waitcnt lgkmcnt(0)
	v_mov_b32_e32 v7, s13
	v_add_co_u32_e64 v5, s[6:7], s12, v5
	v_addc_co_u32_e64 v6, s[6:7], v7, v6, s[6:7]
	global_store_dword v[5:6], v58, off
	s_or_b64 exec, exec, s[14:15]
	s_and_saveexec_b64 s[14:15], s[2:3]
	s_cbranch_execz .LBB125_46
.LBB125_75:
	v_add_u32_e32 v5, v4, v2
	v_mov_b32_e32 v6, 0
	v_lshlrev_b64 v[5:6], 2, v[5:6]
	s_waitcnt lgkmcnt(0)
	v_mov_b32_e32 v7, s13
	v_add_co_u32_e64 v5, s[6:7], s12, v5
	v_addc_co_u32_e64 v6, s[6:7], v7, v6, s[6:7]
	global_store_dword v[5:6], v57, off
	s_or_b64 exec, exec, s[14:15]
	s_and_saveexec_b64 s[14:15], s[4:5]
	s_cbranch_execnz .LBB125_47
	s_branch .LBB125_48
.LBB125_76:
	v_add_u32_e32 v5, v4, v0
	v_mov_b32_e32 v6, 0
	v_lshlrev_b64 v[5:6], 2, v[5:6]
	s_waitcnt lgkmcnt(0)
	v_mov_b32_e32 v7, s13
	v_add_co_u32_e64 v5, s[6:7], s12, v5
	v_addc_co_u32_e64 v6, s[6:7], v7, v6, s[6:7]
	global_store_dword v[5:6], v55, off
	s_or_b64 exec, exec, s[14:15]
	s_and_saveexec_b64 s[14:15], s[0:1]
	s_cbranch_execz .LBB125_51
.LBB125_77:
	v_add_u32_e32 v5, v4, v1
	v_mov_b32_e32 v6, 0
	v_lshlrev_b64 v[5:6], 2, v[5:6]
	s_waitcnt lgkmcnt(0)
	v_mov_b32_e32 v7, s13
	v_add_co_u32_e64 v5, s[6:7], s12, v5
	v_addc_co_u32_e64 v6, s[6:7], v7, v6, s[6:7]
	global_store_dword v[5:6], v54, off
	s_or_b64 exec, exec, s[14:15]
	s_and_saveexec_b64 s[14:15], s[2:3]
	s_cbranch_execz .LBB125_52
.LBB125_78:
	v_add_u32_e32 v5, v4, v2
	v_mov_b32_e32 v6, 0
	v_lshlrev_b64 v[5:6], 2, v[5:6]
	s_waitcnt lgkmcnt(0)
	v_mov_b32_e32 v7, s13
	v_add_co_u32_e64 v5, s[6:7], s12, v5
	v_addc_co_u32_e64 v6, s[6:7], v7, v6, s[6:7]
	global_store_dword v[5:6], v53, off
	s_or_b64 exec, exec, s[14:15]
	s_and_saveexec_b64 s[14:15], s[4:5]
	s_cbranch_execnz .LBB125_53
	s_branch .LBB125_54
.LBB125_79:
	v_add_u32_e32 v5, v4, v0
	v_mov_b32_e32 v6, 0
	v_lshlrev_b64 v[5:6], 2, v[5:6]
	s_waitcnt lgkmcnt(0)
	v_mov_b32_e32 v0, s13
	v_add_co_u32_e32 v5, vcc, s12, v5
	v_addc_co_u32_e32 v6, vcc, v0, v6, vcc
	global_store_dword v[5:6], v51, off
	s_or_b64 exec, exec, s[6:7]
	s_and_saveexec_b64 s[6:7], s[0:1]
	s_cbranch_execz .LBB125_57
.LBB125_80:
	v_add_u32_e32 v0, v4, v1
	v_mov_b32_e32 v1, 0
	v_lshlrev_b64 v[0:1], 2, v[0:1]
	s_waitcnt lgkmcnt(0)
	v_mov_b32_e32 v5, s13
	v_add_co_u32_e32 v0, vcc, s12, v0
	v_addc_co_u32_e32 v1, vcc, v5, v1, vcc
	global_store_dword v[0:1], v50, off
	s_or_b64 exec, exec, s[6:7]
	s_and_saveexec_b64 s[0:1], s[2:3]
	s_cbranch_execz .LBB125_58
.LBB125_81:
	v_add_u32_e32 v0, v4, v2
	v_mov_b32_e32 v1, 0
	v_lshlrev_b64 v[0:1], 2, v[0:1]
	s_waitcnt lgkmcnt(0)
	v_mov_b32_e32 v2, s13
	v_add_co_u32_e32 v0, vcc, s12, v0
	v_addc_co_u32_e32 v1, vcc, v2, v1, vcc
	global_store_dword v[0:1], v49, off
	s_or_b64 exec, exec, s[0:1]
	s_and_b64 exec, exec, s[4:5]
	s_cbranch_execnz .LBB125_59
	s_branch .LBB125_60
	.section	.rodata,"a",@progbits
	.p2align	6, 0x0
	.amdhsa_kernel _ZL12mul_mat_q8_0IfLb0EEvPKvS1_PT_iiiii
		.amdhsa_group_segment_fixed_size 28224
		.amdhsa_private_segment_fixed_size 52
		.amdhsa_kernarg_size 44
		.amdhsa_user_sgpr_count 6
		.amdhsa_user_sgpr_private_segment_buffer 1
		.amdhsa_user_sgpr_dispatch_ptr 0
		.amdhsa_user_sgpr_queue_ptr 0
		.amdhsa_user_sgpr_kernarg_segment_ptr 1
		.amdhsa_user_sgpr_dispatch_id 0
		.amdhsa_user_sgpr_flat_scratch_init 0
		.amdhsa_user_sgpr_private_segment_size 0
		.amdhsa_uses_dynamic_stack 0
		.amdhsa_system_sgpr_private_segment_wavefront_offset 1
		.amdhsa_system_sgpr_workgroup_id_x 1
		.amdhsa_system_sgpr_workgroup_id_y 1
		.amdhsa_system_sgpr_workgroup_id_z 0
		.amdhsa_system_sgpr_workgroup_info 0
		.amdhsa_system_vgpr_workitem_id 1
		.amdhsa_next_free_vgpr 128
		.amdhsa_next_free_sgpr 98
		.amdhsa_reserve_vcc 1
		.amdhsa_reserve_flat_scratch 0
		.amdhsa_float_round_mode_32 0
		.amdhsa_float_round_mode_16_64 0
		.amdhsa_float_denorm_mode_32 3
		.amdhsa_float_denorm_mode_16_64 3
		.amdhsa_dx10_clamp 1
		.amdhsa_ieee_mode 1
		.amdhsa_fp16_overflow 0
		.amdhsa_exception_fp_ieee_invalid_op 0
		.amdhsa_exception_fp_denorm_src 0
		.amdhsa_exception_fp_ieee_div_zero 0
		.amdhsa_exception_fp_ieee_overflow 0
		.amdhsa_exception_fp_ieee_underflow 0
		.amdhsa_exception_fp_ieee_inexact 0
		.amdhsa_exception_int_div_zero 0
	.end_amdhsa_kernel
	.section	.text._ZL12mul_mat_q8_0IfLb0EEvPKvS1_PT_iiiii,"axG",@progbits,_ZL12mul_mat_q8_0IfLb0EEvPKvS1_PT_iiiii,comdat
.Lfunc_end125:
	.size	_ZL12mul_mat_q8_0IfLb0EEvPKvS1_PT_iiiii, .Lfunc_end125-_ZL12mul_mat_q8_0IfLb0EEvPKvS1_PT_iiiii
                                        ; -- End function
	.set _ZL12mul_mat_q8_0IfLb0EEvPKvS1_PT_iiiii.num_vgpr, 128
	.set _ZL12mul_mat_q8_0IfLb0EEvPKvS1_PT_iiiii.num_agpr, 0
	.set _ZL12mul_mat_q8_0IfLb0EEvPKvS1_PT_iiiii.numbered_sgpr, 20
	.set _ZL12mul_mat_q8_0IfLb0EEvPKvS1_PT_iiiii.num_named_barrier, 0
	.set _ZL12mul_mat_q8_0IfLb0EEvPKvS1_PT_iiiii.private_seg_size, 52
	.set _ZL12mul_mat_q8_0IfLb0EEvPKvS1_PT_iiiii.uses_vcc, 1
	.set _ZL12mul_mat_q8_0IfLb0EEvPKvS1_PT_iiiii.uses_flat_scratch, 0
	.set _ZL12mul_mat_q8_0IfLb0EEvPKvS1_PT_iiiii.has_dyn_sized_stack, 0
	.set _ZL12mul_mat_q8_0IfLb0EEvPKvS1_PT_iiiii.has_recursion, 0
	.set _ZL12mul_mat_q8_0IfLb0EEvPKvS1_PT_iiiii.has_indirect_call, 0
	.section	.AMDGPU.csdata,"",@progbits
; Kernel info:
; codeLenInByte = 7976
; TotalNumSgprs: 24
; NumVgprs: 128
; ScratchSize: 52
; MemoryBound: 0
; FloatMode: 240
; IeeeMode: 1
; LDSByteSize: 28224 bytes/workgroup (compile time only)
; SGPRBlocks: 12
; VGPRBlocks: 31
; NumSGPRsForWavesPerEU: 102
; NumVGPRsForWavesPerEU: 128
; Occupancy: 2
; WaveLimiterHint : 0
; COMPUTE_PGM_RSRC2:SCRATCH_EN: 1
; COMPUTE_PGM_RSRC2:USER_SGPR: 6
; COMPUTE_PGM_RSRC2:TRAP_HANDLER: 0
; COMPUTE_PGM_RSRC2:TGID_X_EN: 1
; COMPUTE_PGM_RSRC2:TGID_Y_EN: 1
; COMPUTE_PGM_RSRC2:TGID_Z_EN: 0
; COMPUTE_PGM_RSRC2:TIDIG_COMP_CNT: 1
	.section	.text._ZL12mul_mat_q8_0IfLb1EEvPKvS1_PT_iiiii,"axG",@progbits,_ZL12mul_mat_q8_0IfLb1EEvPKvS1_PT_iiiii,comdat
	.globl	_ZL12mul_mat_q8_0IfLb1EEvPKvS1_PT_iiiii ; -- Begin function _ZL12mul_mat_q8_0IfLb1EEvPKvS1_PT_iiiii
	.p2align	8
	.type	_ZL12mul_mat_q8_0IfLb1EEvPKvS1_PT_iiiii,@function
_ZL12mul_mat_q8_0IfLb1EEvPKvS1_PT_iiiii: ; @_ZL12mul_mat_q8_0IfLb1EEvPKvS1_PT_iiiii
; %bb.0:
	s_mov_b64 s[22:23], s[2:3]
	s_mov_b64 s[20:21], s[0:1]
	s_add_u32 s20, s20, s8
	s_load_dwordx4 s[8:11], s[4:5], 0x18
	s_load_dword s14, s[4:5], 0x28
	s_addc_u32 s21, s21, 0
	v_mov_b32_e32 v30, v1
	s_lshl_b32 s15, s7, 6
	s_waitcnt lgkmcnt(0)
	s_cmp_gt_i32 s8, 31
	v_add_u32_e32 v29, s15, v30
	s_cbranch_scc1 .LBB126_2
; %bb.1:
	v_add_u32_e32 v1, s15, v30
	s_mov_b64 s[0:1], 0
	s_branch .LBB126_3
.LBB126_2:
	s_mov_b64 s[0:1], -1
                                        ; implicit-def: $vgpr1
.LBB126_3:
	s_load_dwordx2 s[12:13], s[4:5], 0x10
	s_lshl_b32 s6, s6, 7
	v_mov_b32_e32 v64, 0
	s_andn2_b64 vcc, exec, s[0:1]
	v_mov_b32_e32 v68, 0
	v_mov_b32_e32 v72, 0
	v_mov_b32_e32 v76, 0
	v_mov_b32_e32 v80, 0
	v_mov_b32_e32 v85, 0
	v_mov_b32_e32 v90, 0
	v_mov_b32_e32 v108, 0
	v_mov_b32_e32 v65, 0
	v_mov_b32_e32 v69, 0
	v_mov_b32_e32 v73, 0
	v_mov_b32_e32 v77, 0
	v_mov_b32_e32 v81, 0
	v_mov_b32_e32 v87, 0
	v_mov_b32_e32 v91, 0
	v_mov_b32_e32 v113, 0
	v_mov_b32_e32 v66, 0
	v_mov_b32_e32 v70, 0
	v_mov_b32_e32 v74, 0
	v_mov_b32_e32 v78, 0
	v_mov_b32_e32 v82, 0
	v_mov_b32_e32 v88, 0
	v_mov_b32_e32 v96, 0
	v_mov_b32_e32 v116, 0
	v_mov_b32_e32 v67, 0
	v_mov_b32_e32 v71, 0
	v_mov_b32_e32 v75, 0
	v_mov_b32_e32 v79, 0
	v_mov_b32_e32 v83, 0
	v_mov_b32_e32 v89, 0
	v_mov_b32_e32 v101, 0
	v_mov_b32_e32 v86, 0
	s_cbranch_vccnz .LBB126_9
; %bb.4:
	s_load_dwordx4 s[0:3], s[4:5], 0x0
	s_ashr_i32 s4, s8, 31
	s_lshr_b32 s4, s4, 27
	s_ashr_i32 s5, s11, 31
	s_add_i32 s4, s8, s4
	s_lshr_b32 s5, s5, 27
	s_ashr_i32 s4, s4, 5
	s_add_i32 s5, s11, s5
	s_ashr_i32 s8, s5, 5
	s_mul_i32 s5, s4, s6
	s_mul_hi_i32 s7, s5, 34
	s_mul_i32 s5, s5, 34
	s_waitcnt lgkmcnt(0)
	s_add_u32 s5, s0, s5
	s_addc_u32 s7, s1, s7
	s_not_b32 s0, s6
	s_add_i32 s9, s9, s0
	v_min_i32_e32 v2, s9, v30
	v_mul_lo_u32 v3, v2, s4
	v_lshlrev_b32_e32 v1, 2, v0
	s_movk_i32 s11, 0x84
	v_add_u32_e32 v9, 8, v30
	buffer_store_dword v3, off, s[20:23], 0 ; 4-byte Folded Spill
	v_mad_u64_u32 v[2:3], s[0:1], v2, s11, v[1:2]
	buffer_store_dword v2, off, s[20:23], 0 offset:4 ; 4-byte Folded Spill
	s_nop 0
	buffer_store_dword v3, off, s[20:23], 0 offset:8 ; 4-byte Folded Spill
	v_min_i32_e32 v2, s9, v9
	v_mul_lo_u32 v3, v2, s4
	v_add_u32_e32 v10, 16, v30
	v_add_u32_e32 v13, 24, v30
	;; [unrolled: 1-line block ×3, first 2 shown]
	buffer_store_dword v3, off, s[20:23], 0 offset:12 ; 4-byte Folded Spill
	v_mad_u64_u32 v[2:3], s[0:1], v2, s11, v[1:2]
	buffer_store_dword v2, off, s[20:23], 0 offset:16 ; 4-byte Folded Spill
	s_nop 0
	buffer_store_dword v3, off, s[20:23], 0 offset:20 ; 4-byte Folded Spill
	v_min_i32_e32 v2, s9, v10
	v_mul_lo_u32 v3, v2, s4
	v_add_u32_e32 v15, 40, v30
	v_add_u32_e32 v16, 48, v30
	v_add_u32_e32 v17, 56, v30
	buffer_store_dword v3, off, s[20:23], 0 offset:24 ; 4-byte Folded Spill
	v_mad_u64_u32 v[2:3], s[0:1], v2, s11, v[1:2]
	buffer_store_dword v2, off, s[20:23], 0 offset:28 ; 4-byte Folded Spill
	s_nop 0
	buffer_store_dword v3, off, s[20:23], 0 offset:32 ; 4-byte Folded Spill
	v_min_i32_e32 v2, s9, v13
	v_mul_lo_u32 v3, v2, s4
	v_and_b32_e32 v93, 28, v1
	v_and_b32_e32 v23, 3, v0
	v_lshlrev_b32_e32 v11, 2, v23
	buffer_store_dword v3, off, s[20:23], 0 offset:36 ; 4-byte Folded Spill
	v_mad_u64_u32 v[2:3], s[0:1], v2, s11, v[1:2]
	buffer_store_dword v2, off, s[20:23], 0 offset:40 ; 4-byte Folded Spill
	s_nop 0
	buffer_store_dword v3, off, s[20:23], 0 offset:44 ; 4-byte Folded Spill
	v_min_i32_e32 v2, s9, v14
	v_mul_lo_u32 v3, v2, s4
	v_and_b32_e32 v6, 31, v0
	v_mov_b32_e32 v7, 0x4200
	v_lshl_or_b32 v117, v6, 2, v7
	buffer_store_dword v3, off, s[20:23], 0 offset:48 ; 4-byte Folded Spill
	v_mad_u64_u32 v[2:3], s[0:1], v2, s11, v[1:2]
	buffer_store_dword v2, off, s[20:23], 0 offset:52 ; 4-byte Folded Spill
	s_nop 0
	buffer_store_dword v3, off, s[20:23], 0 offset:56 ; 4-byte Folded Spill
	v_min_i32_e32 v2, s9, v15
	v_mul_lo_u32 v3, v2, s4
	v_add_u32_e32 v7, 16, v29
	v_cvt_f64_u32_e32 v[7:8], v7
	v_mov_b32_e32 v109, v23
	buffer_store_dword v3, off, s[20:23], 0 offset:60 ; 4-byte Folded Spill
	v_mad_u64_u32 v[2:3], s[0:1], v2, s11, v[1:2]
	buffer_store_dword v2, off, s[20:23], 0 offset:64 ; 4-byte Folded Spill
	s_nop 0
	buffer_store_dword v3, off, s[20:23], 0 offset:68 ; 4-byte Folded Spill
	v_min_i32_e32 v2, s9, v16
	v_mul_lo_u32 v3, v2, s4
	v_lshrrev_b32_e32 v31, 3, v0
	v_mov_b32_e32 v86, 0
	v_lshlrev_b32_e32 v120, 7, v30
	buffer_store_dword v3, off, s[20:23], 0 offset:72 ; 4-byte Folded Spill
	v_mad_u64_u32 v[2:3], s[0:1], v2, s11, v[1:2]
	buffer_store_dword v2, off, s[20:23], 0 offset:76 ; 4-byte Folded Spill
	s_nop 0
	buffer_store_dword v3, off, s[20:23], 0 offset:80 ; 4-byte Folded Spill
	v_min_i32_e32 v2, s9, v17
	v_mul_lo_u32 v3, v2, s4
	v_mov_b32_e32 v110, v31
	v_mov_b32_e32 v101, 0
	v_mov_b32_e32 v89, 0
	buffer_store_dword v3, off, s[20:23], 0 offset:84 ; 4-byte Folded Spill
	v_mad_u64_u32 v[2:3], s[0:1], v2, s11, v[1:2]
	buffer_store_dword v2, off, s[20:23], 0 offset:88 ; 4-byte Folded Spill
	s_nop 0
	buffer_store_dword v3, off, s[20:23], 0 offset:92 ; 4-byte Folded Spill
	v_add_u32_e32 v2, 64, v30
	v_min_i32_e32 v2, s9, v2
	v_mul_lo_u32 v3, v2, s4
	v_mov_b32_e32 v83, 0
	v_mov_b32_e32 v79, 0
	v_mov_b32_e32 v75, 0
	buffer_store_dword v3, off, s[20:23], 0 offset:96 ; 4-byte Folded Spill
	v_mad_u64_u32 v[2:3], s[0:1], v2, s11, v[1:2]
	buffer_store_dword v2, off, s[20:23], 0 offset:100 ; 4-byte Folded Spill
	s_nop 0
	buffer_store_dword v3, off, s[20:23], 0 offset:104 ; 4-byte Folded Spill
	v_add_u32_e32 v2, 0x48, v30
	;; [unrolled: 11-line block ×5, first 2 shown]
	v_min_i32_e32 v2, s9, v2
	v_mul_lo_u32 v107, v2, s4
	v_mad_u64_u32 v[2:3], s[0:1], v2, s11, v[1:2]
	buffer_store_dword v2, off, s[20:23], 0 offset:144 ; 4-byte Folded Spill
	s_nop 0
	buffer_store_dword v3, off, s[20:23], 0 offset:148 ; 4-byte Folded Spill
	v_add_u32_e32 v2, 0x68, v30
	v_min_i32_e32 v2, s9, v2
	v_mul_lo_u32 v3, v2, s4
	v_mov_b32_e32 v66, 0
	v_mov_b32_e32 v113, 0
	;; [unrolled: 1-line block ×3, first 2 shown]
	buffer_store_dword v3, off, s[20:23], 0 offset:152 ; 4-byte Folded Spill
	v_mad_u64_u32 v[2:3], s[0:1], v2, s11, v[1:2]
	buffer_store_dword v2, off, s[20:23], 0 offset:156 ; 4-byte Folded Spill
	s_nop 0
	buffer_store_dword v3, off, s[20:23], 0 offset:160 ; 4-byte Folded Spill
	v_add_u32_e32 v2, 0x70, v30
	v_min_i32_e32 v2, s9, v2
	v_mul_lo_u32 v111, v2, s4
	v_mad_u64_u32 v[24:25], s[0:1], v2, s11, v[1:2]
	v_add_u32_e32 v2, 0x78, v30
	v_min_i32_e32 v2, s9, v2
	v_mad_u64_u32 v[25:26], s[0:1], v2, s11, v[1:2]
	v_lshrrev_b32_e32 v1, 2, v0
	v_lshl_add_u32 v5, v30, 3, v1
	v_min_i32_e32 v1, s9, v5
	v_mul_lo_u32 v112, v2, s4
	v_ashrrev_i32_e32 v2, 31, v1
	v_lshrrev_b32_e32 v2, 29, v2
	v_add_u32_e32 v2, v1, v2
	v_mul_lo_u32 v114, v1, s4
	v_ashrrev_i32_e32 v2, 3, v2
	v_lshlrev_b32_e32 v19, 4, v1
	v_add_u32_e32 v1, 64, v5
	v_lshlrev_b32_e32 v2, 2, v2
	s_movk_i32 s11, 0x6200
	v_min_i32_e32 v1, s9, v1
	v_add3_u32 v18, v2, v11, s11
	v_ashrrev_i32_e32 v2, 31, v1
	v_lshrrev_b32_e32 v2, 29, v2
	v_add_u32_e32 v2, v1, v2
	v_ashrrev_i32_e32 v2, 3, v2
	v_lshlrev_b32_e32 v2, 2, v2
	s_add_i32 s0, s10, -1
	v_mul_lo_u32 v115, v1, s4
	v_add3_u32 v20, v2, v11, s11
	v_lshlrev_b32_e32 v21, 4, v1
	v_cvt_f64_i32_e32 v[1:2], s0
	v_cvt_f64_u32_e32 v[3:4], v29
	v_and_b32_e32 v12, 63, v5
	v_add_u32_e32 v5, 8, v29
	v_cvt_f64_u32_e32 v[5:6], v5
	v_min_f64 v[3:4], v[3:4], v[1:2]
	v_min_f64 v[7:8], v[7:8], v[1:2]
	v_or_b32_e32 v22, s15, v12
	v_min_f64 v[5:6], v[5:6], v[1:2]
	v_min_i32_e32 v22, s0, v22
	v_mad_u64_u32 v[27:28], s[0:1], v22, s8, v[23:24]
	v_lshlrev_b32_e32 v22, 7, v9
	v_cvt_i32_f64_e32 v3, v[3:4]
	v_lshl_or_b32 v4, v12, 4, v11
	v_add_u32_e32 v118, 0x6a40, v4
	v_cvt_i32_f64_e32 v4, v[5:6]
	v_mul_lo_u32 v119, s8, v3
	v_cvt_i32_f64_e32 v3, v[7:8]
	v_add_u32_e32 v7, 40, v29
	v_mul_lo_u32 v121, s8, v4
	v_cvt_f64_u32_e32 v[7:8], v7
	v_mul_lo_u32 v122, s8, v3
	v_add_u32_e32 v3, 24, v29
	v_cvt_f64_u32_e32 v[3:4], v3
	v_add_u32_e32 v5, 32, v29
	v_add_u32_e32 v9, 48, v29
	;; [unrolled: 1-line block ×3, first 2 shown]
	v_min_f64 v[3:4], v[3:4], v[1:2]
	v_cvt_f64_u32_e32 v[5:6], v5
	v_lshlrev_b32_e32 v23, 7, v10
	v_cvt_f64_u32_e32 v[9:10], v9
	v_cvt_f64_u32_e32 v[11:12], v11
	v_min_f64 v[7:8], v[7:8], v[1:2]
	v_min_f64 v[5:6], v[5:6], v[1:2]
	v_add_co_u32_e32 v28, vcc, s2, v93
	v_cvt_i32_f64_e32 v26, v[3:4]
	v_min_f64 v[3:4], v[9:10], v[1:2]
	v_min_f64 v[1:2], v[11:12], v[1:2]
	v_mov_b32_e32 v9, s3
	v_cvt_i32_f64_e32 v7, v[7:8]
	v_cvt_i32_f64_e32 v5, v[5:6]
	v_add_u32_e32 v8, 0x60, v0
	v_lshrrev_b32_e32 v8, 1, v8
	v_mul_lo_u32 v125, s8, v7
	v_cvt_i32_f64_e32 v3, v[3:4]
	v_cvt_i32_f64_e32 v1, v[1:2]
	v_add_u32_e32 v7, 64, v0
	buffer_store_dword v29, off, s[20:23], 0 offset:164 ; 4-byte Folded Spill
	v_add_u32_e32 v4, 32, v0
	v_addc_co_u32_e32 v29, vcc, 0, v9, vcc
	v_lshlrev_b32_e32 v9, 4, v0
	v_and_b32_e32 v8, 0xfc, v8
	s_movk_i32 s0, 0x6800
	v_lshrrev_b32_e32 v7, 1, v7
	v_mul_lo_u32 v127, s8, v1
	v_lshlrev_b32_e32 v1, 7, v17
	v_add3_u32 v17, v9, v8, s0
	v_and_b32_e32 v7, 0xfc, v7
	s_movk_i32 s0, 0x6600
	v_lshrrev_b32_e32 v4, 1, v4
	v_mul_lo_u32 v123, s8, v26
	v_mul_lo_u32 v124, s8, v5
	;; [unrolled: 1-line block ×3, first 2 shown]
	v_add3_u32 v103, v9, v7, s0
	v_and_b32_e32 v4, 0xfc, v4
	s_movk_i32 s0, 0x6400
	v_lshlrev_b32_e32 v3, 7, v16
	v_add3_u32 v16, v9, v4, s0
	v_lshlrev_b32_e32 v4, 2, v31
	v_lshlrev_b32_e32 v6, 7, v13
	;; [unrolled: 1-line block ×4, first 2 shown]
	v_add3_u32 v102, v9, v4, s11
	v_mov_b32_e32 v4, 0x6a40
	v_lshl_add_u32 v15, v30, 4, v4
	s_mov_b32 s8, 0
	v_add_u32_e32 v10, v18, v19
	v_add_u32_e32 v95, v20, v21
	;; [unrolled: 1-line block ×9, first 2 shown]
	v_mov_b32_e32 v87, 0
	v_mov_b32_e32 v81, 0
	;; [unrolled: 1-line block ×14, first 2 shown]
	buffer_store_dword v30, off, s[20:23], 0 offset:168 ; 4-byte Folded Spill
.LBB126_5:                              ; =>This Loop Header: Depth=1
                                        ;     Child Loop BB126_6 Depth 2
	buffer_load_dword v1, off, s[20:23], 0  ; 4-byte Folded Reload
	s_mul_i32 s0, s8, 34
	s_mul_hi_u32 s1, s8, 34
	s_add_u32 s0, s5, s0
	s_addc_u32 s1, s7, s1
	v_mov_b32_e32 v6, v110
	v_mad_u64_u32 v[2:3], s[16:17], v6, 34, s[0:1]
	v_add_u32_e32 v100, 0x4200, v120
	v_mov_b32_e32 v94, v15
	v_mov_b32_e32 v92, v16
	;; [unrolled: 1-line block ×4, first 2 shown]
	v_mul_u32_u24_e32 v104, 0x84, v0
	s_waitcnt vmcnt(0)
	v_mad_i64_i32 v[4:5], s[16:17], v1, 34, v[2:3]
	v_add_co_u32_e32 v4, vcc, v4, v93
	v_addc_co_u32_e32 v5, vcc, 0, v5, vcc
	global_load_dword v1, v[4:5], off offset:2
	s_nop 0
	buffer_load_dword v4, off, s[20:23], 0 offset:4 ; 4-byte Folded Reload
	buffer_load_dword v5, off, s[20:23], 0 offset:8 ; 4-byte Folded Reload
	s_waitcnt vmcnt(1)
	ds_write_b32 v4, v1
	buffer_load_dword v1, off, s[20:23], 0 offset:12 ; 4-byte Folded Reload
	s_waitcnt vmcnt(0)
	v_mad_i64_i32 v[4:5], s[16:17], v1, 34, v[2:3]
	v_add_co_u32_e32 v4, vcc, v4, v93
	v_addc_co_u32_e32 v5, vcc, 0, v5, vcc
	global_load_dword v1, v[4:5], off offset:2
	s_nop 0
	buffer_load_dword v4, off, s[20:23], 0 offset:16 ; 4-byte Folded Reload
	buffer_load_dword v5, off, s[20:23], 0 offset:20 ; 4-byte Folded Reload
	s_waitcnt vmcnt(1)
	ds_write_b32 v4, v1
	buffer_load_dword v1, off, s[20:23], 0 offset:24 ; 4-byte Folded Reload
	;; [unrolled: 11-line block ×11, first 2 shown]
	s_waitcnt vmcnt(0)
	v_mad_i64_i32 v[4:5], s[16:17], v1, 34, v[2:3]
	v_add_co_u32_e32 v4, vcc, v4, v93
	v_addc_co_u32_e32 v5, vcc, 0, v5, vcc
	global_load_dword v1, v[4:5], off offset:2
	s_nop 0
	buffer_load_dword v4, off, s[20:23], 0 offset:136 ; 4-byte Folded Reload
	buffer_load_dword v5, off, s[20:23], 0 offset:140 ; 4-byte Folded Reload
	s_waitcnt vmcnt(1)
	ds_write_b32 v4, v1
	s_waitcnt vmcnt(0)
	v_mad_i64_i32 v[4:5], s[16:17], v107, 34, v[2:3]
	v_add_co_u32_e32 v4, vcc, v4, v93
	v_addc_co_u32_e32 v5, vcc, 0, v5, vcc
	global_load_dword v1, v[4:5], off offset:2
	s_nop 0
	buffer_load_dword v4, off, s[20:23], 0 offset:144 ; 4-byte Folded Reload
	buffer_load_dword v5, off, s[20:23], 0 offset:148 ; 4-byte Folded Reload
	s_waitcnt vmcnt(1)
	ds_write_b32 v4, v1
	buffer_load_dword v1, off, s[20:23], 0 offset:152 ; 4-byte Folded Reload
	s_waitcnt vmcnt(0)
	v_mad_i64_i32 v[4:5], s[16:17], v1, 34, v[2:3]
	v_add_co_u32_e32 v4, vcc, v4, v93
	v_addc_co_u32_e32 v5, vcc, 0, v5, vcc
	global_load_dword v1, v[4:5], off offset:2
	s_nop 0
	buffer_load_dword v4, off, s[20:23], 0 offset:156 ; 4-byte Folded Reload
	buffer_load_dword v5, off, s[20:23], 0 offset:160 ; 4-byte Folded Reload
	s_waitcnt vmcnt(1)
	ds_write_b32 v4, v1
	s_waitcnt vmcnt(0)
	v_mad_i64_i32 v[4:5], s[16:17], v111, 34, v[2:3]
	v_add_co_u32_e32 v4, vcc, v4, v93
	v_addc_co_u32_e32 v5, vcc, 0, v5, vcc
	global_load_dword v1, v[4:5], off offset:2
	s_waitcnt vmcnt(0)
	ds_write_b32 v24, v1
	v_mad_i64_i32 v[1:2], s[16:17], v112, 34, v[2:3]
	v_add_co_u32_e32 v1, vcc, v1, v93
	v_addc_co_u32_e32 v2, vcc, 0, v2, vcc
	global_load_dword v1, v[1:2], off offset:2
	s_waitcnt vmcnt(0)
	ds_write_b32 v25, v1
	v_mad_u64_u32 v[1:2], s[0:1], v109, 34, s[0:1]
	v_mad_i64_i32 v[3:4], s[0:1], v114, 34, v[1:2]
	v_mad_i64_i32 v[1:2], s[0:1], v115, 34, v[1:2]
	global_load_ushort v3, v[3:4], off
	s_nop 0
	global_load_ushort v1, v[1:2], off
	s_waitcnt vmcnt(1)
	v_cvt_f32_f16_e32 v3, v3
	s_waitcnt vmcnt(0)
	v_cvt_f32_f16_e32 v1, v1
	ds_write_b32 v10, v3
	v_add_u32_e32 v3, s8, v6
	ds_write_b32 v95, v1
	v_add_u32_e32 v1, s8, v27
	v_mad_u64_u32 v[1:2], s[0:1], v1, 36, s[2:3]
	global_load_dword v4, v[1:2], off
	v_add_u32_e32 v1, v3, v119
	v_mad_i64_i32 v[1:2], s[0:1], v1, 36, v[28:29]
	global_load_dword v1, v[1:2], off offset:4
	v_add_u32_e32 v2, v117, v120
	s_waitcnt vmcnt(0)
	ds_write_b32 v2, v1
	v_add_u32_e32 v1, v3, v121
	v_mad_i64_i32 v[1:2], s[0:1], v1, 36, v[28:29]
	global_load_dword v1, v[1:2], off offset:4
	s_waitcnt vmcnt(0)
	ds_write_b32 v11, v1
	v_add_u32_e32 v1, v3, v122
	v_mad_i64_i32 v[1:2], s[0:1], v1, 36, v[28:29]
	global_load_dword v1, v[1:2], off offset:4
	;; [unrolled: 5-line block ×6, first 2 shown]
	s_waitcnt vmcnt(0)
	ds_write_b32 v99, v1
	v_add_u32_e32 v1, v3, v127
	v_mad_i64_i32 v[1:2], s[0:1], v1, 36, v[28:29]
	s_mov_b32 s0, -8
	global_load_dword v1, v[1:2], off offset:4
	s_waitcnt vmcnt(0)
	ds_write_b32 v14, v1
	v_cvt_f32_f16_e32 v1, v4
	ds_write_b32 v118, v1
	v_mov_b32_e32 v1, v102
	s_waitcnt lgkmcnt(0)
	s_barrier
.LBB126_6:                              ;   Parent Loop BB126_5 Depth=1
                                        ; =>  This Inner Loop Header: Depth=2
	ds_read2_b32 v[62:63], v94 offset1:32
	ds_read_b128 v[6:9], v100
	ds_read_b128 v[2:5], v100 offset:16
	ds_read_b32 v105, v1
	ds_read2_b32 v[30:31], v104 offset1:1
	ds_read2_b32 v[32:33], v104 offset0:2 offset1:3
	ds_read2_b32 v[36:37], v104 offset0:4 offset1:5
	;; [unrolled: 1-line block ×3, first 2 shown]
	s_waitcnt lgkmcnt(4)
	v_mul_f32_e32 v19, v62, v105
	s_waitcnt lgkmcnt(3)
	v_dot4_i32_i8 v18, v30, v6, 0
	v_dot4_i32_i8 v18, v31, v7, v18
	s_waitcnt lgkmcnt(2)
	v_dot4_i32_i8 v18, v32, v8, v18
	v_dot4_i32_i8 v18, v33, v9, v18
	;; [unrolled: 3-line block ×4, first 2 shown]
	v_cvt_f32_i32_e32 v18, v18
	v_add_u32_e32 v20, 0x1088, v104
	v_mul_f32_e32 v21, v105, v63
	s_add_i32 s0, s0, 8
	v_fmac_f32_e32 v86, v19, v18
	v_add_u32_e32 v18, 0x1080, v104
	ds_read_b32 v19, v92
	ds_read2_b32 v[34:35], v18 offset1:1
	ds_read2_b32 v[40:41], v20 offset1:1
	v_add_u32_e32 v20, 0x1090, v104
	ds_read2_b32 v[42:43], v20 offset1:1
	v_add_u32_e32 v20, 0x1098, v104
	s_waitcnt lgkmcnt(2)
	v_dot4_i32_i8 v18, v34, v6, 0
	v_dot4_i32_i8 v18, v35, v7, v18
	ds_read2_b32 v[48:49], v20 offset1:1
	s_waitcnt lgkmcnt(2)
	v_dot4_i32_i8 v18, v40, v8, v18
	v_dot4_i32_i8 v18, v41, v9, v18
	s_waitcnt lgkmcnt(1)
	v_dot4_i32_i8 v18, v42, v2, v18
	v_dot4_i32_i8 v18, v43, v3, v18
	;; [unrolled: 3-line block ×3, first 2 shown]
	v_cvt_f32_i32_e32 v18, v18
	v_mul_f32_e32 v20, v62, v19
	v_add_u32_e32 v92, 4, v92
	v_add_u32_e32 v1, 4, v1
	v_fmac_f32_e32 v116, v20, v18
	v_add_u32_e32 v18, 0x2100, v104
	ds_read_b32 v106, v26
	ds_read2_b32 v[44:45], v18 offset1:1
	v_add_u32_e32 v20, 0x2108, v104
	ds_read2_b32 v[52:53], v20 offset1:1
	v_add_u32_e32 v20, 0x2110, v104
	ds_read2_b32 v[56:57], v20 offset1:1
	s_waitcnt lgkmcnt(2)
	v_dot4_i32_i8 v18, v44, v6, 0
	v_add_u32_e32 v20, 0x2118, v104
	v_dot4_i32_i8 v18, v45, v7, v18
	ds_read2_b32 v[60:61], v20 offset1:1
	s_waitcnt lgkmcnt(2)
	v_dot4_i32_i8 v18, v52, v8, v18
	v_dot4_i32_i8 v18, v53, v9, v18
	s_waitcnt lgkmcnt(1)
	v_dot4_i32_i8 v18, v56, v2, v18
	v_dot4_i32_i8 v18, v57, v3, v18
	;; [unrolled: 3-line block ×3, first 2 shown]
	v_cvt_f32_i32_e32 v18, v18
	v_mul_f32_e32 v20, v62, v106
	v_add_u32_e32 v26, 4, v26
	s_cmp_lt_u32 s0, 24
	v_fmac_f32_e32 v113, v20, v18
	v_add_u32_e32 v20, 0x3180, v104
	ds_read_b32 v18, v84
	ds_read2_b32 v[58:59], v20 offset1:1
	v_add_u32_e32 v84, 4, v84
	s_waitcnt lgkmcnt(0)
	v_dot4_i32_i8 v6, v58, v6, 0
	v_dot4_i32_i8 v6, v59, v7, v6
	v_add_u32_e32 v7, 0x3188, v104
	ds_read2_b32 v[46:47], v7 offset1:1
	v_add_u32_e32 v7, 0x3190, v104
	ds_read2_b32 v[50:51], v7 offset1:1
	s_waitcnt lgkmcnt(1)
	v_dot4_i32_i8 v6, v46, v8, v6
	v_dot4_i32_i8 v6, v47, v9, v6
	s_waitcnt lgkmcnt(0)
	v_dot4_i32_i8 v2, v50, v2, v6
	v_dot4_i32_i8 v2, v51, v3, v2
	v_add_u32_e32 v3, 0x3198, v104
	ds_read2_b32 v[54:55], v3 offset1:1
	v_mul_f32_e32 v3, v62, v18
	v_add_u32_e32 v104, 32, v104
	s_waitcnt lgkmcnt(0)
	v_dot4_i32_i8 v2, v54, v4, v2
	v_dot4_i32_i8 v2, v55, v5, v2
	v_cvt_f32_i32_e32 v2, v2
	v_fmac_f32_e32 v108, v3, v2
	ds_read_b128 v[2:5], v100 offset:1024
	ds_read_b128 v[6:9], v100 offset:1040
	s_waitcnt lgkmcnt(1)
	v_dot4_i32_i8 v20, v30, v2, 0
	v_dot4_i32_i8 v20, v31, v3, v20
	;; [unrolled: 1-line block ×4, first 2 shown]
	s_waitcnt lgkmcnt(0)
	v_dot4_i32_i8 v20, v36, v6, v20
	v_dot4_i32_i8 v20, v37, v7, v20
	;; [unrolled: 1-line block ×4, first 2 shown]
	v_cvt_f32_i32_e32 v20, v20
	v_fmac_f32_e32 v101, v21, v20
	v_dot4_i32_i8 v20, v34, v2, 0
	v_dot4_i32_i8 v20, v35, v3, v20
	;; [unrolled: 1-line block ×8, first 2 shown]
	v_cvt_f32_i32_e32 v20, v20
	v_mul_f32_e32 v21, v19, v63
	v_fmac_f32_e32 v96, v21, v20
	v_dot4_i32_i8 v20, v44, v2, 0
	v_dot4_i32_i8 v2, v58, v2, 0
	v_dot4_i32_i8 v20, v45, v3, v20
	v_dot4_i32_i8 v2, v59, v3, v2
	v_dot4_i32_i8 v20, v52, v4, v20
	v_dot4_i32_i8 v2, v46, v4, v2
	v_dot4_i32_i8 v20, v53, v5, v20
	v_dot4_i32_i8 v2, v47, v5, v2
	v_dot4_i32_i8 v20, v56, v6, v20
	v_dot4_i32_i8 v2, v50, v6, v2
	v_dot4_i32_i8 v20, v57, v7, v20
	v_dot4_i32_i8 v2, v51, v7, v2
	v_dot4_i32_i8 v20, v60, v8, v20
	v_dot4_i32_i8 v2, v54, v8, v2
	v_dot4_i32_i8 v20, v61, v9, v20
	v_dot4_i32_i8 v2, v55, v9, v2
	v_cvt_f32_i32_e32 v20, v20
	v_cvt_f32_i32_e32 v2, v2
	v_mul_f32_e32 v21, v106, v63
	v_mul_f32_e32 v3, v18, v63
	v_fmac_f32_e32 v91, v21, v20
	v_fmac_f32_e32 v90, v3, v2
	ds_read2_b32 v[2:3], v94 offset0:64 offset1:96
	ds_read_b128 v[4:7], v100 offset:2048
	ds_read_b128 v[20:23], v100 offset:2064
	s_waitcnt lgkmcnt(2)
	v_mul_f32_e32 v9, v105, v2
	s_waitcnt lgkmcnt(1)
	v_dot4_i32_i8 v8, v30, v4, 0
	v_dot4_i32_i8 v8, v31, v5, v8
	;; [unrolled: 1-line block ×4, first 2 shown]
	s_waitcnt lgkmcnt(0)
	v_dot4_i32_i8 v8, v36, v20, v8
	v_dot4_i32_i8 v8, v37, v21, v8
	;; [unrolled: 1-line block ×4, first 2 shown]
	v_cvt_f32_i32_e32 v8, v8
	v_fmac_f32_e32 v89, v9, v8
	v_dot4_i32_i8 v8, v34, v4, 0
	v_dot4_i32_i8 v8, v35, v5, v8
	;; [unrolled: 1-line block ×8, first 2 shown]
	v_cvt_f32_i32_e32 v8, v8
	v_mul_f32_e32 v9, v19, v2
	v_fmac_f32_e32 v88, v9, v8
	v_dot4_i32_i8 v8, v44, v4, 0
	v_dot4_i32_i8 v4, v58, v4, 0
	;; [unrolled: 1-line block ×12, first 2 shown]
	v_cvt_f32_i32_e32 v4, v4
	v_dot4_i32_i8 v8, v56, v20, v8
	v_dot4_i32_i8 v8, v57, v21, v8
	;; [unrolled: 1-line block ×3, first 2 shown]
	v_mul_f32_e32 v9, v106, v2
	v_mul_f32_e32 v2, v18, v2
	v_dot4_i32_i8 v8, v61, v23, v8
	v_fmac_f32_e32 v85, v2, v4
	ds_read_b128 v[4:7], v100 offset:3072
	ds_read_b128 v[20:23], v100 offset:3088
	v_cvt_f32_i32_e32 v8, v8
	s_waitcnt lgkmcnt(1)
	v_dot4_i32_i8 v2, v30, v4, 0
	v_dot4_i32_i8 v2, v31, v5, v2
	;; [unrolled: 1-line block ×4, first 2 shown]
	s_waitcnt lgkmcnt(0)
	v_dot4_i32_i8 v2, v36, v20, v2
	v_dot4_i32_i8 v2, v37, v21, v2
	;; [unrolled: 1-line block ×4, first 2 shown]
	v_cvt_f32_i32_e32 v2, v2
	v_fmac_f32_e32 v87, v9, v8
	v_mul_f32_e32 v8, v105, v3
	v_fmac_f32_e32 v83, v8, v2
	v_dot4_i32_i8 v2, v34, v4, 0
	v_dot4_i32_i8 v2, v35, v5, v2
	;; [unrolled: 1-line block ×8, first 2 shown]
	v_cvt_f32_i32_e32 v2, v2
	v_mul_f32_e32 v8, v19, v3
	v_fmac_f32_e32 v82, v8, v2
	v_dot4_i32_i8 v2, v44, v4, 0
	v_dot4_i32_i8 v2, v45, v5, v2
	;; [unrolled: 1-line block ×8, first 2 shown]
	v_cvt_f32_i32_e32 v2, v2
	v_mul_f32_e32 v8, v106, v3
	v_mul_f32_e32 v3, v18, v3
	v_fmac_f32_e32 v81, v8, v2
	v_dot4_i32_i8 v2, v58, v4, 0
	v_dot4_i32_i8 v2, v59, v5, v2
	v_dot4_i32_i8 v2, v46, v6, v2
	v_dot4_i32_i8 v2, v47, v7, v2
	v_dot4_i32_i8 v2, v50, v20, v2
	v_dot4_i32_i8 v2, v51, v21, v2
	v_dot4_i32_i8 v2, v54, v22, v2
	v_dot4_i32_i8 v2, v55, v23, v2
	v_cvt_f32_i32_e32 v2, v2
	v_fmac_f32_e32 v80, v3, v2
	ds_read2_b32 v[62:63], v94 offset0:128 offset1:160
	ds_read_b128 v[2:5], v100 offset:4096
	ds_read_b128 v[6:9], v100 offset:4112
	s_waitcnt lgkmcnt(2)
	v_mul_f32_e32 v21, v105, v62
	s_waitcnt lgkmcnt(1)
	v_dot4_i32_i8 v20, v30, v2, 0
	v_dot4_i32_i8 v20, v31, v3, v20
	;; [unrolled: 1-line block ×4, first 2 shown]
	s_waitcnt lgkmcnt(0)
	v_dot4_i32_i8 v20, v36, v6, v20
	v_dot4_i32_i8 v20, v37, v7, v20
	;; [unrolled: 1-line block ×4, first 2 shown]
	v_cvt_f32_i32_e32 v20, v20
	v_fmac_f32_e32 v79, v21, v20
	v_dot4_i32_i8 v20, v34, v2, 0
	v_dot4_i32_i8 v20, v35, v3, v20
	;; [unrolled: 1-line block ×8, first 2 shown]
	v_cvt_f32_i32_e32 v20, v20
	v_mul_f32_e32 v21, v19, v62
	v_fmac_f32_e32 v78, v21, v20
	v_dot4_i32_i8 v20, v44, v2, 0
	v_dot4_i32_i8 v2, v58, v2, 0
	;; [unrolled: 1-line block ×13, first 2 shown]
	v_cvt_f32_i32_e32 v2, v2
	v_dot4_i32_i8 v20, v57, v7, v20
	v_dot4_i32_i8 v20, v60, v8, v20
	;; [unrolled: 1-line block ×3, first 2 shown]
	v_mul_f32_e32 v3, v18, v62
	v_cvt_f32_i32_e32 v20, v20
	v_fmac_f32_e32 v76, v3, v2
	ds_read_b128 v[6:9], v100 offset:5120
	ds_read_b128 v[2:5], v100 offset:5136
	v_mul_f32_e32 v21, v106, v62
	v_fmac_f32_e32 v77, v21, v20
	v_mul_f32_e32 v21, v105, v63
	s_waitcnt lgkmcnt(1)
	v_dot4_i32_i8 v20, v30, v6, 0
	v_dot4_i32_i8 v20, v31, v7, v20
	v_dot4_i32_i8 v20, v32, v8, v20
	v_dot4_i32_i8 v20, v33, v9, v20
	s_waitcnt lgkmcnt(0)
	v_dot4_i32_i8 v20, v36, v2, v20
	v_dot4_i32_i8 v20, v37, v3, v20
	;; [unrolled: 1-line block ×4, first 2 shown]
	v_cvt_f32_i32_e32 v20, v20
	v_fmac_f32_e32 v75, v21, v20
	v_dot4_i32_i8 v20, v34, v6, 0
	v_dot4_i32_i8 v20, v35, v7, v20
	;; [unrolled: 1-line block ×8, first 2 shown]
	v_cvt_f32_i32_e32 v20, v20
	v_mul_f32_e32 v21, v19, v63
	v_fmac_f32_e32 v74, v21, v20
	v_dot4_i32_i8 v20, v44, v6, 0
	v_dot4_i32_i8 v6, v58, v6, 0
	;; [unrolled: 1-line block ×13, first 2 shown]
	v_cvt_f32_i32_e32 v2, v2
	v_dot4_i32_i8 v20, v57, v3, v20
	v_dot4_i32_i8 v20, v60, v4, v20
	;; [unrolled: 1-line block ×3, first 2 shown]
	v_mul_f32_e32 v3, v18, v63
	v_mul_f32_e32 v21, v106, v63
	v_cvt_f32_i32_e32 v20, v20
	v_fmac_f32_e32 v72, v3, v2
	ds_read2_b32 v[62:63], v94 offset0:192 offset1:224
	ds_read_b128 v[2:5], v100 offset:6144
	ds_read_b128 v[6:9], v100 offset:6160
	v_add_u32_e32 v94, 4, v94
	v_fmac_f32_e32 v73, v21, v20
	s_waitcnt lgkmcnt(2)
	v_mul_f32_e32 v21, v105, v62
	s_waitcnt lgkmcnt(1)
	v_dot4_i32_i8 v20, v30, v2, 0
	v_dot4_i32_i8 v20, v31, v3, v20
	v_dot4_i32_i8 v20, v32, v4, v20
	v_dot4_i32_i8 v20, v33, v5, v20
	s_waitcnt lgkmcnt(0)
	v_dot4_i32_i8 v20, v36, v6, v20
	v_dot4_i32_i8 v20, v37, v7, v20
	v_dot4_i32_i8 v20, v38, v8, v20
	v_dot4_i32_i8 v20, v39, v9, v20
	v_cvt_f32_i32_e32 v20, v20
	v_fmac_f32_e32 v71, v21, v20
	v_dot4_i32_i8 v20, v34, v2, 0
	v_dot4_i32_i8 v20, v35, v3, v20
	;; [unrolled: 1-line block ×8, first 2 shown]
	v_cvt_f32_i32_e32 v20, v20
	v_mul_f32_e32 v21, v19, v62
	v_mul_f32_e32 v19, v19, v63
	v_fmac_f32_e32 v70, v21, v20
	v_dot4_i32_i8 v20, v44, v2, 0
	v_dot4_i32_i8 v2, v58, v2, 0
	;; [unrolled: 1-line block ×13, first 2 shown]
	v_cvt_f32_i32_e32 v2, v2
	v_dot4_i32_i8 v20, v57, v7, v20
	v_dot4_i32_i8 v20, v60, v8, v20
	v_dot4_i32_i8 v20, v61, v9, v20
	v_mul_f32_e32 v3, v18, v62
	v_cvt_f32_i32_e32 v20, v20
	v_fmac_f32_e32 v68, v3, v2
	ds_read_b128 v[6:9], v100 offset:7168
	ds_read_b128 v[2:5], v100 offset:7184
	v_mul_f32_e32 v21, v106, v62
	v_fmac_f32_e32 v69, v21, v20
	v_mul_f32_e32 v21, v105, v63
	s_waitcnt lgkmcnt(1)
	v_dot4_i32_i8 v20, v30, v6, 0
	v_dot4_i32_i8 v20, v31, v7, v20
	;; [unrolled: 1-line block ×4, first 2 shown]
	s_waitcnt lgkmcnt(0)
	v_dot4_i32_i8 v20, v36, v2, v20
	v_dot4_i32_i8 v20, v37, v3, v20
	;; [unrolled: 1-line block ×4, first 2 shown]
	v_cvt_f32_i32_e32 v20, v20
	v_add_u32_e32 v100, 32, v100
	v_fmac_f32_e32 v67, v21, v20
	v_dot4_i32_i8 v20, v34, v6, 0
	v_dot4_i32_i8 v20, v35, v7, v20
	;; [unrolled: 1-line block ×8, first 2 shown]
	v_cvt_f32_i32_e32 v20, v20
	v_fmac_f32_e32 v66, v19, v20
	v_dot4_i32_i8 v19, v44, v6, 0
	v_dot4_i32_i8 v6, v58, v6, 0
	;; [unrolled: 1-line block ×16, first 2 shown]
	v_cvt_f32_i32_e32 v19, v19
	v_cvt_f32_i32_e32 v2, v2
	v_mul_f32_e32 v20, v106, v63
	v_mul_f32_e32 v3, v18, v63
	v_fmac_f32_e32 v65, v20, v19
	v_fmac_f32_e32 v64, v3, v2
	s_cbranch_scc1 .LBB126_6
; %bb.7:                                ;   in Loop: Header=BB126_5 Depth=1
	s_add_i32 s8, s8, 4
	s_cmp_ge_i32 s8, s4
	s_barrier
	s_cbranch_scc0 .LBB126_5
; %bb.8:
	buffer_load_dword v1, off, s[20:23], 0 offset:164 ; 4-byte Folded Reload
	buffer_load_dword v30, off, s[20:23], 0 offset:168 ; 4-byte Folded Reload
.LBB126_9:
	s_waitcnt vmcnt(1)
	v_cmp_gt_u32_e32 vcc, s10, v1
	s_and_saveexec_b64 s[0:1], vcc
	s_cbranch_execz .LBB126_60
; %bb.10:
	v_mul_lo_u32 v4, v1, s14
	v_add_u32_e32 v0, s6, v0
	v_cmp_gt_u32_e32 vcc, s14, v0
	s_and_saveexec_b64 s[2:3], vcc
	s_cbranch_execz .LBB126_12
; %bb.11:
	v_add_u32_e32 v1, v0, v4
	v_mov_b32_e32 v2, 0
	v_lshlrev_b64 v[1:2], 2, v[1:2]
	s_waitcnt lgkmcnt(0)
	v_mov_b32_e32 v3, s13
	v_add_co_u32_e64 v1, s[0:1], s12, v1
	v_addc_co_u32_e64 v2, s[0:1], v3, v2, s[0:1]
	global_store_dword v[1:2], v86, off
.LBB126_12:
	s_or_b64 exec, exec, s[2:3]
	v_add_u32_e32 v1, 32, v0
	v_cmp_gt_u32_e64 s[0:1], s14, v1
	s_and_saveexec_b64 s[4:5], s[0:1]
	s_cbranch_execz .LBB126_14
; %bb.13:
	v_add_u32_e32 v2, v1, v4
	v_mov_b32_e32 v3, 0
	v_lshlrev_b64 v[2:3], 2, v[2:3]
	s_waitcnt lgkmcnt(0)
	v_mov_b32_e32 v5, s13
	v_add_co_u32_e64 v2, s[2:3], s12, v2
	v_addc_co_u32_e64 v3, s[2:3], v5, v3, s[2:3]
	global_store_dword v[2:3], v116, off
.LBB126_14:
	s_or_b64 exec, exec, s[4:5]
	v_add_u32_e32 v2, 64, v0
	v_cmp_gt_u32_e64 s[2:3], s14, v2
	s_and_saveexec_b64 s[6:7], s[2:3]
	;; [unrolled: 15-line block ×3, first 2 shown]
	s_cbranch_execz .LBB126_18
; %bb.17:
	v_add_u32_e32 v4, v3, v4
	v_mov_b32_e32 v5, 0
	v_lshlrev_b64 v[4:5], 2, v[4:5]
	s_waitcnt lgkmcnt(0)
	v_mov_b32_e32 v6, s13
	v_add_co_u32_e64 v4, s[6:7], s12, v4
	v_addc_co_u32_e64 v5, s[6:7], v6, v5, s[6:7]
	global_store_dword v[4:5], v108, off
.LBB126_18:
	s_or_b64 exec, exec, s[8:9]
	s_waitcnt vmcnt(0)
	v_add3_u32 v4, v30, s15, 8
	v_cmp_gt_u32_e64 s[6:7], s10, v4
	s_and_b64 exec, exec, s[6:7]
	s_cbranch_execz .LBB126_60
; %bb.19:
	v_mul_lo_u32 v4, v4, s14
	s_and_saveexec_b64 s[8:9], vcc
	s_cbranch_execnz .LBB126_61
; %bb.20:
	s_or_b64 exec, exec, s[8:9]
	s_and_saveexec_b64 s[8:9], s[0:1]
	s_cbranch_execnz .LBB126_62
.LBB126_21:
	s_or_b64 exec, exec, s[8:9]
	s_and_saveexec_b64 s[8:9], s[2:3]
	s_cbranch_execnz .LBB126_63
.LBB126_22:
	s_or_b64 exec, exec, s[8:9]
	s_and_saveexec_b64 s[8:9], s[4:5]
	s_cbranch_execz .LBB126_24
.LBB126_23:
	v_add_u32_e32 v4, v4, v3
	v_mov_b32_e32 v5, 0
	v_lshlrev_b64 v[4:5], 2, v[4:5]
	s_waitcnt lgkmcnt(0)
	v_mov_b32_e32 v6, s13
	v_add_co_u32_e64 v4, s[6:7], s12, v4
	v_addc_co_u32_e64 v5, s[6:7], v6, v5, s[6:7]
	global_store_dword v[4:5], v90, off
.LBB126_24:
	s_or_b64 exec, exec, s[8:9]
	v_add3_u32 v4, v30, s15, 16
	v_cmp_gt_u32_e64 s[6:7], s10, v4
	s_and_b64 exec, exec, s[6:7]
	s_cbranch_execz .LBB126_60
; %bb.25:
	v_mul_lo_u32 v4, v4, s14
	s_and_saveexec_b64 s[8:9], vcc
	s_cbranch_execnz .LBB126_64
; %bb.26:
	s_or_b64 exec, exec, s[8:9]
	s_and_saveexec_b64 s[8:9], s[0:1]
	s_cbranch_execnz .LBB126_65
.LBB126_27:
	s_or_b64 exec, exec, s[8:9]
	s_and_saveexec_b64 s[8:9], s[2:3]
	s_cbranch_execnz .LBB126_66
.LBB126_28:
	s_or_b64 exec, exec, s[8:9]
	s_and_saveexec_b64 s[8:9], s[4:5]
	s_cbranch_execz .LBB126_30
.LBB126_29:
	v_add_u32_e32 v4, v4, v3
	v_mov_b32_e32 v5, 0
	v_lshlrev_b64 v[4:5], 2, v[4:5]
	s_waitcnt lgkmcnt(0)
	v_mov_b32_e32 v6, s13
	v_add_co_u32_e64 v4, s[6:7], s12, v4
	v_addc_co_u32_e64 v5, s[6:7], v6, v5, s[6:7]
	global_store_dword v[4:5], v85, off
.LBB126_30:
	s_or_b64 exec, exec, s[8:9]
	v_add3_u32 v4, v30, s15, 24
	v_cmp_gt_u32_e64 s[6:7], s10, v4
	s_and_b64 exec, exec, s[6:7]
	s_cbranch_execz .LBB126_60
; %bb.31:
	v_mul_lo_u32 v4, v4, s14
	s_and_saveexec_b64 s[8:9], vcc
	s_cbranch_execnz .LBB126_67
; %bb.32:
	s_or_b64 exec, exec, s[8:9]
	s_and_saveexec_b64 s[8:9], s[0:1]
	s_cbranch_execnz .LBB126_68
.LBB126_33:
	s_or_b64 exec, exec, s[8:9]
	s_and_saveexec_b64 s[8:9], s[2:3]
	s_cbranch_execnz .LBB126_69
.LBB126_34:
	s_or_b64 exec, exec, s[8:9]
	s_and_saveexec_b64 s[8:9], s[4:5]
	s_cbranch_execz .LBB126_36
.LBB126_35:
	v_add_u32_e32 v4, v4, v3
	v_mov_b32_e32 v5, 0
	v_lshlrev_b64 v[4:5], 2, v[4:5]
	s_waitcnt lgkmcnt(0)
	v_mov_b32_e32 v6, s13
	v_add_co_u32_e64 v4, s[6:7], s12, v4
	v_addc_co_u32_e64 v5, s[6:7], v6, v5, s[6:7]
	global_store_dword v[4:5], v80, off
.LBB126_36:
	s_or_b64 exec, exec, s[8:9]
	v_add3_u32 v4, v30, s15, 32
	v_cmp_gt_u32_e64 s[6:7], s10, v4
	s_and_b64 exec, exec, s[6:7]
	s_cbranch_execz .LBB126_60
; %bb.37:
	v_mul_lo_u32 v4, v4, s14
	s_and_saveexec_b64 s[8:9], vcc
	s_cbranch_execnz .LBB126_70
; %bb.38:
	s_or_b64 exec, exec, s[8:9]
	s_and_saveexec_b64 s[8:9], s[0:1]
	s_cbranch_execnz .LBB126_71
.LBB126_39:
	s_or_b64 exec, exec, s[8:9]
	s_and_saveexec_b64 s[8:9], s[2:3]
	s_cbranch_execnz .LBB126_72
.LBB126_40:
	s_or_b64 exec, exec, s[8:9]
	s_and_saveexec_b64 s[8:9], s[4:5]
	s_cbranch_execz .LBB126_42
.LBB126_41:
	v_add_u32_e32 v4, v4, v3
	v_mov_b32_e32 v5, 0
	v_lshlrev_b64 v[4:5], 2, v[4:5]
	s_waitcnt lgkmcnt(0)
	v_mov_b32_e32 v6, s13
	v_add_co_u32_e64 v4, s[6:7], s12, v4
	v_addc_co_u32_e64 v5, s[6:7], v6, v5, s[6:7]
	global_store_dword v[4:5], v76, off
.LBB126_42:
	s_or_b64 exec, exec, s[8:9]
	v_add3_u32 v4, v30, s15, 40
	v_cmp_gt_u32_e64 s[6:7], s10, v4
	s_and_b64 exec, exec, s[6:7]
	s_cbranch_execz .LBB126_60
; %bb.43:
	v_mul_lo_u32 v4, v4, s14
	s_and_saveexec_b64 s[8:9], vcc
	s_cbranch_execnz .LBB126_73
; %bb.44:
	s_or_b64 exec, exec, s[8:9]
	s_and_saveexec_b64 s[8:9], s[0:1]
	s_cbranch_execnz .LBB126_74
.LBB126_45:
	s_or_b64 exec, exec, s[8:9]
	s_and_saveexec_b64 s[8:9], s[2:3]
	s_cbranch_execnz .LBB126_75
.LBB126_46:
	s_or_b64 exec, exec, s[8:9]
	s_and_saveexec_b64 s[8:9], s[4:5]
	s_cbranch_execz .LBB126_48
.LBB126_47:
	v_add_u32_e32 v4, v4, v3
	v_mov_b32_e32 v5, 0
	v_lshlrev_b64 v[4:5], 2, v[4:5]
	s_waitcnt lgkmcnt(0)
	v_mov_b32_e32 v6, s13
	v_add_co_u32_e64 v4, s[6:7], s12, v4
	v_addc_co_u32_e64 v5, s[6:7], v6, v5, s[6:7]
	global_store_dword v[4:5], v72, off
.LBB126_48:
	s_or_b64 exec, exec, s[8:9]
	v_add3_u32 v4, v30, s15, 48
	v_cmp_gt_u32_e64 s[6:7], s10, v4
	s_and_b64 exec, exec, s[6:7]
	s_cbranch_execz .LBB126_60
; %bb.49:
	v_mul_lo_u32 v4, v4, s14
	s_and_saveexec_b64 s[8:9], vcc
	s_cbranch_execnz .LBB126_76
; %bb.50:
	s_or_b64 exec, exec, s[8:9]
	s_and_saveexec_b64 s[8:9], s[0:1]
	s_cbranch_execnz .LBB126_77
.LBB126_51:
	s_or_b64 exec, exec, s[8:9]
	s_and_saveexec_b64 s[8:9], s[2:3]
	s_cbranch_execnz .LBB126_78
.LBB126_52:
	s_or_b64 exec, exec, s[8:9]
	s_and_saveexec_b64 s[8:9], s[4:5]
	s_cbranch_execz .LBB126_54
.LBB126_53:
	v_add_u32_e32 v4, v4, v3
	v_mov_b32_e32 v5, 0
	v_lshlrev_b64 v[4:5], 2, v[4:5]
	s_waitcnt lgkmcnt(0)
	v_mov_b32_e32 v6, s13
	v_add_co_u32_e64 v4, s[6:7], s12, v4
	v_addc_co_u32_e64 v5, s[6:7], v6, v5, s[6:7]
	global_store_dword v[4:5], v68, off
.LBB126_54:
	s_or_b64 exec, exec, s[8:9]
	v_add3_u32 v4, v30, s15, 56
	v_cmp_gt_u32_e64 s[6:7], s10, v4
	s_and_b64 exec, exec, s[6:7]
	s_cbranch_execz .LBB126_60
; %bb.55:
	v_mul_lo_u32 v4, v4, s14
	s_and_saveexec_b64 s[6:7], vcc
	s_cbranch_execnz .LBB126_79
; %bb.56:
	s_or_b64 exec, exec, s[6:7]
	s_and_saveexec_b64 s[6:7], s[0:1]
	s_cbranch_execnz .LBB126_80
.LBB126_57:
	s_or_b64 exec, exec, s[6:7]
	s_and_saveexec_b64 s[0:1], s[2:3]
	s_cbranch_execnz .LBB126_81
.LBB126_58:
	s_or_b64 exec, exec, s[0:1]
	s_and_b64 exec, exec, s[4:5]
	s_cbranch_execz .LBB126_60
.LBB126_59:
	v_add_u32_e32 v0, v4, v3
	v_mov_b32_e32 v1, 0
	v_lshlrev_b64 v[0:1], 2, v[0:1]
	s_waitcnt lgkmcnt(0)
	v_mov_b32_e32 v2, s13
	v_add_co_u32_e32 v0, vcc, s12, v0
	v_addc_co_u32_e32 v1, vcc, v2, v1, vcc
	global_store_dword v[0:1], v64, off
.LBB126_60:
	s_endpgm
.LBB126_61:
	v_add_u32_e32 v5, v4, v0
	v_mov_b32_e32 v6, 0
	v_lshlrev_b64 v[5:6], 2, v[5:6]
	s_waitcnt lgkmcnt(0)
	v_mov_b32_e32 v7, s13
	v_add_co_u32_e64 v5, s[6:7], s12, v5
	v_addc_co_u32_e64 v6, s[6:7], v7, v6, s[6:7]
	global_store_dword v[5:6], v101, off
	s_or_b64 exec, exec, s[8:9]
	s_and_saveexec_b64 s[8:9], s[0:1]
	s_cbranch_execz .LBB126_21
.LBB126_62:
	v_add_u32_e32 v5, v4, v1
	v_mov_b32_e32 v6, 0
	v_lshlrev_b64 v[5:6], 2, v[5:6]
	s_waitcnt lgkmcnt(0)
	v_mov_b32_e32 v7, s13
	v_add_co_u32_e64 v5, s[6:7], s12, v5
	v_addc_co_u32_e64 v6, s[6:7], v7, v6, s[6:7]
	global_store_dword v[5:6], v96, off
	s_or_b64 exec, exec, s[8:9]
	s_and_saveexec_b64 s[8:9], s[2:3]
	s_cbranch_execz .LBB126_22
.LBB126_63:
	v_add_u32_e32 v5, v4, v2
	v_mov_b32_e32 v6, 0
	v_lshlrev_b64 v[5:6], 2, v[5:6]
	s_waitcnt lgkmcnt(0)
	v_mov_b32_e32 v7, s13
	v_add_co_u32_e64 v5, s[6:7], s12, v5
	v_addc_co_u32_e64 v6, s[6:7], v7, v6, s[6:7]
	global_store_dword v[5:6], v91, off
	s_or_b64 exec, exec, s[8:9]
	s_and_saveexec_b64 s[8:9], s[4:5]
	s_cbranch_execnz .LBB126_23
	s_branch .LBB126_24
.LBB126_64:
	v_add_u32_e32 v5, v4, v0
	v_mov_b32_e32 v6, 0
	v_lshlrev_b64 v[5:6], 2, v[5:6]
	s_waitcnt lgkmcnt(0)
	v_mov_b32_e32 v7, s13
	v_add_co_u32_e64 v5, s[6:7], s12, v5
	v_addc_co_u32_e64 v6, s[6:7], v7, v6, s[6:7]
	global_store_dword v[5:6], v89, off
	s_or_b64 exec, exec, s[8:9]
	s_and_saveexec_b64 s[8:9], s[0:1]
	s_cbranch_execz .LBB126_27
.LBB126_65:
	v_add_u32_e32 v5, v4, v1
	v_mov_b32_e32 v6, 0
	v_lshlrev_b64 v[5:6], 2, v[5:6]
	s_waitcnt lgkmcnt(0)
	v_mov_b32_e32 v7, s13
	v_add_co_u32_e64 v5, s[6:7], s12, v5
	v_addc_co_u32_e64 v6, s[6:7], v7, v6, s[6:7]
	global_store_dword v[5:6], v88, off
	s_or_b64 exec, exec, s[8:9]
	s_and_saveexec_b64 s[8:9], s[2:3]
	s_cbranch_execz .LBB126_28
.LBB126_66:
	v_add_u32_e32 v5, v4, v2
	v_mov_b32_e32 v6, 0
	v_lshlrev_b64 v[5:6], 2, v[5:6]
	s_waitcnt lgkmcnt(0)
	v_mov_b32_e32 v7, s13
	v_add_co_u32_e64 v5, s[6:7], s12, v5
	v_addc_co_u32_e64 v6, s[6:7], v7, v6, s[6:7]
	global_store_dword v[5:6], v87, off
	s_or_b64 exec, exec, s[8:9]
	s_and_saveexec_b64 s[8:9], s[4:5]
	s_cbranch_execnz .LBB126_29
	s_branch .LBB126_30
.LBB126_67:
	v_add_u32_e32 v5, v4, v0
	v_mov_b32_e32 v6, 0
	v_lshlrev_b64 v[5:6], 2, v[5:6]
	s_waitcnt lgkmcnt(0)
	v_mov_b32_e32 v7, s13
	v_add_co_u32_e64 v5, s[6:7], s12, v5
	v_addc_co_u32_e64 v6, s[6:7], v7, v6, s[6:7]
	global_store_dword v[5:6], v83, off
	s_or_b64 exec, exec, s[8:9]
	s_and_saveexec_b64 s[8:9], s[0:1]
	s_cbranch_execz .LBB126_33
.LBB126_68:
	v_add_u32_e32 v5, v4, v1
	v_mov_b32_e32 v6, 0
	v_lshlrev_b64 v[5:6], 2, v[5:6]
	s_waitcnt lgkmcnt(0)
	v_mov_b32_e32 v7, s13
	v_add_co_u32_e64 v5, s[6:7], s12, v5
	v_addc_co_u32_e64 v6, s[6:7], v7, v6, s[6:7]
	global_store_dword v[5:6], v82, off
	s_or_b64 exec, exec, s[8:9]
	s_and_saveexec_b64 s[8:9], s[2:3]
	s_cbranch_execz .LBB126_34
.LBB126_69:
	v_add_u32_e32 v5, v4, v2
	v_mov_b32_e32 v6, 0
	v_lshlrev_b64 v[5:6], 2, v[5:6]
	s_waitcnt lgkmcnt(0)
	v_mov_b32_e32 v7, s13
	v_add_co_u32_e64 v5, s[6:7], s12, v5
	v_addc_co_u32_e64 v6, s[6:7], v7, v6, s[6:7]
	global_store_dword v[5:6], v81, off
	s_or_b64 exec, exec, s[8:9]
	s_and_saveexec_b64 s[8:9], s[4:5]
	s_cbranch_execnz .LBB126_35
	s_branch .LBB126_36
.LBB126_70:
	v_add_u32_e32 v5, v4, v0
	v_mov_b32_e32 v6, 0
	v_lshlrev_b64 v[5:6], 2, v[5:6]
	s_waitcnt lgkmcnt(0)
	v_mov_b32_e32 v7, s13
	v_add_co_u32_e64 v5, s[6:7], s12, v5
	v_addc_co_u32_e64 v6, s[6:7], v7, v6, s[6:7]
	global_store_dword v[5:6], v79, off
	s_or_b64 exec, exec, s[8:9]
	s_and_saveexec_b64 s[8:9], s[0:1]
	s_cbranch_execz .LBB126_39
.LBB126_71:
	v_add_u32_e32 v5, v4, v1
	v_mov_b32_e32 v6, 0
	v_lshlrev_b64 v[5:6], 2, v[5:6]
	s_waitcnt lgkmcnt(0)
	v_mov_b32_e32 v7, s13
	v_add_co_u32_e64 v5, s[6:7], s12, v5
	v_addc_co_u32_e64 v6, s[6:7], v7, v6, s[6:7]
	global_store_dword v[5:6], v78, off
	s_or_b64 exec, exec, s[8:9]
	s_and_saveexec_b64 s[8:9], s[2:3]
	s_cbranch_execz .LBB126_40
.LBB126_72:
	v_add_u32_e32 v5, v4, v2
	v_mov_b32_e32 v6, 0
	v_lshlrev_b64 v[5:6], 2, v[5:6]
	s_waitcnt lgkmcnt(0)
	v_mov_b32_e32 v7, s13
	v_add_co_u32_e64 v5, s[6:7], s12, v5
	v_addc_co_u32_e64 v6, s[6:7], v7, v6, s[6:7]
	global_store_dword v[5:6], v77, off
	s_or_b64 exec, exec, s[8:9]
	s_and_saveexec_b64 s[8:9], s[4:5]
	s_cbranch_execnz .LBB126_41
	s_branch .LBB126_42
.LBB126_73:
	v_add_u32_e32 v5, v4, v0
	v_mov_b32_e32 v6, 0
	v_lshlrev_b64 v[5:6], 2, v[5:6]
	s_waitcnt lgkmcnt(0)
	v_mov_b32_e32 v7, s13
	v_add_co_u32_e64 v5, s[6:7], s12, v5
	v_addc_co_u32_e64 v6, s[6:7], v7, v6, s[6:7]
	global_store_dword v[5:6], v75, off
	s_or_b64 exec, exec, s[8:9]
	s_and_saveexec_b64 s[8:9], s[0:1]
	s_cbranch_execz .LBB126_45
.LBB126_74:
	v_add_u32_e32 v5, v4, v1
	v_mov_b32_e32 v6, 0
	v_lshlrev_b64 v[5:6], 2, v[5:6]
	s_waitcnt lgkmcnt(0)
	v_mov_b32_e32 v7, s13
	v_add_co_u32_e64 v5, s[6:7], s12, v5
	v_addc_co_u32_e64 v6, s[6:7], v7, v6, s[6:7]
	global_store_dword v[5:6], v74, off
	s_or_b64 exec, exec, s[8:9]
	s_and_saveexec_b64 s[8:9], s[2:3]
	s_cbranch_execz .LBB126_46
.LBB126_75:
	v_add_u32_e32 v5, v4, v2
	v_mov_b32_e32 v6, 0
	v_lshlrev_b64 v[5:6], 2, v[5:6]
	s_waitcnt lgkmcnt(0)
	v_mov_b32_e32 v7, s13
	v_add_co_u32_e64 v5, s[6:7], s12, v5
	v_addc_co_u32_e64 v6, s[6:7], v7, v6, s[6:7]
	global_store_dword v[5:6], v73, off
	s_or_b64 exec, exec, s[8:9]
	s_and_saveexec_b64 s[8:9], s[4:5]
	s_cbranch_execnz .LBB126_47
	s_branch .LBB126_48
.LBB126_76:
	v_add_u32_e32 v5, v4, v0
	v_mov_b32_e32 v6, 0
	v_lshlrev_b64 v[5:6], 2, v[5:6]
	s_waitcnt lgkmcnt(0)
	v_mov_b32_e32 v7, s13
	v_add_co_u32_e64 v5, s[6:7], s12, v5
	v_addc_co_u32_e64 v6, s[6:7], v7, v6, s[6:7]
	global_store_dword v[5:6], v71, off
	s_or_b64 exec, exec, s[8:9]
	s_and_saveexec_b64 s[8:9], s[0:1]
	s_cbranch_execz .LBB126_51
.LBB126_77:
	v_add_u32_e32 v5, v4, v1
	v_mov_b32_e32 v6, 0
	v_lshlrev_b64 v[5:6], 2, v[5:6]
	s_waitcnt lgkmcnt(0)
	v_mov_b32_e32 v7, s13
	v_add_co_u32_e64 v5, s[6:7], s12, v5
	v_addc_co_u32_e64 v6, s[6:7], v7, v6, s[6:7]
	global_store_dword v[5:6], v70, off
	s_or_b64 exec, exec, s[8:9]
	s_and_saveexec_b64 s[8:9], s[2:3]
	s_cbranch_execz .LBB126_52
.LBB126_78:
	v_add_u32_e32 v5, v4, v2
	v_mov_b32_e32 v6, 0
	v_lshlrev_b64 v[5:6], 2, v[5:6]
	s_waitcnt lgkmcnt(0)
	v_mov_b32_e32 v7, s13
	v_add_co_u32_e64 v5, s[6:7], s12, v5
	v_addc_co_u32_e64 v6, s[6:7], v7, v6, s[6:7]
	global_store_dword v[5:6], v69, off
	s_or_b64 exec, exec, s[8:9]
	s_and_saveexec_b64 s[8:9], s[4:5]
	s_cbranch_execnz .LBB126_53
	s_branch .LBB126_54
.LBB126_79:
	v_add_u32_e32 v5, v4, v0
	v_mov_b32_e32 v6, 0
	v_lshlrev_b64 v[5:6], 2, v[5:6]
	s_waitcnt lgkmcnt(0)
	v_mov_b32_e32 v0, s13
	v_add_co_u32_e32 v5, vcc, s12, v5
	v_addc_co_u32_e32 v6, vcc, v0, v6, vcc
	global_store_dword v[5:6], v67, off
	s_or_b64 exec, exec, s[6:7]
	s_and_saveexec_b64 s[6:7], s[0:1]
	s_cbranch_execz .LBB126_57
.LBB126_80:
	v_add_u32_e32 v0, v4, v1
	v_mov_b32_e32 v1, 0
	v_lshlrev_b64 v[0:1], 2, v[0:1]
	s_waitcnt lgkmcnt(0)
	v_mov_b32_e32 v5, s13
	v_add_co_u32_e32 v0, vcc, s12, v0
	v_addc_co_u32_e32 v1, vcc, v5, v1, vcc
	global_store_dword v[0:1], v66, off
	s_or_b64 exec, exec, s[6:7]
	s_and_saveexec_b64 s[0:1], s[2:3]
	s_cbranch_execz .LBB126_58
.LBB126_81:
	v_add_u32_e32 v0, v4, v2
	v_mov_b32_e32 v1, 0
	v_lshlrev_b64 v[0:1], 2, v[0:1]
	s_waitcnt lgkmcnt(0)
	v_mov_b32_e32 v2, s13
	v_add_co_u32_e32 v0, vcc, s12, v0
	v_addc_co_u32_e32 v1, vcc, v2, v1, vcc
	global_store_dword v[0:1], v65, off
	s_or_b64 exec, exec, s[0:1]
	s_and_b64 exec, exec, s[4:5]
	s_cbranch_execnz .LBB126_59
	s_branch .LBB126_60
	.section	.rodata,"a",@progbits
	.p2align	6, 0x0
	.amdhsa_kernel _ZL12mul_mat_q8_0IfLb1EEvPKvS1_PT_iiiii
		.amdhsa_group_segment_fixed_size 28224
		.amdhsa_private_segment_fixed_size 176
		.amdhsa_kernarg_size 44
		.amdhsa_user_sgpr_count 6
		.amdhsa_user_sgpr_private_segment_buffer 1
		.amdhsa_user_sgpr_dispatch_ptr 0
		.amdhsa_user_sgpr_queue_ptr 0
		.amdhsa_user_sgpr_kernarg_segment_ptr 1
		.amdhsa_user_sgpr_dispatch_id 0
		.amdhsa_user_sgpr_flat_scratch_init 0
		.amdhsa_user_sgpr_private_segment_size 0
		.amdhsa_uses_dynamic_stack 0
		.amdhsa_system_sgpr_private_segment_wavefront_offset 1
		.amdhsa_system_sgpr_workgroup_id_x 1
		.amdhsa_system_sgpr_workgroup_id_y 1
		.amdhsa_system_sgpr_workgroup_id_z 0
		.amdhsa_system_sgpr_workgroup_info 0
		.amdhsa_system_vgpr_workitem_id 1
		.amdhsa_next_free_vgpr 128
		.amdhsa_next_free_sgpr 98
		.amdhsa_reserve_vcc 1
		.amdhsa_reserve_flat_scratch 0
		.amdhsa_float_round_mode_32 0
		.amdhsa_float_round_mode_16_64 0
		.amdhsa_float_denorm_mode_32 3
		.amdhsa_float_denorm_mode_16_64 3
		.amdhsa_dx10_clamp 1
		.amdhsa_ieee_mode 1
		.amdhsa_fp16_overflow 0
		.amdhsa_exception_fp_ieee_invalid_op 0
		.amdhsa_exception_fp_denorm_src 0
		.amdhsa_exception_fp_ieee_div_zero 0
		.amdhsa_exception_fp_ieee_overflow 0
		.amdhsa_exception_fp_ieee_underflow 0
		.amdhsa_exception_fp_ieee_inexact 0
		.amdhsa_exception_int_div_zero 0
	.end_amdhsa_kernel
	.section	.text._ZL12mul_mat_q8_0IfLb1EEvPKvS1_PT_iiiii,"axG",@progbits,_ZL12mul_mat_q8_0IfLb1EEvPKvS1_PT_iiiii,comdat
.Lfunc_end126:
	.size	_ZL12mul_mat_q8_0IfLb1EEvPKvS1_PT_iiiii, .Lfunc_end126-_ZL12mul_mat_q8_0IfLb1EEvPKvS1_PT_iiiii
                                        ; -- End function
	.set _ZL12mul_mat_q8_0IfLb1EEvPKvS1_PT_iiiii.num_vgpr, 128
	.set _ZL12mul_mat_q8_0IfLb1EEvPKvS1_PT_iiiii.num_agpr, 0
	.set _ZL12mul_mat_q8_0IfLb1EEvPKvS1_PT_iiiii.numbered_sgpr, 24
	.set _ZL12mul_mat_q8_0IfLb1EEvPKvS1_PT_iiiii.num_named_barrier, 0
	.set _ZL12mul_mat_q8_0IfLb1EEvPKvS1_PT_iiiii.private_seg_size, 176
	.set _ZL12mul_mat_q8_0IfLb1EEvPKvS1_PT_iiiii.uses_vcc, 1
	.set _ZL12mul_mat_q8_0IfLb1EEvPKvS1_PT_iiiii.uses_flat_scratch, 0
	.set _ZL12mul_mat_q8_0IfLb1EEvPKvS1_PT_iiiii.has_dyn_sized_stack, 0
	.set _ZL12mul_mat_q8_0IfLb1EEvPKvS1_PT_iiiii.has_recursion, 0
	.set _ZL12mul_mat_q8_0IfLb1EEvPKvS1_PT_iiiii.has_indirect_call, 0
	.section	.AMDGPU.csdata,"",@progbits
; Kernel info:
; codeLenInByte = 8848
; TotalNumSgprs: 28
; NumVgprs: 128
; ScratchSize: 176
; MemoryBound: 0
; FloatMode: 240
; IeeeMode: 1
; LDSByteSize: 28224 bytes/workgroup (compile time only)
; SGPRBlocks: 12
; VGPRBlocks: 31
; NumSGPRsForWavesPerEU: 102
; NumVGPRsForWavesPerEU: 128
; Occupancy: 2
; WaveLimiterHint : 0
; COMPUTE_PGM_RSRC2:SCRATCH_EN: 1
; COMPUTE_PGM_RSRC2:USER_SGPR: 6
; COMPUTE_PGM_RSRC2:TRAP_HANDLER: 0
; COMPUTE_PGM_RSRC2:TGID_X_EN: 1
; COMPUTE_PGM_RSRC2:TGID_Y_EN: 1
; COMPUTE_PGM_RSRC2:TGID_Z_EN: 0
; COMPUTE_PGM_RSRC2:TIDIG_COMP_CNT: 1
	.section	.text._ZL12mul_mat_q2_KIfLb0EEvPKvS1_PT_iiiii,"axG",@progbits,_ZL12mul_mat_q2_KIfLb0EEvPKvS1_PT_iiiii,comdat
	.globl	_ZL12mul_mat_q2_KIfLb0EEvPKvS1_PT_iiiii ; -- Begin function _ZL12mul_mat_q2_KIfLb0EEvPKvS1_PT_iiiii
	.p2align	8
	.type	_ZL12mul_mat_q2_KIfLb0EEvPKvS1_PT_iiiii,@function
_ZL12mul_mat_q2_KIfLb0EEvPKvS1_PT_iiiii: ; @_ZL12mul_mat_q2_KIfLb0EEvPKvS1_PT_iiiii
; %bb.0:
	s_mov_b64 s[22:23], s[2:3]
	s_mov_b64 s[20:21], s[0:1]
	s_add_u32 s20, s20, s8
	s_load_dword s14, s[4:5], 0x18
	s_load_dwordx4 s[8:11], s[4:5], 0x20
	s_addc_u32 s21, s21, 0
	v_mov_b32_e32 v35, v1
	s_waitcnt lgkmcnt(0)
	s_lshl_b32 s11, s7, 6
	v_mov_b32_e32 v42, v0
	s_cmpk_gt_i32 s14, 0xff
	v_add_u32_e32 v43, s11, v35
	s_cbranch_scc1 .LBB127_2
; %bb.1:
	v_add_u32_e32 v0, s11, v35
	s_mov_b64 s[0:1], 0
	s_branch .LBB127_3
.LBB127_2:
	s_mov_b64 s[0:1], -1
                                        ; implicit-def: $vgpr0
.LBB127_3:
	s_load_dwordx2 s[12:13], s[4:5], 0x10
	s_lshl_b32 s6, s6, 7
	v_mov_b32_e32 v15, 0
	s_andn2_b64 vcc, exec, s[0:1]
	v_mov_b32_e32 v19, 0
	v_mov_b32_e32 v23, 0
	;; [unrolled: 1-line block ×31, first 2 shown]
	s_cbranch_vccnz .LBB127_18
; %bb.4:
	s_load_dwordx4 s[0:3], s[4:5], 0x0
	s_ashr_i32 s4, s14, 31
	s_lshr_b32 s4, s4, 24
	s_add_i32 s14, s14, s4
	s_ashr_i32 s5, s9, 31
	s_ashr_i32 s4, s14, 8
	s_lshr_b32 s5, s5, 27
	s_add_i32 s5, s9, s5
	s_mul_i32 s7, s4, s6
	s_ashr_i32 s9, s5, 5
	s_mul_hi_i32 s14, s7, 0x54
	s_mulk_i32 s7, 0x54
	s_waitcnt lgkmcnt(0)
	s_add_u32 s0, s0, s7
	v_lshlrev_b32_e32 v2, 2, v42
	s_addc_u32 s1, s1, s14
	v_and_b32_e32 v0, 60, v2
	s_movk_i32 s14, 0x84
	buffer_store_dword v0, off, s[20:23], 0 offset:100 ; 4-byte Folded Spill
	v_mad_u32_u24 v0, v35, s14, v2
	s_lshl_b32 s14, s4, 3
	buffer_store_dword v0, off, s[20:23], 0 offset:104 ; 4-byte Folded Spill
	v_mov_b32_e32 v0, s14
	v_mad_i32_i24 v0, s4, v35, v0
	buffer_store_dword v0, off, s[20:23], 0 offset:108 ; 4-byte Folded Spill
	v_add_u32_e32 v0, s14, v0
	buffer_store_dword v0, off, s[20:23], 0 offset:112 ; 4-byte Folded Spill
	v_add_u32_e32 v0, s14, v0
	;; [unrolled: 2-line block ×14, first 2 shown]
	buffer_store_dword v0, off, s[20:23], 0 offset:164 ; 4-byte Folded Spill
	v_lshlrev_b32_e32 v13, 4, v35
	v_lshrrev_b32_e32 v0, 1, v42
	v_add_u32_e32 v0, v0, v13
	v_and_b32_e32 v1, 0x7f, v0
	v_and_b32_e32 v3, 1, v42
	v_mul_i32_i24_e32 v4, s4, v1
	buffer_store_dword v4, off, s[20:23], 0 offset:172 ; 4-byte Folded Spill
	buffer_store_dword v3, off, s[20:23], 0 offset:168 ; 4-byte Folded Spill
	v_lshlrev_b32_e32 v3, 2, v3
	v_lshrrev_b32_e32 v0, 2, v0
	v_lshl_or_b32 v1, v1, 3, v3
	v_and_b32_e32 v0, 28, v0
	s_movk_i32 s14, 0x7280
	v_add3_u32 v0, v1, v0, s14
	v_and_b32_e32 v1, 7, v42
	v_cmp_lt_u32_e32 vcc, 3, v1
	buffer_store_dword v0, off, s[20:23], 0 offset:176 ; 4-byte Folded Spill
	v_lshrrev_b32_e32 v0, 3, v42
	v_cndmask_b32_e64 v3, 0, 1, vcc
	buffer_store_dword v0, off, s[20:23], 0 offset:180 ; 4-byte Folded Spill
	v_lshl_add_u32 v0, v35, 2, v0
	buffer_store_dword v3, off, s[20:23], 0 offset:184 ; 4-byte Folded Spill
	v_and_b32_e32 v3, 12, v2
	buffer_store_dword v3, off, s[20:23], 0 offset:188 ; 4-byte Folded Spill
	v_mul_i32_i24_e32 v3, s4, v0
	s_lshl_b32 s15, s4, 5
	buffer_store_dword v3, off, s[20:23], 0 offset:192 ; 4-byte Folded Spill
	v_and_b32_e32 v3, 0x7fc, v0
	v_lshlrev_b32_e32 v1, 2, v1
	s_movk_i32 s14, 0x6200
	v_mov_b32_e32 v4, s15
	v_add3_u32 v14, v3, v1, s14
	v_add_u32_e32 v3, 32, v0
	v_mad_i32_i24 v5, s4, v0, v4
	v_and_b32_e32 v4, 0xffc, v3
	v_lshlrev_b32_e32 v17, 5, v3
	v_add_u32_e32 v3, 64, v0
	buffer_store_dword v5, off, s[20:23], 0 offset:196 ; 4-byte Folded Spill
	v_add_u32_e32 v5, s15, v5
	v_lshlrev_b32_e32 v15, 5, v0
	v_add3_u32 v16, v4, v1, s14
	v_and_b32_e32 v4, 0xffc, v3
	v_lshlrev_b32_e32 v19, 5, v3
	v_add_u32_e32 v0, 0x60, v0
	v_add_u32_e32 v3, s15, v5
	buffer_store_dword v3, off, s[20:23], 0 offset:204 ; 4-byte Folded Spill
	v_and_b32_e32 v3, 0xffc, v0
	v_add3_u32 v20, v3, v1, s14
	v_and_b32_e32 v3, 31, v42
	v_and_b32_e32 v12, 28, v2
	v_mov_b32_e32 v2, 0x4200
	v_add3_u32 v18, v4, v1, s14
	s_add_i32 s14, s8, -1
	v_lshl_or_b32 v30, v3, 2, v2
	v_lshrrev_b32_e32 v2, 2, v42
	v_lshlrev_b32_e32 v21, 5, v0
	v_cvt_f64_i32_e32 v[0:1], s14
	v_lshl_add_u32 v4, v35, 3, v2
	v_cvt_f64_u32_e32 v[2:3], v43
	buffer_store_dword v5, off, s[20:23], 0 offset:200 ; 4-byte Folded Spill
	v_add_u32_e32 v5, 8, v43
	v_cvt_f64_u32_e32 v[5:6], v5
	v_min_f64 v[2:3], v[2:3], v[0:1]
	v_add_u32_e32 v7, 16, v43
	v_cvt_f64_u32_e32 v[7:8], v7
	v_min_f64 v[5:6], v[5:6], v[0:1]
	v_and_b32_e32 v9, 63, v4
	v_or_b32_e32 v10, s11, v9
	v_min_f64 v[7:8], v[7:8], v[0:1]
	v_and_b32_e32 v4, 3, v42
	v_cvt_i32_f64_e32 v2, v[2:3]
	v_min_i32_e32 v10, s14, v10
	v_add_u32_e32 v26, 0x60, v42
	v_mad_u64_u32 v[10:11], s[14:15], v10, s9, v[4:5]
	v_mul_lo_u32 v2, s9, v2
	v_lshlrev_b32_e32 v4, 2, v4
	v_lshl_or_b32 v3, v9, 4, v4
	buffer_store_dword v10, off, s[20:23], 0 offset:212 ; 4-byte Folded Spill
	s_nop 0
	buffer_store_dword v11, off, s[20:23], 0 offset:216 ; 4-byte Folded Spill
	v_add_u32_e32 v3, 0x76a0, v3
	buffer_store_dword v2, off, s[20:23], 0 offset:8 ; 4-byte Folded Spill
	v_cvt_i32_f64_e32 v2, v[7:8]
	buffer_store_dword v3, off, s[20:23], 0 offset:4 ; 4-byte Folded Spill
	v_cvt_i32_f64_e32 v3, v[5:6]
	v_add_u32_e32 v4, 32, v43
	v_mul_lo_u32 v2, s9, v2
	v_add_u32_e32 v6, 40, v43
	v_mul_lo_u32 v3, s9, v3
	v_add_u32_e32 v8, 48, v43
	buffer_store_dword v2, off, s[20:23], 0 offset:16 ; 4-byte Folded Spill
	v_add_u32_e32 v2, 24, v43
	buffer_store_dword v3, off, s[20:23], 0 offset:12 ; 4-byte Folded Spill
	v_cvt_f64_u32_e32 v[2:3], v2
	v_add_u32_e32 v10, 56, v43
	v_cvt_f64_u32_e32 v[4:5], v4
	v_cvt_f64_u32_e32 v[6:7], v6
	v_min_f64 v[2:3], v[2:3], v[0:1]
	v_cvt_f64_u32_e32 v[8:9], v8
	v_cvt_f64_u32_e32 v[10:11], v10
	v_min_f64 v[4:5], v[4:5], v[0:1]
	v_min_f64 v[6:7], v[6:7], v[0:1]
	v_mov_b32_e32 v29, s3
	buffer_store_dword v43, off, s[20:23], 0 offset:256 ; 4-byte Folded Spill
	v_lshlrev_b32_e32 v31, 7, v35
	v_cvt_i32_f64_e32 v24, v[2:3]
	v_min_f64 v[2:3], v[8:9], v[0:1]
	v_min_f64 v[0:1], v[10:11], v[0:1]
	v_cvt_i32_f64_e32 v4, v[4:5]
	v_cvt_i32_f64_e32 v6, v[6:7]
	v_add_u32_e32 v7, 32, v42
	v_add_u32_e32 v10, 64, v42
	v_lshrrev_b32_e32 v11, 3, v7
	v_mul_lo_u32 v5, s9, v24
	v_cvt_i32_f64_e32 v2, v[2:3]
	v_cvt_i32_f64_e32 v0, v[0:1]
	v_mul_lo_u32 v4, s9, v4
	v_mul_lo_u32 v3, s9, v6
	;; [unrolled: 1-line block ×4, first 2 shown]
	buffer_store_dword v11, off, s[20:23], 0 offset:224 ; 4-byte Folded Spill
	v_lshrrev_b32_e32 v11, 3, v10
	buffer_store_dword v11, off, s[20:23], 0 offset:244 ; 4-byte Folded Spill
	v_lshrrev_b32_e32 v11, 3, v26
	buffer_store_dword v11, off, s[20:23], 0 offset:248 ; 4-byte Folded Spill
	v_add_co_u32_e32 v11, vcc, s2, v12
	v_addc_co_u32_e32 v12, vcc, 0, v29, vcc
	buffer_store_dword v5, off, s[20:23], 0 offset:20 ; 4-byte Folded Spill
	buffer_store_dword v4, off, s[20:23], 0 offset:24 ; 4-byte Folded Spill
	;; [unrolled: 1-line block ×5, first 2 shown]
	v_mul_u32_u24_e32 v3, 33, v42
	buffer_store_dword v11, off, s[20:23], 0 offset:40 ; 4-byte Folded Spill
	s_nop 0
	buffer_store_dword v12, off, s[20:23], 0 offset:44 ; 4-byte Folded Spill
	v_lshlrev_b32_e32 v11, 2, v3
	v_add_u32_e32 v3, 0x76a0, v13
	buffer_store_dword v3, off, s[20:23], 0 offset:48 ; 4-byte Folded Spill
	buffer_store_dword v31, off, s[20:23], 0 offset:220 ; 4-byte Folded Spill
	v_add_u32_e32 v3, 0x4200, v31
	v_lshlrev_b32_e32 v8, 1, v7
	v_lshrrev_b32_e32 v9, 4, v7
	buffer_store_dword v3, off, s[20:23], 0 offset:52 ; 4-byte Folded Spill
	v_lshlrev_b32_e32 v3, 5, v42
	v_and_b32_e32 v7, 0x1fc, v7
	v_add_u32_e32 v61, v3, v7
	v_and_b32_e32 v7, 0x1fc, v10
	v_and_b32_e32 v13, 0xfc, v42
	v_add_u32_e32 v66, v3, v7
	v_and_b32_e32 v7, 0x1fc, v26
	v_add_u32_e32 v12, v3, v13
	v_add_u32_e32 v81, v3, v7
	;; [unrolled: 1-line block ×3, first 2 shown]
	buffer_store_dword v3, off, s[20:23], 0 offset:228 ; 4-byte Folded Spill
	v_add_u32_e32 v3, v16, v17
	buffer_store_dword v3, off, s[20:23], 0 offset:232 ; 4-byte Folded Spill
	v_add_u32_e32 v3, v18, v19
	v_add_u32_e32 v22, 0x400, v31
	buffer_store_dword v3, off, s[20:23], 0 offset:236 ; 4-byte Folded Spill
	v_add_u32_e32 v3, v20, v21
	;; [unrolled: 3-line block ×3, first 2 shown]
	v_add_u32_e32 v5, 0xc00, v31
	v_add_u32_e32 v1, 0x1400, v31
	buffer_store_dword v3, off, s[20:23], 0 offset:56 ; 4-byte Folded Spill
	v_add_u32_e32 v3, v30, v23
	v_add_u32_e32 v4, 0x1000, v31
	;; [unrolled: 1-line block ×3, first 2 shown]
	buffer_store_dword v3, off, s[20:23], 0 offset:60 ; 4-byte Folded Spill
	v_add_u32_e32 v3, v30, v5
	v_add_u32_e32 v1, v30, v1
	;; [unrolled: 1-line block ×3, first 2 shown]
	v_lshlrev_b32_e32 v6, 1, v42
	v_lshlrev_b32_e32 v24, 1, v10
	v_lshrrev_b32_e32 v25, 4, v10
	v_lshlrev_b32_e32 v27, 1, v26
	v_lshrrev_b32_e32 v28, 4, v26
	buffer_store_dword v3, off, s[20:23], 0 offset:64 ; 4-byte Folded Spill
	v_add_u32_e32 v3, v30, v4
	buffer_store_dword v1, off, s[20:23], 0 offset:72 ; 4-byte Folded Spill
	v_add_u32_e32 v1, v30, v2
	s_movk_i32 s5, 0x54
	v_lshrrev_b32_e32 v90, 4, v42
	s_mov_b32 s7, 0
	v_mov_b32_e32 v36, 0
	buffer_store_dword v42, off, s[20:23], 0 offset:252 ; 4-byte Folded Spill
	s_mov_b32 s9, 0x1010101
	buffer_store_dword v3, off, s[20:23], 0 offset:68 ; 4-byte Folded Spill
	buffer_store_dword v1, off, s[20:23], 0 offset:76 ; 4-byte Folded Spill
	;; [unrolled: 1-line block ×3, first 2 shown]
	v_add_u32_e32 v0, v30, v0
	v_lshlrev_b32_e32 v10, 2, v6
	v_lshlrev_b32_e32 v63, 2, v9
	;; [unrolled: 1-line block ×7, first 2 shown]
	v_mov_b32_e32 v62, 0
	v_mov_b32_e32 v40, 0
	v_mov_b32_e32 v34, 0
	v_mov_b32_e32 v30, 0
	v_mov_b32_e32 v26, 0
	v_mov_b32_e32 v22, 0
	v_mov_b32_e32 v18, 0
	v_mov_b32_e32 v76, 0
	v_mov_b32_e32 v54, 0
	v_mov_b32_e32 v39, 0
	v_mov_b32_e32 v33, 0
	v_mov_b32_e32 v29, 0
	v_mov_b32_e32 v25, 0
	v_mov_b32_e32 v21, 0
	v_mov_b32_e32 v17, 0
	v_mov_b32_e32 v74, 0
	v_mov_b32_e32 v46, 0
	v_mov_b32_e32 v38, 0
	v_mov_b32_e32 v32, 0
	v_mov_b32_e32 v28, 0
	v_mov_b32_e32 v24, 0
	v_mov_b32_e32 v20, 0
	v_mov_b32_e32 v16, 0
	v_mov_b32_e32 v70, 0
	v_mov_b32_e32 v41, 0
	v_mov_b32_e32 v37, 0
	v_mov_b32_e32 v31, 0
	v_mov_b32_e32 v27, 0
	v_mov_b32_e32 v23, 0
	v_mov_b32_e32 v19, 0
	v_mov_b32_e32 v15, 0
	buffer_store_dword v0, off, s[20:23], 0 offset:80 ; 4-byte Folded Spill
	buffer_store_dword v35, off, s[20:23], 0 offset:92 ; 4-byte Folded Spill
	;; [unrolled: 1-line block ×3, first 2 shown]
	buffer_store_dword v63, off, s[20:23], 0 ; 4-byte Folded Spill
	s_branch .LBB127_7
.LBB127_5:                              ;   in Loop: Header=BB127_7 Depth=1
	v_mov_b32_e32 v11, v91
.LBB127_6:                              ;   in Loop: Header=BB127_7 Depth=1
	buffer_load_dword v35, off, s[20:23], 0 offset:92 ; 4-byte Folded Reload
	buffer_load_dword v90, off, s[20:23], 0 offset:96 ; 4-byte Folded Reload
	s_add_i32 s7, s7, 2
	s_cmp_ge_i32 s7, s4
	s_cbranch_scc1 .LBB127_17
.LBB127_7:                              ; =>This Loop Header: Depth=1
                                        ;     Child Loop BB127_8 Depth 2
                                        ;     Child Loop BB127_10 Depth 2
	;; [unrolled: 1-line block ×4, first 2 shown]
	buffer_load_dword v6, off, s[20:23], 0 offset:100 ; 4-byte Folded Reload
	buffer_load_dword v7, off, s[20:23], 0 offset:104 ; 4-byte Folded Reload
	s_mul_i32 s14, s7, 0x54
	s_mul_hi_u32 s15, s7, 0x54
	s_add_u32 s14, s0, s14
	s_addc_u32 s15, s1, s15
	v_mov_b32_e32 v2, s14
	v_mov_b32_e32 v3, s15
	s_waitcnt vmcnt(2)
	v_mad_u64_u32 v[4:5], s[14:15], v90, s5, v[2:3]
	v_mul_i32_i24_e32 v0, s4, v35
	v_mov_b32_e32 v116, 15
	v_mad_u64_u32 v[0:1], s[14:15], v0, s5, v[4:5]
	v_mov_b32_e32 v110, 4
	s_waitcnt vmcnt(1)
	v_add_co_u32_e32 v0, vcc, v0, v6
	v_addc_co_u32_e32 v1, vcc, 0, v1, vcc
	global_load_dword v0, v[0:1], off offset:16
	s_waitcnt vmcnt(0)
	ds_write_b32 v7, v0
	buffer_load_dword v0, off, s[20:23], 0 offset:108 ; 4-byte Folded Reload
	s_waitcnt vmcnt(0)
	v_mad_u64_u32 v[0:1], s[14:15], v0, s5, v[4:5]
	v_add_co_u32_e32 v0, vcc, v0, v6
	v_addc_co_u32_e32 v1, vcc, 0, v1, vcc
	global_load_dword v0, v[0:1], off offset:16
	v_add_u32_e32 v1, 0x420, v7
	s_waitcnt vmcnt(0)
	ds_write_b32 v1, v0
	buffer_load_dword v0, off, s[20:23], 0 offset:112 ; 4-byte Folded Reload
	s_waitcnt vmcnt(0)
	v_mad_u64_u32 v[0:1], s[14:15], v0, s5, v[4:5]
	v_add_co_u32_e32 v0, vcc, v0, v6
	v_addc_co_u32_e32 v1, vcc, 0, v1, vcc
	global_load_dword v0, v[0:1], off offset:16
	v_add_u32_e32 v1, 0x840, v7
	;; [unrolled: 9-line block ×14, first 2 shown]
	s_waitcnt vmcnt(0)
	ds_write_b32 v1, v0
	buffer_load_dword v0, off, s[20:23], 0 offset:164 ; 4-byte Folded Reload
	s_waitcnt vmcnt(0)
	v_mad_u64_u32 v[0:1], s[14:15], v0, s5, v[4:5]
	buffer_load_dword v4, off, s[20:23], 0 offset:168 ; 4-byte Folded Reload
	v_add_co_u32_e32 v0, vcc, v0, v6
	v_addc_co_u32_e32 v1, vcc, 0, v1, vcc
	global_load_dword v0, v[0:1], off offset:16
	v_add_u32_e32 v1, 0x3de0, v7
	s_waitcnt vmcnt(0)
	ds_write_b32 v1, v0
	buffer_load_dword v0, off, s[20:23], 0 offset:172 ; 4-byte Folded Reload
	s_waitcnt vmcnt(0)
	v_mad_u64_u32 v[0:1], s[14:15], v0, s5, v[2:3]
	v_mad_u64_u32 v[0:1], s[14:15], v4, s5, v[0:1]
	global_load_dword v0, v[0:1], off offset:80
	s_nop 0
	buffer_load_dword v1, off, s[20:23], 0 offset:176 ; 4-byte Folded Reload
	s_waitcnt vmcnt(0)
	ds_write_b32 v1, v0
	buffer_load_dword v0, off, s[20:23], 0 offset:184 ; 4-byte Folded Reload
	s_waitcnt vmcnt(0)
	v_mad_u64_u32 v[0:1], s[14:15], v0, s5, v[2:3]
	buffer_load_dword v2, off, s[20:23], 0 offset:188 ; 4-byte Folded Reload
	s_waitcnt vmcnt(0)
	v_add_co_u32_e32 v0, vcc, v0, v2
	buffer_load_dword v2, off, s[20:23], 0 offset:192 ; 4-byte Folded Reload
	v_addc_co_u32_e32 v1, vcc, 0, v1, vcc
	s_waitcnt vmcnt(0)
	v_mad_u64_u32 v[2:3], s[14:15], v2, s5, v[0:1]
	global_load_dword v2, v[2:3], off
	s_nop 0
	buffer_load_dword v3, off, s[20:23], 0 offset:228 ; 4-byte Folded Reload
	s_waitcnt vmcnt(0)
	ds_write_b32 v3, v2
	buffer_load_dword v2, off, s[20:23], 0 offset:196 ; 4-byte Folded Reload
	s_waitcnt vmcnt(0)
	v_mad_u64_u32 v[2:3], s[14:15], v2, s5, v[0:1]
	global_load_dword v2, v[2:3], off
	s_nop 0
	buffer_load_dword v3, off, s[20:23], 0 offset:232 ; 4-byte Folded Reload
	s_waitcnt vmcnt(0)
	ds_write_b32 v3, v2
	buffer_load_dword v2, off, s[20:23], 0 offset:200 ; 4-byte Folded Reload
	;; [unrolled: 8-line block ×3, first 2 shown]
	s_waitcnt vmcnt(0)
	v_mad_u64_u32 v[0:1], s[14:15], v2, s5, v[0:1]
	s_lshl_b32 s14, s7, 3
	s_mov_b32 s15, 0
	global_load_dword v0, v[0:1], off
	s_nop 0
	buffer_load_dword v1, off, s[20:23], 0 offset:240 ; 4-byte Folded Reload
	s_waitcnt vmcnt(0)
	ds_write_b32 v1, v0
	buffer_load_dword v0, off, s[20:23], 0 offset:212 ; 4-byte Folded Reload
	buffer_load_dword v1, off, s[20:23], 0 offset:216 ; 4-byte Folded Reload
	s_waitcnt vmcnt(1)
	v_add_u32_e32 v6, s14, v0
	buffer_load_dword v0, off, s[20:23], 0 offset:180 ; 4-byte Folded Reload
	s_waitcnt vmcnt(0)
	v_add_u32_e32 v2, s14, v0
	buffer_load_dword v0, off, s[20:23], 0 offset:8 ; 4-byte Folded Reload
	buffer_load_dword v4, off, s[20:23], 0 offset:40 ; 4-byte Folded Reload
	;; [unrolled: 1-line block ×3, first 2 shown]
	s_waitcnt vmcnt(2)
	v_add_u32_e32 v0, v2, v0
	s_waitcnt vmcnt(0)
	v_mad_i64_i32 v[0:1], s[16:17], v0, 36, v[4:5]
	global_load_dword v0, v[0:1], off offset:4
	s_nop 0
	buffer_load_dword v1, off, s[20:23], 0 offset:208 ; 4-byte Folded Reload
	buffer_load_dword v3, off, s[20:23], 0 offset:220 ; 4-byte Folded Reload
	s_waitcnt vmcnt(0)
	v_add_u32_e32 v1, v1, v3
	ds_write_b32 v1, v0
	buffer_load_dword v0, off, s[20:23], 0 offset:12 ; 4-byte Folded Reload
	s_waitcnt vmcnt(0)
	v_add_u32_e32 v0, v2, v0
	buffer_store_dword v1, off, s[20:23], 0 offset:88 ; 4-byte Folded Spill
	v_mad_i64_i32 v[0:1], s[16:17], v0, 36, v[4:5]
	buffer_store_dword v6, off, s[20:23], 0 offset:84 ; 4-byte Folded Spill
	global_load_dword v0, v[0:1], off offset:4
	s_nop 0
	buffer_load_dword v1, off, s[20:23], 0 offset:56 ; 4-byte Folded Reload
	s_waitcnt vmcnt(0)
	ds_write_b32 v1, v0
	buffer_load_dword v0, off, s[20:23], 0 offset:16 ; 4-byte Folded Reload
	s_waitcnt vmcnt(0)
	v_add_u32_e32 v0, v2, v0
	v_mad_i64_i32 v[0:1], s[16:17], v0, 36, v[4:5]
	global_load_dword v0, v[0:1], off offset:4
	s_nop 0
	buffer_load_dword v1, off, s[20:23], 0 offset:60 ; 4-byte Folded Reload
	s_waitcnt vmcnt(0)
	ds_write_b32 v1, v0
	buffer_load_dword v0, off, s[20:23], 0 offset:20 ; 4-byte Folded Reload
	s_waitcnt vmcnt(0)
	v_add_u32_e32 v0, v2, v0
	v_mad_i64_i32 v[0:1], s[16:17], v0, 36, v[4:5]
	;; [unrolled: 9-line block ×6, first 2 shown]
	global_load_dword v0, v[0:1], off offset:4
	s_nop 0
	buffer_load_dword v1, off, s[20:23], 0 offset:80 ; 4-byte Folded Reload
	s_waitcnt vmcnt(0)
	ds_write_b32 v1, v0
	v_mad_u64_u32 v[0:1], s[16:17], v6, 36, s[2:3]
	global_load_dword v0, v[0:1], off
	s_nop 0
	buffer_load_dword v1, off, s[20:23], 0 offset:4 ; 4-byte Folded Reload
	s_waitcnt vmcnt(1)
	v_cvt_f32_f16_e32 v0, v0
	s_waitcnt vmcnt(0)
	ds_write_b32 v1, v0
	s_waitcnt lgkmcnt(0)
	s_barrier
	buffer_load_dword v120, off, s[20:23], 0 offset:52 ; 4-byte Folded Reload
	buffer_load_dword v121, off, s[20:23], 0 offset:48 ; 4-byte Folded Reload
.LBB127_8:                              ;   Parent Loop BB127_7 Depth=1
                                        ; =>  This Inner Loop Header: Depth=2
	s_and_b32 s17, s15, 0x3ffffff8
	v_lshl_add_u32 v80, s17, 2, v11
	s_waitcnt vmcnt(0)
	ds_read2_b32 v[13:14], v121 offset1:32
	ds_read_b128 v[6:9], v120
	ds_read_b128 v[2:5], v120 offset:16
	ds_read2_b32 v[0:1], v80 offset1:1
	s_lshr_b32 s17, s15, 2
	s_and_b32 s16, s15, -16
	s_and_b32 s17, s17, 0x3ffffffc
	s_add_i32 s16, s15, s16
	s_waitcnt lgkmcnt(0)
	v_ashrrev_i32_e32 v0, s15, v0
	v_and_b32_e32 v48, 0x3030303, v0
	v_ashrrev_i32_e32 v0, s15, v1
	v_and_b32_e32 v47, 0x3030303, v0
	ds_read2_b32 v[0:1], v80 offset0:2 offset1:3
	s_addk_i32 s17, 0x7280
	v_lshlrev_b32_e32 v115, 2, v90
	v_mov_b32_e32 v111, v64
	v_mov_b32_e32 v44, v61
	s_waitcnt lgkmcnt(0)
	v_ashrrev_i32_e32 v0, s15, v0
	v_and_b32_e32 v87, 0x3030303, v0
	v_ashrrev_i32_e32 v0, s15, v1
	v_and_b32_e32 v97, 0x3030303, v0
	ds_read2_b32 v[0:1], v80 offset0:4 offset1:5
	v_mov_b32_e32 v109, v10
	v_mov_b32_e32 v42, v66
	ds_read_b128 v[104:107], v120 offset:1024
	v_mov_b32_e32 v117, v93
	s_waitcnt lgkmcnt(1)
	v_ashrrev_i32_e32 v0, s15, v0
	v_and_b32_e32 v98, 0x3030303, v0
	v_ashrrev_i32_e32 v0, s15, v1
	v_and_b32_e32 v99, 0x3030303, v0
	ds_read2_b32 v[0:1], v80 offset0:6 offset1:7
	v_mov_b32_e32 v112, v84
	v_mov_b32_e32 v113, v85
	;; [unrolled: 1-line block ×4, first 2 shown]
	s_waitcnt lgkmcnt(0)
	v_ashrrev_i32_e32 v0, s15, v0
	v_and_b32_e32 v100, 0x3030303, v0
	v_ashrrev_i32_e32 v0, s15, v1
	v_and_b32_e32 v45, 0x3030303, v0
	v_add_u32_e32 v0, 0x6200, v12
	v_add_u32_e32 v60, s16, v0
	v_add3_u32 v0, s17, v115, v10
	ds_read_b32 v49, v0
	ds_read_u16 v60, v60
	v_dot4_i32_i8 v0, v48, v6, 0
	v_dot4_i32_i8 v0, v47, v7, v0
	;; [unrolled: 1-line block ×8, first 2 shown]
	v_add_u32_e32 v0, 0x1080, v80
	ds_read2_b32 v[50:51], v0 offset1:1
	v_mov_b32_e32 v91, v11
	v_mov_b32_e32 v43, v12
	s_waitcnt lgkmcnt(0)
	v_ashrrev_i32_e32 v0, s15, v50
	v_and_b32_e32 v50, 0x3030303, v0
	v_ashrrev_i32_e32 v0, s15, v51
	v_and_b32_e32 v51, 0x3030303, v0
	v_add_u32_e32 v0, 0x1088, v80
	ds_read2_b32 v[52:53], v0 offset1:1
	s_waitcnt lgkmcnt(0)
	v_ashrrev_i32_e32 v0, s15, v52
	v_and_b32_e32 v52, 0x3030303, v0
	v_ashrrev_i32_e32 v0, s15, v53
	v_and_b32_e32 v53, 0x3030303, v0
	v_add_u32_e32 v0, 0x1090, v80
	ds_read2_b32 v[55:56], v0 offset1:1
	;; [unrolled: 7-line block ×3, first 2 shown]
	s_waitcnt lgkmcnt(0)
	v_ashrrev_i32_e32 v0, s15, v57
	v_and_b32_e32 v57, 0x3030303, v0
	v_ashrrev_i32_e32 v0, s15, v58
	v_and_b32_e32 v58, 0x3030303, v0
	v_add_u32_e32 v0, 0x6600, v61
	v_add_u32_e32 v72, s16, v0
	v_add3_u32 v0, s17, v63, v64
	ds_read_b32 v59, v0
	ds_read_u16 v72, v72
	v_dot4_i32_i8 v0, v50, v6, 0
	v_dot4_i32_i8 v0, v51, v7, v0
	;; [unrolled: 1-line block ×8, first 2 shown]
	v_add_u32_e32 v0, 0x2100, v80
	ds_read2_b32 v[64:65], v0 offset1:1
	s_waitcnt lgkmcnt(0)
	v_ashrrev_i32_e32 v0, s15, v64
	v_and_b32_e32 v88, 0x3030303, v0
	v_ashrrev_i32_e32 v0, s15, v65
	v_and_b32_e32 v79, 0x3030303, v0
	v_add_u32_e32 v0, 0x2108, v80
	ds_read2_b32 v[64:65], v0 offset1:1
	s_waitcnt lgkmcnt(0)
	v_ashrrev_i32_e32 v0, s15, v64
	v_and_b32_e32 v64, 0x3030303, v0
	v_ashrrev_i32_e32 v0, s15, v65
	v_and_b32_e32 v65, 0x3030303, v0
	;; [unrolled: 7-line block ×4, first 2 shown]
	v_add_u32_e32 v0, 0x6a00, v66
	v_add_u32_e32 v75, s16, v0
	v_add3_u32 v0, s17, v84, v85
	ds_read_b32 v89, v0
	v_dot4_i32_i8 v0, v88, v6, 0
	v_dot4_i32_i8 v0, v79, v7, v0
	;; [unrolled: 1-line block ×8, first 2 shown]
	v_add_u32_e32 v0, 0x3180, v80
	ds_read2_b32 v[77:78], v0 offset1:1
	s_waitcnt lgkmcnt(0)
	v_ashrrev_i32_e32 v0, s15, v77
	v_and_b32_e32 v61, 0x3030303, v0
	v_ashrrev_i32_e32 v0, s15, v78
	v_and_b32_e32 v10, 0x3030303, v0
	v_add_u32_e32 v0, 0x3188, v80
	ds_read2_b32 v[77:78], v0 offset1:1
	s_waitcnt lgkmcnt(0)
	v_ashrrev_i32_e32 v0, s15, v77
	v_add_u32_e32 v77, 0x3190, v80
	v_ashrrev_i32_e32 v66, s15, v78
	ds_read2_b32 v[77:78], v77 offset1:1
	v_and_b32_e32 v0, 0x3030303, v0
	v_and_b32_e32 v66, 0x3030303, v66
	s_waitcnt lgkmcnt(0)
	v_ashrrev_i32_e32 v77, s15, v77
	v_and_b32_e32 v127, 0x3030303, v77
	v_ashrrev_i32_e32 v77, s15, v78
	v_and_b32_e32 v126, 0x3030303, v77
	v_add_u32_e32 v77, 0x3198, v80
	ds_read2_b32 v[77:78], v77 offset1:1
	v_and_b32_e32 v80, 15, v60
	s_waitcnt lgkmcnt(0)
	v_ashrrev_i32_e32 v77, s15, v77
	v_and_b32_e32 v125, 0x3030303, v77
	v_ashrrev_i32_e32 v77, s15, v78
	v_and_b32_e32 v124, 0x3030303, v77
	v_add_u32_e32 v77, 0x6e00, v81
	v_add_u32_e32 v103, s16, v77
	v_add3_u32 v77, s17, v86, v93
	ds_read_b32 v122, v77
	v_dot4_i32_i8 v77, v61, v6, 0
	v_dot4_i32_i8 v77, v10, v7, v77
	v_dot4_i32_i8 v77, v0, v8, v77
	v_dot4_i32_i8 v102, v66, v9, v77
	v_dot4_i32_i8 v77, v127, v2, 0
	v_dot4_i32_i8 v77, v126, v3, v77
	ds_read_b128 v[93:96], v120 offset:1040
	v_dot4_i32_i8 v77, v125, v4, v77
	v_dot4_i32_i8 v123, v124, v5, v77
	;; [unrolled: 1-line block ×6, first 2 shown]
	s_waitcnt lgkmcnt(0)
	v_dot4_i32_i8 v77, v98, v93, 0
	v_dot4_i32_i8 v77, v99, v94, v77
	;; [unrolled: 1-line block ×4, first 2 shown]
	v_bfe_u32 v77, v60, 4, 4
	v_mul_lo_u32 v78, v77, s9
	v_and_b32_e32 v81, 0xffff, v80
	v_mul_lo_u32 v35, v81, v35
	v_dot4_i32_i8 v77, v78, v6, 0
	v_dot4_i32_i8 v77, v78, v7, v77
	;; [unrolled: 1-line block ×4, first 2 shown]
	v_and_b32_sdwa v77, v60, v116 dst_sel:DWORD dst_unused:UNUSED_PAD src0_sel:BYTE_1 src1_sel:DWORD
	v_lshrrev_b32_sdwa v60, v110, v60 dst_sel:DWORD dst_unused:UNUSED_PAD src0_sel:DWORD src1_sel:BYTE_1
	v_mul_lo_u32 v80, v60, s9
	v_and_b32_e32 v77, 0xffff, v77
	v_dot4_i32_i8 v60, v80, v2, v82
	v_mad_u64_u32 v[82:83], s[16:17], v77, v1, v[35:36]
	v_dot4_i32_i8 v1, v78, v104, 0
	v_dot4_i32_i8 v1, v78, v105, v1
	;; [unrolled: 1-line block ×10, first 2 shown]
	v_mul_lo_u32 v1, v84, v81
	v_dot4_i32_i8 v60, v80, v5, v60
	v_cvt_f32_i32_e32 v35, v82
	v_cvt_f32_i32_e32 v60, v60
	v_cvt_f32_f16_sdwa v82, v49 dst_sel:DWORD dst_unused:UNUSED_PAD src0_sel:WORD_1
	v_mad_u64_u32 v[83:84], s[16:17], v85, v77, v[1:2]
	v_mul_f32_e32 v1, v82, v60
	v_fma_mix_f32 v1, v49, v35, -v1 op_sel_hi:[1,0,0]
	v_cvt_f32_i32_e32 v35, v86
	v_fmac_f32_e32 v36, v13, v1
	v_cvt_f32_i32_e32 v1, v83
	v_and_b32_sdwa v83, v72, v116 dst_sel:DWORD dst_unused:UNUSED_PAD src0_sel:BYTE_1 src1_sel:DWORD
	v_mul_f32_e32 v35, v82, v35
	v_and_b32_e32 v83, 0xffff, v83
	v_fma_mix_f32 v1, v49, v1, -v35 op_sel_hi:[1,0,0]
	v_fmac_f32_e32 v62, v14, v1
	v_dot4_i32_i8 v1, v50, v104, 0
	v_dot4_i32_i8 v1, v51, v105, v1
	;; [unrolled: 1-line block ×8, first 2 shown]
	v_bfe_u32 v1, v72, 4, 4
	v_mul_lo_u32 v84, v1, s9
	v_dot4_i32_i8 v1, v84, v6, 0
	v_dot4_i32_i8 v1, v84, v7, v1
	;; [unrolled: 1-line block ×4, first 2 shown]
	v_and_b32_e32 v1, 15, v72
	v_and_b32_e32 v86, 0xffff, v1
	v_mul_lo_u32 v1, v86, v71
	v_lshrrev_b32_sdwa v71, v110, v72 dst_sel:DWORD dst_unused:UNUSED_PAD src0_sel:DWORD src1_sel:BYTE_1
	v_mul_lo_u32 v85, v71, s9
	v_dot4_i32_i8 v71, v85, v2, v101
	v_dot4_i32_i8 v71, v85, v3, v71
	;; [unrolled: 1-line block ×4, first 2 shown]
	v_mad_u64_u32 v[71:72], s[16:17], v83, v63, v[1:2]
	v_dot4_i32_i8 v1, v84, v104, 0
	v_dot4_i32_i8 v1, v84, v105, v1
	;; [unrolled: 1-line block ×8, first 2 shown]
	v_mul_lo_u32 v1, v35, v86
	v_cvt_f32_i32_e32 v118, v101
	v_cvt_f32_f16_sdwa v101, v59 dst_sel:DWORD dst_unused:UNUSED_PAD src0_sel:WORD_1
	v_cvt_f32_i32_e32 v63, v71
	v_mad_u64_u32 v[71:72], s[16:17], v60, v83, v[1:2]
	v_mul_f32_e32 v1, v101, v118
	v_fma_mix_f32 v1, v59, v63, -v1 op_sel_hi:[1,0,0]
	v_cvt_f32_i32_e32 v11, v11
	v_fmac_f32_e32 v76, v13, v1
	v_cvt_f32_i32_e32 v1, v71
	ds_read_u16 v60, v75
	v_mul_f32_e32 v11, v101, v11
	v_fma_mix_f32 v1, v59, v1, -v11 op_sel_hi:[1,0,0]
	v_fmac_f32_e32 v54, v14, v1
	v_dot4_i32_i8 v1, v88, v104, 0
	v_dot4_i32_i8 v1, v79, v105, v1
	;; [unrolled: 1-line block ×8, first 2 shown]
	s_waitcnt lgkmcnt(0)
	v_bfe_u32 v1, v60, 4, 4
	v_mul_lo_u32 v75, v1, s9
	v_and_b32_sdwa v35, v60, v116 dst_sel:DWORD dst_unused:UNUSED_PAD src0_sel:BYTE_1 src1_sel:DWORD
	v_and_b32_e32 v72, 0xffff, v35
	v_dot4_i32_i8 v1, v75, v6, 0
	v_dot4_i32_i8 v1, v75, v7, v1
	;; [unrolled: 1-line block ×4, first 2 shown]
	v_and_b32_e32 v1, 15, v60
	v_and_b32_e32 v1, 0xffff, v1
	v_mul_lo_u32 v35, v1, v92
	v_lshrrev_b32_sdwa v60, v110, v60 dst_sel:DWORD dst_unused:UNUSED_PAD src0_sel:DWORD src1_sel:BYTE_1
	v_mul_lo_u32 v92, v60, s9
	v_mad_u64_u32 v[118:119], s[16:17], v72, v119, v[35:36]
	v_dot4_i32_i8 v35, v75, v104, 0
	v_dot4_i32_i8 v35, v75, v105, v35
	v_dot4_i32_i8 v35, v75, v106, v35
	v_dot4_i32_i8 v35, v75, v107, v35
	v_dot4_i32_i8 v35, v92, v93, v35
	v_dot4_i32_i8 v35, v92, v94, v35
	v_dot4_i32_i8 v35, v92, v95, v35
	v_dot4_i32_i8 v71, v92, v96, v35
	v_mul_lo_u32 v35, v11, v1
	v_dot4_i32_i8 v60, v92, v2, v63
	v_dot4_i32_i8 v60, v92, v3, v60
	;; [unrolled: 1-line block ×4, first 2 shown]
	v_cvt_f32_i32_e32 v63, v118
	v_mad_u64_u32 v[118:119], s[16:17], v12, v72, v[35:36]
	v_cvt_f32_i32_e32 v60, v60
	v_cvt_f32_f16_sdwa v119, v89 dst_sel:DWORD dst_unused:UNUSED_PAD src0_sel:WORD_1
	v_cvt_f32_i32_e32 v12, v71
	v_mul_f32_e32 v11, v119, v60
	v_fma_mix_f32 v11, v89, v63, -v11 op_sel_hi:[1,0,0]
	ds_read_u16 v63, v103
	v_fmac_f32_e32 v74, v13, v11
	v_cvt_f32_i32_e32 v11, v118
	v_mul_f32_e32 v12, v119, v12
	s_waitcnt lgkmcnt(0)
	v_bfe_u32 v35, v63, 4, 4
	v_mul_lo_u32 v60, v35, s9
	v_fma_mix_f32 v11, v89, v11, -v12 op_sel_hi:[1,0,0]
	v_fmac_f32_e32 v46, v14, v11
	v_dot4_i32_i8 v11, v61, v104, 0
	v_dot4_i32_i8 v6, v60, v6, 0
	v_dot4_i32_i8 v6, v60, v7, v6
	v_dot4_i32_i8 v6, v60, v8, v6
	v_and_b32_sdwa v8, v63, v116 dst_sel:DWORD dst_unused:UNUSED_PAD src0_sel:BYTE_1 src1_sel:DWORD
	v_and_b32_e32 v35, 0xffff, v8
	v_lshrrev_b32_sdwa v8, v110, v63 dst_sel:DWORD dst_unused:UNUSED_PAD src0_sel:DWORD src1_sel:BYTE_1
	v_dot4_i32_i8 v7, v60, v9, v6
	v_and_b32_e32 v6, 15, v63
	v_mul_lo_u32 v63, v8, s9
	v_and_b32_e32 v71, 0xffff, v6
	v_mul_lo_u32 v6, v71, v102
	v_dot4_i32_i8 v11, v10, v105, v11
	v_dot4_i32_i8 v2, v63, v2, v7
	;; [unrolled: 1-line block ×5, first 2 shown]
	v_mad_u64_u32 v[2:3], s[16:17], v35, v123, v[6:7]
	v_dot4_i32_i8 v11, v0, v106, v11
	v_dot4_i32_i8 v11, v66, v107, v11
	v_cvt_f32_i32_e32 v5, v2
	v_dot4_i32_i8 v2, v60, v104, 0
	v_dot4_i32_i8 v2, v60, v105, v2
	;; [unrolled: 1-line block ×9, first 2 shown]
	v_mul_lo_u32 v2, v11, v71
	v_dot4_i32_i8 v12, v126, v94, v12
	v_cvt_f32_i32_e32 v4, v4
	v_cvt_f32_f16_sdwa v123, v122 dst_sel:DWORD dst_unused:UNUSED_PAD src0_sel:WORD_1
	v_dot4_i32_i8 v12, v125, v95, v12
	v_dot4_i32_i8 v12, v124, v96, v12
                                        ; kill: def $vgpr3 killed $sgpr0 killed $exec
                                        ; kill: def $vgpr94 killed $sgpr0 killed $exec
	v_mad_u64_u32 v[2:3], s[16:17], v12, v35, v[2:3]
	v_mul_f32_e32 v3, v123, v4
	v_fma_mix_f32 v3, v122, v5, -v3 op_sel_hi:[1,0,0]
	v_fmac_f32_e32 v70, v13, v3
	v_cvt_f32_i32_e32 v3, v6
	v_cvt_f32_i32_e32 v2, v2
	v_mul_f32_e32 v3, v123, v3
	v_fma_mix_f32 v2, v122, v2, -v3 op_sel_hi:[1,0,0]
	v_fmac_f32_e32 v41, v14, v2
	ds_read2_b32 v[13:14], v121 offset0:64 offset1:96
	ds_read_b128 v[6:9], v120 offset:2048
	ds_read_b128 v[2:5], v120 offset:2064
	s_waitcnt lgkmcnt(1)
	v_dot4_i32_i8 v11, v48, v6, 0
	v_dot4_i32_i8 v11, v47, v7, v11
	v_dot4_i32_i8 v11, v87, v8, v11
	v_dot4_i32_i8 v12, v78, v6, 0
	v_dot4_i32_i8 v11, v97, v9, v11
	v_dot4_i32_i8 v12, v78, v7, v12
	v_mul_lo_u32 v93, v11, v81
	s_waitcnt lgkmcnt(0)
	v_dot4_i32_i8 v11, v98, v2, 0
	v_dot4_i32_i8 v12, v78, v8, v12
	v_dot4_i32_i8 v11, v99, v3, v11
	v_dot4_i32_i8 v12, v78, v9, v12
	v_dot4_i32_i8 v11, v100, v4, v11
	v_dot4_i32_i8 v12, v80, v2, v12
	v_dot4_i32_i8 v11, v45, v5, v11
	v_dot4_i32_i8 v12, v80, v3, v12
	v_mad_u64_u32 v[93:94], s[16:17], v11, v77, v[93:94]
	v_dot4_i32_i8 v12, v80, v4, v12
	v_dot4_i32_i8 v12, v80, v5, v12
	v_cvt_f32_i32_e32 v12, v12
	v_cvt_f32_i32_e32 v11, v93
                                        ; kill: def $vgpr94 killed $sgpr0 killed $exec
	v_mul_f32_e32 v12, v82, v12
	v_fma_mix_f32 v11, v49, v11, -v12 op_sel_hi:[1,0,0]
	v_fmac_f32_e32 v40, v13, v11
	v_dot4_i32_i8 v11, v50, v6, 0
	v_dot4_i32_i8 v11, v51, v7, v11
	;; [unrolled: 1-line block ×6, first 2 shown]
	v_mul_lo_u32 v93, v11, v86
	v_dot4_i32_i8 v11, v55, v2, 0
	v_dot4_i32_i8 v12, v84, v8, v12
	v_dot4_i32_i8 v11, v56, v3, v11
	v_dot4_i32_i8 v12, v84, v9, v12
	v_dot4_i32_i8 v11, v57, v4, v11
	v_dot4_i32_i8 v12, v85, v2, v12
	v_dot4_i32_i8 v11, v58, v5, v11
	v_dot4_i32_i8 v12, v85, v3, v12
	v_mad_u64_u32 v[93:94], s[16:17], v11, v83, v[93:94]
	v_dot4_i32_i8 v12, v85, v4, v12
	v_dot4_i32_i8 v12, v85, v5, v12
	v_cvt_f32_i32_e32 v12, v12
	v_cvt_f32_i32_e32 v11, v93
                                        ; kill: def $vgpr94 killed $sgpr0 killed $exec
	v_mul_f32_e32 v12, v101, v12
	v_fma_mix_f32 v11, v59, v11, -v12 op_sel_hi:[1,0,0]
	v_fmac_f32_e32 v39, v13, v11
	v_dot4_i32_i8 v11, v88, v6, 0
	v_dot4_i32_i8 v11, v79, v7, v11
	v_dot4_i32_i8 v11, v64, v8, v11
	v_dot4_i32_i8 v12, v75, v6, 0
	v_dot4_i32_i8 v11, v65, v9, v11
	v_dot4_i32_i8 v12, v75, v7, v12
	v_mul_lo_u32 v93, v11, v1
	v_dot4_i32_i8 v11, v67, v2, 0
	v_dot4_i32_i8 v12, v75, v8, v12
	;; [unrolled: 1-line block ×8, first 2 shown]
	v_mad_u64_u32 v[93:94], s[16:17], v11, v72, v[93:94]
	v_dot4_i32_i8 v12, v92, v4, v12
	v_dot4_i32_i8 v12, v92, v5, v12
	v_cvt_f32_i32_e32 v12, v12
	v_cvt_f32_i32_e32 v11, v93
	v_mul_f32_e32 v12, v119, v12
	v_fma_mix_f32 v11, v89, v11, -v12 op_sel_hi:[1,0,0]
	v_fmac_f32_e32 v38, v13, v11
	v_dot4_i32_i8 v11, v61, v6, 0
	v_dot4_i32_i8 v6, v60, v6, 0
	;; [unrolled: 1-line block ×8, first 2 shown]
	v_mul_lo_u32 v6, v7, v71
	v_dot4_i32_i8 v7, v127, v2, 0
	v_dot4_i32_i8 v2, v63, v2, v8
	;; [unrolled: 1-line block ×8, first 2 shown]
	v_mad_u64_u32 v[2:3], s[16:17], v3, v35, v[6:7]
	v_cvt_f32_i32_e32 v3, v4
	v_cvt_f32_i32_e32 v2, v2
	v_mul_f32_e32 v3, v123, v3
	v_fma_mix_f32 v2, v122, v2, -v3 op_sel_hi:[1,0,0]
	v_fmac_f32_e32 v37, v13, v2
	ds_read_b128 v[6:9], v120 offset:3072
	ds_read_b128 v[2:5], v120 offset:3088
	s_waitcnt lgkmcnt(1)
	v_dot4_i32_i8 v11, v48, v6, 0
	v_dot4_i32_i8 v11, v47, v7, v11
	;; [unrolled: 1-line block ×6, first 2 shown]
	v_mul_lo_u32 v13, v11, v81
	s_waitcnt lgkmcnt(0)
	v_dot4_i32_i8 v11, v98, v2, 0
	v_dot4_i32_i8 v12, v78, v8, v12
	;; [unrolled: 1-line block ×8, first 2 shown]
	v_mad_u64_u32 v[93:94], s[16:17], v11, v77, v[13:14]
	v_dot4_i32_i8 v12, v80, v4, v12
	v_dot4_i32_i8 v12, v80, v5, v12
	v_cvt_f32_i32_e32 v12, v12
	v_cvt_f32_i32_e32 v11, v93
	v_mul_f32_e32 v12, v82, v12
	v_fma_mix_f32 v11, v49, v11, -v12 op_sel_hi:[1,0,0]
	v_fmac_f32_e32 v34, v14, v11
	v_dot4_i32_i8 v11, v50, v6, 0
	v_dot4_i32_i8 v11, v51, v7, v11
	;; [unrolled: 1-line block ×6, first 2 shown]
	v_mul_lo_u32 v13, v11, v86
	v_dot4_i32_i8 v11, v55, v2, 0
	v_dot4_i32_i8 v12, v84, v8, v12
	;; [unrolled: 1-line block ×8, first 2 shown]
	v_mad_u64_u32 v[93:94], s[16:17], v11, v83, v[13:14]
	v_dot4_i32_i8 v12, v85, v4, v12
	v_dot4_i32_i8 v12, v85, v5, v12
	v_cvt_f32_i32_e32 v12, v12
	v_cvt_f32_i32_e32 v11, v93
	v_mul_f32_e32 v12, v101, v12
	v_fma_mix_f32 v11, v59, v11, -v12 op_sel_hi:[1,0,0]
	v_fmac_f32_e32 v33, v14, v11
	v_dot4_i32_i8 v11, v88, v6, 0
	v_dot4_i32_i8 v11, v79, v7, v11
	;; [unrolled: 1-line block ×6, first 2 shown]
	v_mul_lo_u32 v13, v11, v1
	v_dot4_i32_i8 v11, v67, v2, 0
	v_dot4_i32_i8 v12, v75, v8, v12
	;; [unrolled: 1-line block ×8, first 2 shown]
	v_mad_u64_u32 v[93:94], s[16:17], v11, v72, v[13:14]
	v_dot4_i32_i8 v12, v92, v4, v12
	v_dot4_i32_i8 v12, v92, v5, v12
	v_cvt_f32_i32_e32 v12, v12
	v_cvt_f32_i32_e32 v11, v93
                                        ; kill: def $vgpr94 killed $sgpr0 killed $exec
	v_mul_f32_e32 v12, v119, v12
	v_fma_mix_f32 v11, v89, v11, -v12 op_sel_hi:[1,0,0]
	v_fmac_f32_e32 v32, v14, v11
	v_dot4_i32_i8 v11, v61, v6, 0
	v_dot4_i32_i8 v6, v60, v6, 0
	;; [unrolled: 1-line block ×8, first 2 shown]
	v_mul_lo_u32 v6, v7, v71
	v_dot4_i32_i8 v7, v127, v2, 0
	v_dot4_i32_i8 v2, v63, v2, v8
	;; [unrolled: 1-line block ×8, first 2 shown]
	v_mad_u64_u32 v[2:3], s[16:17], v3, v35, v[6:7]
	v_cvt_f32_i32_e32 v3, v4
	v_cvt_f32_i32_e32 v2, v2
	v_mul_f32_e32 v3, v123, v3
	v_fma_mix_f32 v2, v122, v2, -v3 op_sel_hi:[1,0,0]
	v_fmac_f32_e32 v31, v14, v2
	ds_read2_b32 v[13:14], v121 offset0:128 offset1:160
	ds_read_b128 v[6:9], v120 offset:4096
	ds_read_b128 v[2:5], v120 offset:4112
	s_waitcnt lgkmcnt(1)
	v_dot4_i32_i8 v11, v48, v6, 0
	v_dot4_i32_i8 v11, v47, v7, v11
	;; [unrolled: 1-line block ×6, first 2 shown]
	v_mul_lo_u32 v93, v11, v81
	s_waitcnt lgkmcnt(0)
	v_dot4_i32_i8 v11, v98, v2, 0
	v_dot4_i32_i8 v12, v78, v8, v12
	v_dot4_i32_i8 v11, v99, v3, v11
	v_dot4_i32_i8 v12, v78, v9, v12
	v_dot4_i32_i8 v11, v100, v4, v11
	v_dot4_i32_i8 v12, v80, v2, v12
	v_dot4_i32_i8 v11, v45, v5, v11
	v_dot4_i32_i8 v12, v80, v3, v12
	v_mad_u64_u32 v[93:94], s[16:17], v11, v77, v[93:94]
	v_dot4_i32_i8 v12, v80, v4, v12
	v_dot4_i32_i8 v12, v80, v5, v12
	v_cvt_f32_i32_e32 v12, v12
	v_cvt_f32_i32_e32 v11, v93
                                        ; kill: def $vgpr94 killed $sgpr0 killed $exec
	v_mul_f32_e32 v12, v82, v12
	v_fma_mix_f32 v11, v49, v11, -v12 op_sel_hi:[1,0,0]
	v_fmac_f32_e32 v30, v13, v11
	v_dot4_i32_i8 v11, v50, v6, 0
	v_dot4_i32_i8 v11, v51, v7, v11
	;; [unrolled: 1-line block ×6, first 2 shown]
	v_mul_lo_u32 v93, v11, v86
	v_dot4_i32_i8 v11, v55, v2, 0
	v_dot4_i32_i8 v12, v84, v8, v12
	;; [unrolled: 1-line block ×8, first 2 shown]
	v_mad_u64_u32 v[93:94], s[16:17], v11, v83, v[93:94]
	v_dot4_i32_i8 v12, v85, v4, v12
	v_dot4_i32_i8 v12, v85, v5, v12
	v_cvt_f32_i32_e32 v12, v12
	v_cvt_f32_i32_e32 v11, v93
                                        ; kill: def $vgpr94 killed $sgpr0 killed $exec
	v_mul_f32_e32 v12, v101, v12
	v_fma_mix_f32 v11, v59, v11, -v12 op_sel_hi:[1,0,0]
	v_fmac_f32_e32 v29, v13, v11
	v_dot4_i32_i8 v11, v88, v6, 0
	v_dot4_i32_i8 v11, v79, v7, v11
	;; [unrolled: 1-line block ×6, first 2 shown]
	v_mul_lo_u32 v93, v11, v1
	v_dot4_i32_i8 v11, v67, v2, 0
	v_dot4_i32_i8 v12, v75, v8, v12
	;; [unrolled: 1-line block ×8, first 2 shown]
	v_mad_u64_u32 v[93:94], s[16:17], v11, v72, v[93:94]
	v_dot4_i32_i8 v12, v92, v4, v12
	v_dot4_i32_i8 v12, v92, v5, v12
	v_cvt_f32_i32_e32 v12, v12
	v_cvt_f32_i32_e32 v11, v93
	v_mul_f32_e32 v12, v119, v12
	v_fma_mix_f32 v11, v89, v11, -v12 op_sel_hi:[1,0,0]
	v_fmac_f32_e32 v28, v13, v11
	v_dot4_i32_i8 v11, v61, v6, 0
	v_dot4_i32_i8 v6, v60, v6, 0
	;; [unrolled: 1-line block ×8, first 2 shown]
	v_mul_lo_u32 v6, v7, v71
	v_dot4_i32_i8 v7, v127, v2, 0
	v_dot4_i32_i8 v2, v63, v2, v8
	;; [unrolled: 1-line block ×8, first 2 shown]
	v_mad_u64_u32 v[2:3], s[16:17], v3, v35, v[6:7]
	v_cvt_f32_i32_e32 v3, v4
	v_cvt_f32_i32_e32 v2, v2
	v_mul_f32_e32 v3, v123, v3
	v_fma_mix_f32 v2, v122, v2, -v3 op_sel_hi:[1,0,0]
	v_fmac_f32_e32 v27, v13, v2
	ds_read_b128 v[6:9], v120 offset:5120
	ds_read_b128 v[2:5], v120 offset:5136
	s_waitcnt lgkmcnt(1)
	v_dot4_i32_i8 v11, v48, v6, 0
	v_dot4_i32_i8 v11, v47, v7, v11
	;; [unrolled: 1-line block ×6, first 2 shown]
	v_mul_lo_u32 v13, v11, v81
	s_waitcnt lgkmcnt(0)
	v_dot4_i32_i8 v11, v98, v2, 0
	v_dot4_i32_i8 v12, v78, v8, v12
	;; [unrolled: 1-line block ×8, first 2 shown]
	v_mad_u64_u32 v[93:94], s[16:17], v11, v77, v[13:14]
	v_dot4_i32_i8 v12, v80, v4, v12
	v_dot4_i32_i8 v12, v80, v5, v12
	v_cvt_f32_i32_e32 v12, v12
	v_cvt_f32_i32_e32 v11, v93
	v_mul_f32_e32 v12, v82, v12
	v_fma_mix_f32 v11, v49, v11, -v12 op_sel_hi:[1,0,0]
	v_fmac_f32_e32 v26, v14, v11
	v_dot4_i32_i8 v11, v50, v6, 0
	v_dot4_i32_i8 v11, v51, v7, v11
	;; [unrolled: 1-line block ×6, first 2 shown]
	v_mul_lo_u32 v13, v11, v86
	v_dot4_i32_i8 v11, v55, v2, 0
	v_dot4_i32_i8 v12, v84, v8, v12
	;; [unrolled: 1-line block ×8, first 2 shown]
	v_mad_u64_u32 v[93:94], s[16:17], v11, v83, v[13:14]
	v_dot4_i32_i8 v12, v85, v4, v12
	v_dot4_i32_i8 v12, v85, v5, v12
	v_cvt_f32_i32_e32 v12, v12
	v_cvt_f32_i32_e32 v11, v93
	v_mul_f32_e32 v12, v101, v12
	v_fma_mix_f32 v11, v59, v11, -v12 op_sel_hi:[1,0,0]
	v_fmac_f32_e32 v25, v14, v11
	v_dot4_i32_i8 v11, v88, v6, 0
	v_dot4_i32_i8 v11, v79, v7, v11
	;; [unrolled: 1-line block ×6, first 2 shown]
	v_mul_lo_u32 v13, v11, v1
	v_dot4_i32_i8 v11, v67, v2, 0
	v_dot4_i32_i8 v12, v75, v8, v12
	;; [unrolled: 1-line block ×8, first 2 shown]
	v_mad_u64_u32 v[93:94], s[16:17], v11, v72, v[13:14]
	v_dot4_i32_i8 v12, v92, v4, v12
	v_dot4_i32_i8 v12, v92, v5, v12
	v_cvt_f32_i32_e32 v12, v12
	v_cvt_f32_i32_e32 v11, v93
                                        ; kill: def $vgpr94 killed $sgpr0 killed $exec
	v_mul_f32_e32 v12, v119, v12
	v_fma_mix_f32 v11, v89, v11, -v12 op_sel_hi:[1,0,0]
	v_fmac_f32_e32 v24, v14, v11
	v_dot4_i32_i8 v11, v61, v6, 0
	v_dot4_i32_i8 v6, v60, v6, 0
	;; [unrolled: 1-line block ×8, first 2 shown]
	v_mul_lo_u32 v6, v7, v71
	v_dot4_i32_i8 v7, v127, v2, 0
	v_dot4_i32_i8 v2, v63, v2, v8
	;; [unrolled: 1-line block ×8, first 2 shown]
	v_mad_u64_u32 v[2:3], s[16:17], v3, v35, v[6:7]
	v_cvt_f32_i32_e32 v3, v4
	v_cvt_f32_i32_e32 v2, v2
	v_mul_f32_e32 v3, v123, v3
	v_fma_mix_f32 v2, v122, v2, -v3 op_sel_hi:[1,0,0]
	v_fmac_f32_e32 v23, v14, v2
	ds_read2_b32 v[13:14], v121 offset0:192 offset1:224
	ds_read_b128 v[6:9], v120 offset:6144
	ds_read_b128 v[2:5], v120 offset:6160
	v_add_u32_e32 v121, 4, v121
	s_waitcnt lgkmcnt(1)
	v_dot4_i32_i8 v11, v48, v6, 0
	v_dot4_i32_i8 v11, v47, v7, v11
	;; [unrolled: 1-line block ×6, first 2 shown]
	v_mul_lo_u32 v93, v11, v81
	s_waitcnt lgkmcnt(0)
	v_dot4_i32_i8 v11, v98, v2, 0
	v_dot4_i32_i8 v12, v78, v8, v12
	;; [unrolled: 1-line block ×8, first 2 shown]
	v_mad_u64_u32 v[93:94], s[16:17], v11, v77, v[93:94]
	v_dot4_i32_i8 v12, v80, v4, v12
	v_dot4_i32_i8 v12, v80, v5, v12
	v_cvt_f32_i32_e32 v12, v12
	v_cvt_f32_i32_e32 v11, v93
                                        ; kill: def $vgpr94 killed $sgpr0 killed $exec
	v_mul_f32_e32 v12, v82, v12
	v_fma_mix_f32 v11, v49, v11, -v12 op_sel_hi:[1,0,0]
	v_fmac_f32_e32 v22, v13, v11
	v_dot4_i32_i8 v11, v50, v6, 0
	v_dot4_i32_i8 v11, v51, v7, v11
	;; [unrolled: 1-line block ×6, first 2 shown]
	v_mul_lo_u32 v93, v11, v86
	v_dot4_i32_i8 v11, v55, v2, 0
	v_dot4_i32_i8 v12, v84, v8, v12
	v_dot4_i32_i8 v11, v56, v3, v11
	v_dot4_i32_i8 v12, v84, v9, v12
	v_dot4_i32_i8 v11, v57, v4, v11
	v_dot4_i32_i8 v12, v85, v2, v12
	v_dot4_i32_i8 v11, v58, v5, v11
	v_dot4_i32_i8 v12, v85, v3, v12
	v_mad_u64_u32 v[93:94], s[16:17], v11, v83, v[93:94]
	v_dot4_i32_i8 v12, v85, v4, v12
	v_dot4_i32_i8 v12, v85, v5, v12
	v_cvt_f32_i32_e32 v12, v12
	v_cvt_f32_i32_e32 v11, v93
                                        ; kill: def $vgpr94 killed $sgpr0 killed $exec
	v_mul_f32_e32 v12, v101, v12
	v_fma_mix_f32 v11, v59, v11, -v12 op_sel_hi:[1,0,0]
	v_fmac_f32_e32 v21, v13, v11
	v_dot4_i32_i8 v11, v88, v6, 0
	v_dot4_i32_i8 v11, v79, v7, v11
	;; [unrolled: 1-line block ×6, first 2 shown]
	v_mul_lo_u32 v93, v11, v1
	v_dot4_i32_i8 v11, v67, v2, 0
	v_dot4_i32_i8 v12, v75, v8, v12
	;; [unrolled: 1-line block ×8, first 2 shown]
	v_mad_u64_u32 v[93:94], s[16:17], v11, v72, v[93:94]
	v_dot4_i32_i8 v12, v92, v4, v12
	v_dot4_i32_i8 v12, v92, v5, v12
	v_cvt_f32_i32_e32 v12, v12
	v_cvt_f32_i32_e32 v11, v93
	v_mov_b32_e32 v93, v117
	v_mul_f32_e32 v12, v119, v12
	v_fma_mix_f32 v11, v89, v11, -v12 op_sel_hi:[1,0,0]
	v_fmac_f32_e32 v20, v13, v11
	v_dot4_i32_i8 v11, v61, v6, 0
	v_dot4_i32_i8 v6, v60, v6, 0
	v_dot4_i32_i8 v11, v10, v7, v11
	v_dot4_i32_i8 v6, v60, v7, v6
	v_dot4_i32_i8 v7, v0, v8, v11
	v_dot4_i32_i8 v6, v60, v8, v6
	v_dot4_i32_i8 v7, v66, v9, v7
	v_dot4_i32_i8 v8, v60, v9, v6
	v_mul_lo_u32 v6, v7, v71
	v_dot4_i32_i8 v7, v127, v2, 0
	v_dot4_i32_i8 v2, v63, v2, v8
	;; [unrolled: 1-line block ×8, first 2 shown]
	v_mad_u64_u32 v[2:3], s[16:17], v3, v35, v[6:7]
	v_cvt_f32_i32_e32 v3, v4
	v_cvt_f32_i32_e32 v2, v2
	v_mul_f32_e32 v3, v123, v3
	v_fma_mix_f32 v2, v122, v2, -v3 op_sel_hi:[1,0,0]
	v_fmac_f32_e32 v19, v13, v2
	ds_read_b128 v[6:9], v120 offset:7168
	ds_read_b128 v[2:5], v120 offset:7184
	v_add_u32_e32 v120, 32, v120
	s_waitcnt lgkmcnt(1)
	v_dot4_i32_i8 v11, v48, v6, 0
	v_dot4_i32_i8 v11, v47, v7, v11
	;; [unrolled: 1-line block ×6, first 2 shown]
	v_mul_lo_u32 v13, v11, v81
	s_waitcnt lgkmcnt(0)
	v_dot4_i32_i8 v11, v98, v2, 0
	v_dot4_i32_i8 v12, v78, v8, v12
	;; [unrolled: 1-line block ×8, first 2 shown]
	v_mad_u64_u32 v[47:48], s[16:17], v11, v77, v[13:14]
	v_dot4_i32_i8 v12, v80, v4, v12
	v_dot4_i32_i8 v12, v80, v5, v12
	v_cvt_f32_i32_e32 v12, v12
	v_cvt_f32_i32_e32 v11, v47
	v_mov_b32_e32 v81, v108
	v_mul_f32_e32 v12, v82, v12
	v_fma_mix_f32 v11, v49, v11, -v12 op_sel_hi:[1,0,0]
	v_fmac_f32_e32 v18, v14, v11
	v_dot4_i32_i8 v11, v50, v6, 0
	v_dot4_i32_i8 v11, v51, v7, v11
	;; [unrolled: 1-line block ×6, first 2 shown]
	v_mul_lo_u32 v13, v11, v86
	v_dot4_i32_i8 v11, v55, v2, 0
	v_dot4_i32_i8 v12, v84, v8, v12
	;; [unrolled: 1-line block ×8, first 2 shown]
	v_mad_u64_u32 v[47:48], s[16:17], v11, v83, v[13:14]
	v_dot4_i32_i8 v12, v85, v4, v12
	v_dot4_i32_i8 v12, v85, v5, v12
	v_cvt_f32_i32_e32 v12, v12
	v_cvt_f32_i32_e32 v11, v47
	v_mov_b32_e32 v84, v112
	v_mov_b32_e32 v86, v114
	v_mul_f32_e32 v12, v101, v12
	v_fma_mix_f32 v11, v59, v11, -v12 op_sel_hi:[1,0,0]
	v_fmac_f32_e32 v17, v14, v11
	v_dot4_i32_i8 v11, v88, v6, 0
	v_dot4_i32_i8 v11, v79, v7, v11
	;; [unrolled: 1-line block ×6, first 2 shown]
	v_mul_lo_u32 v1, v11, v1
	v_dot4_i32_i8 v11, v67, v2, 0
	v_dot4_i32_i8 v12, v75, v8, v12
	;; [unrolled: 1-line block ×8, first 2 shown]
	v_mad_u64_u32 v[47:48], s[16:17], v11, v72, v[1:2]
	v_dot4_i32_i8 v12, v92, v4, v12
	v_dot4_i32_i8 v12, v92, v5, v12
	v_cvt_f32_i32_e32 v11, v12
	v_cvt_f32_i32_e32 v1, v47
	v_mov_b32_e32 v85, v113
	v_mov_b32_e32 v64, v111
	v_mul_f32_e32 v11, v119, v11
	v_fma_mix_f32 v1, v89, v1, -v11 op_sel_hi:[1,0,0]
	v_fmac_f32_e32 v16, v14, v1
	v_dot4_i32_i8 v1, v61, v6, 0
	v_dot4_i32_i8 v6, v60, v6, 0
	;; [unrolled: 1-line block ×12, first 2 shown]
	buffer_load_dword v63, off, s[20:23], 0 ; 4-byte Folded Reload
	v_mul_lo_u32 v6, v6, v71
	v_dot4_i32_i8 v1, v127, v2, 0
	v_dot4_i32_i8 v1, v126, v3, v1
	;; [unrolled: 1-line block ×4, first 2 shown]
	v_mad_u64_u32 v[1:2], s[16:17], v1, v35, v[6:7]
	v_cvt_f32_i32_e32 v0, v0
	s_add_i32 s16, s15, 2
	v_cvt_f32_i32_e32 v1, v1
	v_mov_b32_e32 v12, v43
	v_mul_f32_e32 v0, v123, v0
	v_mov_b32_e32 v11, v91
	v_fma_mix_f32 v0, v122, v1, -v0 op_sel_hi:[1,0,0]
	v_mov_b32_e32 v61, v44
	v_mov_b32_e32 v10, v109
	;; [unrolled: 1-line block ×3, first 2 shown]
	v_fmac_f32_e32 v15, v14, v0
	s_cmp_lt_u32 s15, 6
	s_mov_b32 s15, s16
	s_cbranch_scc1 .LBB127_8
; %bb.9:                                ;   in Loop: Header=BB127_7 Depth=1
	s_waitcnt vmcnt(0)
	s_barrier
	buffer_load_dword v0, off, s[20:23], 0 offset:224 ; 4-byte Folded Reload
	s_mov_b32 s15, 8
	s_waitcnt vmcnt(0)
	v_add_u32_e32 v2, s14, v0
	buffer_load_dword v0, off, s[20:23], 0 offset:8 ; 4-byte Folded Reload
	buffer_load_dword v3, off, s[20:23], 0 offset:40 ; 4-byte Folded Reload
	;; [unrolled: 1-line block ×3, first 2 shown]
	s_waitcnt vmcnt(2)
	v_add_u32_e32 v0, v2, v0
	s_waitcnt vmcnt(0)
	v_mad_i64_i32 v[0:1], s[16:17], v0, 36, v[3:4]
	global_load_dword v0, v[0:1], off offset:4
	s_nop 0
	buffer_load_dword v1, off, s[20:23], 0 offset:88 ; 4-byte Folded Reload
	s_waitcnt vmcnt(0)
	ds_write_b32 v1, v0
	buffer_load_dword v0, off, s[20:23], 0 offset:12 ; 4-byte Folded Reload
	s_waitcnt vmcnt(0)
	v_add_u32_e32 v0, v2, v0
	v_mad_i64_i32 v[0:1], s[16:17], v0, 36, v[3:4]
	global_load_dword v0, v[0:1], off offset:4
	s_nop 0
	buffer_load_dword v1, off, s[20:23], 0 offset:56 ; 4-byte Folded Reload
	s_waitcnt vmcnt(0)
	ds_write_b32 v1, v0
	buffer_load_dword v0, off, s[20:23], 0 offset:16 ; 4-byte Folded Reload
	s_waitcnt vmcnt(0)
	v_add_u32_e32 v0, v2, v0
	;; [unrolled: 9-line block ×8, first 2 shown]
	v_mad_u64_u32 v[0:1], s[16:17], v0, 36, s[2:3]
	global_load_dword v0, v[0:1], off
	s_nop 0
	buffer_load_dword v1, off, s[20:23], 0 offset:4 ; 4-byte Folded Reload
	s_waitcnt vmcnt(1)
	v_cvt_f32_f16_e32 v0, v0
	s_waitcnt vmcnt(0)
	ds_write_b32 v1, v0
	s_waitcnt lgkmcnt(0)
	s_barrier
	buffer_load_dword v120, off, s[20:23], 0 offset:52 ; 4-byte Folded Reload
	buffer_load_dword v121, off, s[20:23], 0 offset:48 ; 4-byte Folded Reload
.LBB127_10:                             ;   Parent Loop BB127_7 Depth=1
                                        ; =>  This Inner Loop Header: Depth=2
	s_and_b32 s17, s15, 0x3ffffff8
	v_lshl_add_u32 v11, s17, 2, v91
	s_waitcnt vmcnt(0)
	ds_read2_b32 v[13:14], v121 offset1:32
	ds_read_b128 v[6:9], v120
	ds_read_b128 v[2:5], v120 offset:16
	ds_read2_b32 v[0:1], v11 offset1:1
	s_add_i32 s18, s15, -8
	s_lshr_b32 s17, s15, 2
	s_and_b32 s17, s17, 0x3ffffffc
	s_addk_i32 s17, 0x7280
	s_waitcnt lgkmcnt(0)
	v_ashrrev_i32_e32 v0, s18, v0
	v_and_b32_e32 v49, 0x3030303, v0
	v_ashrrev_i32_e32 v0, s18, v1
	v_and_b32_e32 v100, 0x3030303, v0
	ds_read2_b32 v[0:1], v11 offset0:2 offset1:3
	s_and_b32 s16, s15, -16
	s_add_i32 s16, s15, s16
	v_add_u32_e32 v83, s16, v61
	v_add_u32_e32 v77, s16, v12
	s_waitcnt lgkmcnt(0)
	v_ashrrev_i32_e32 v0, s18, v0
	v_and_b32_e32 v45, 0x3030303, v0
	v_ashrrev_i32_e32 v0, s18, v1
	v_and_b32_e32 v47, 0x3030303, v0
	ds_read2_b32 v[0:1], v11 offset0:4 offset1:5
	v_add_u32_e32 v35, s16, v81
	s_waitcnt lgkmcnt(0)
	v_ashrrev_i32_e32 v0, s18, v0
	v_and_b32_e32 v48, 0x3030303, v0
	v_ashrrev_i32_e32 v0, s18, v1
	v_and_b32_e32 v87, 0x3030303, v0
	ds_read2_b32 v[0:1], v11 offset0:6 offset1:7
	s_waitcnt lgkmcnt(0)
	v_ashrrev_i32_e32 v0, s18, v0
	v_and_b32_e32 v97, 0x3030303, v0
	v_ashrrev_i32_e32 v0, s18, v1
	v_and_b32_e32 v98, 0x3030303, v0
	v_add3_u32 v0, s17, v115, v10
	ds_read_b32 v99, v0
	v_dot4_i32_i8 v0, v49, v6, 0
	v_dot4_i32_i8 v0, v100, v7, v0
	;; [unrolled: 1-line block ×8, first 2 shown]
	v_add_u32_e32 v0, 0x1080, v11
	ds_read2_b32 v[0:1], v0 offset1:1
	s_waitcnt lgkmcnt(0)
	v_ashrrev_i32_e32 v0, s18, v0
	v_and_b32_e32 v50, 0x3030303, v0
	v_ashrrev_i32_e32 v0, s18, v1
	v_and_b32_e32 v51, 0x3030303, v0
	v_add_u32_e32 v0, 0x1088, v11
	ds_read2_b32 v[0:1], v0 offset1:1
	s_waitcnt lgkmcnt(0)
	v_ashrrev_i32_e32 v0, s18, v0
	v_and_b32_e32 v53, 0x3030303, v0
	v_ashrrev_i32_e32 v0, s18, v1
	v_and_b32_e32 v55, 0x3030303, v0
	;; [unrolled: 7-line block ×4, first 2 shown]
	v_add3_u32 v0, s17, v63, v64
	ds_read_b32 v52, v0
	v_dot4_i32_i8 v0, v50, v6, 0
	v_dot4_i32_i8 v0, v51, v7, v0
	v_dot4_i32_i8 v0, v53, v8, v0
	v_dot4_i32_i8 v75, v55, v9, v0
	v_dot4_i32_i8 v0, v56, v2, 0
	v_dot4_i32_i8 v0, v57, v3, v0
	v_dot4_i32_i8 v0, v58, v4, v0
	v_dot4_i32_i8 v72, v59, v5, v0
	v_add_u32_e32 v0, 0x2100, v11
	ds_read2_b32 v[0:1], v0 offset1:1
	s_waitcnt lgkmcnt(0)
	v_ashrrev_i32_e32 v0, s18, v0
	v_and_b32_e32 v10, 0x3030303, v0
	v_ashrrev_i32_e32 v0, s18, v1
	v_and_b32_e32 v73, 0x3030303, v0
	v_add_u32_e32 v0, 0x2108, v11
	ds_read2_b32 v[0:1], v0 offset1:1
	v_dot4_i32_i8 v12, v10, v6, 0
	v_dot4_i32_i8 v12, v73, v7, v12
	s_waitcnt lgkmcnt(0)
	v_ashrrev_i32_e32 v0, s18, v0
	v_and_b32_e32 v61, 0x3030303, v0
	v_ashrrev_i32_e32 v0, s18, v1
	v_and_b32_e32 v64, 0x3030303, v0
	v_add_u32_e32 v0, 0x2110, v11
	ds_read2_b32 v[0:1], v0 offset1:1
	v_dot4_i32_i8 v12, v61, v8, v12
	v_dot4_i32_i8 v71, v64, v9, v12
	;; [unrolled: 9-line block ×3, first 2 shown]
	s_waitcnt lgkmcnt(0)
	v_ashrrev_i32_e32 v0, s18, v0
	v_and_b32_e32 v68, 0x3030303, v0
	v_ashrrev_i32_e32 v0, s18, v1
	v_and_b32_e32 v69, 0x3030303, v0
	v_dot4_i32_i8 v12, v68, v4, v12
	v_dot4_i32_i8 v60, v69, v5, v12
	v_add_u32_e32 v12, 0x3180, v11
	v_add3_u32 v0, s17, v84, v85
	ds_read2_b32 v[84:85], v12 offset1:1
	v_add_u32_e32 v1, s16, v66
	ds_read_b32 v0, v0
	s_waitcnt lgkmcnt(1)
	v_ashrrev_i32_e32 v12, s18, v84
	v_and_b32_e32 v79, 0x3030303, v12
	v_ashrrev_i32_e32 v12, s18, v85
	v_and_b32_e32 v89, 0x3030303, v12
	v_add_u32_e32 v12, 0x3188, v11
	ds_read2_b32 v[84:85], v12 offset1:1
	s_waitcnt lgkmcnt(0)
	v_ashrrev_i32_e32 v12, s18, v84
	v_and_b32_e32 v88, 0x3030303, v12
	v_ashrrev_i32_e32 v12, s18, v85
	v_and_b32_e32 v66, 0x3030303, v12
	v_add_u32_e32 v12, 0x3190, v11
	ds_read2_b32 v[84:85], v12 offset1:1
	v_add_u32_e32 v11, 0x3198, v11
	s_waitcnt lgkmcnt(0)
	v_ashrrev_i32_e32 v12, s18, v84
	v_and_b32_e32 v127, 0x3030303, v12
	v_ashrrev_i32_e32 v12, s18, v85
	ds_read2_b32 v[84:85], v11 offset1:1
	v_and_b32_e32 v126, 0x3030303, v12
	v_cvt_f32_f16_sdwa v119, v0 dst_sel:DWORD dst_unused:UNUSED_PAD src0_sel:WORD_1
	s_waitcnt lgkmcnt(0)
	v_ashrrev_i32_e32 v11, s18, v84
	v_and_b32_e32 v125, 0x3030303, v11
	v_ashrrev_i32_e32 v11, s18, v85
	v_and_b32_e32 v124, 0x3030303, v11
	v_add3_u32 v11, s17, v86, v93
	ds_read_b32 v122, v11
	ds_read_b128 v[93:96], v120 offset:1024
	ds_read_b128 v[102:105], v120 offset:1040
	ds_read_u16 v85, v77 offset:25088
	v_dot4_i32_i8 v11, v79, v6, 0
	v_dot4_i32_i8 v11, v89, v7, v11
	;; [unrolled: 1-line block ×4, first 2 shown]
	s_waitcnt lgkmcnt(0)
	v_bfe_u32 v77, v85, 4, 4
	v_mul_lo_u32 v78, v77, s9
	v_and_b32_e32 v81, 15, v85
	v_and_b32_e32 v81, 0xffff, v81
	v_mul_lo_u32 v84, v81, v80
	v_lshrrev_b32_sdwa v80, v110, v85 dst_sel:DWORD dst_unused:UNUSED_PAD src0_sel:DWORD src1_sel:BYTE_1
	v_dot4_i32_i8 v77, v78, v6, 0
	v_mul_lo_u32 v80, v80, s9
	v_dot4_i32_i8 v77, v78, v7, v77
	v_dot4_i32_i8 v77, v78, v8, v77
	;; [unrolled: 1-line block ×3, first 2 shown]
	v_and_b32_sdwa v77, v85, v116 dst_sel:DWORD dst_unused:UNUSED_PAD src0_sel:BYTE_1 src1_sel:DWORD
	v_dot4_i32_i8 v85, v80, v2, v86
	v_dot4_i32_i8 v85, v80, v3, v85
	;; [unrolled: 1-line block ×3, first 2 shown]
	v_and_b32_e32 v77, 0xffff, v77
	v_dot4_i32_i8 v86, v80, v5, v85
                                        ; kill: def $vgpr85 killed $sgpr0 killed $exec
	v_dot4_i32_i8 v11, v127, v2, 0
	v_mad_u64_u32 v[84:85], s[16:17], v77, v82, v[84:85]
	v_dot4_i32_i8 v82, v78, v93, 0
	v_dot4_i32_i8 v11, v126, v3, v11
	;; [unrolled: 1-line block ×16, first 2 shown]
	v_mul_lo_u32 v82, v11, v81
	v_dot4_i32_i8 v12, v87, v103, v12
	v_dot4_i32_i8 v12, v97, v104, v12
	;; [unrolled: 1-line block ×3, first 2 shown]
	v_cvt_f32_i32_e32 v92, v84
	v_mad_u64_u32 v[84:85], s[16:17], v12, v77, v[82:83]
	v_cvt_f32_i32_e32 v86, v86
	v_cvt_f32_f16_sdwa v82, v99 dst_sel:DWORD dst_unused:UNUSED_PAD src0_sel:WORD_1
	ds_read_u16 v85, v83 offset:26112
	v_cvt_f32_i32_e32 v12, v101
	v_cvt_f32_f16_sdwa v101, v52 dst_sel:DWORD dst_unused:UNUSED_PAD src0_sel:WORD_1
	v_mul_f32_e32 v11, v82, v86
	v_fma_mix_f32 v11, v99, v92, -v11 op_sel_hi:[1,0,0]
	s_waitcnt lgkmcnt(0)
	v_bfe_u32 v83, v85, 4, 4
	v_fmac_f32_e32 v36, v13, v11
	v_cvt_f32_i32_e32 v11, v84
	v_mul_lo_u32 v84, v83, s9
	v_and_b32_e32 v86, 15, v85
	v_and_b32_e32 v86, 0xffff, v86
	v_mul_lo_u32 v75, v86, v75
	v_dot4_i32_i8 v83, v84, v6, 0
	v_dot4_i32_i8 v83, v84, v7, v83
	;; [unrolled: 1-line block ×4, first 2 shown]
	v_and_b32_sdwa v83, v85, v116 dst_sel:DWORD dst_unused:UNUSED_PAD src0_sel:BYTE_1 src1_sel:DWORD
	v_lshrrev_b32_sdwa v85, v110, v85 dst_sel:DWORD dst_unused:UNUSED_PAD src0_sel:DWORD src1_sel:BYTE_1
	v_mul_lo_u32 v85, v85, s9
	v_and_b32_e32 v83, 0xffff, v83
	v_mad_u64_u32 v[106:107], s[16:17], v83, v72, v[75:76]
	v_dot4_i32_i8 v92, v85, v2, v92
	v_dot4_i32_i8 v92, v85, v3, v92
	;; [unrolled: 1-line block ×3, first 2 shown]
	v_mul_f32_e32 v12, v82, v12
	v_dot4_i32_i8 v92, v85, v4, v92
	v_dot4_i32_i8 v72, v84, v94, v72
	v_fma_mix_f32 v11, v99, v11, -v12 op_sel_hi:[1,0,0]
	v_dot4_i32_i8 v92, v85, v5, v92
	v_dot4_i32_i8 v72, v84, v95, v72
	v_fmac_f32_e32 v62, v14, v11
	v_dot4_i32_i8 v11, v50, v93, 0
	v_cvt_f32_i32_e32 v92, v92
	v_dot4_i32_i8 v72, v84, v96, v72
	v_dot4_i32_i8 v11, v51, v94, v11
	v_dot4_i32_i8 v72, v85, v102, v72
	v_dot4_i32_i8 v11, v53, v95, v11
	v_dot4_i32_i8 v72, v85, v103, v72
	v_dot4_i32_i8 v11, v55, v96, v11
	v_dot4_i32_i8 v72, v85, v104, v72
	v_dot4_i32_i8 v118, v85, v105, v72
	v_mul_lo_u32 v72, v11, v86
	v_mul_f32_e32 v11, v101, v92
	ds_read_u16 v92, v1 offset:27136
	v_cvt_f32_i32_e32 v75, v106
	v_dot4_i32_i8 v12, v56, v102, 0
	v_dot4_i32_i8 v12, v57, v103, v12
	;; [unrolled: 1-line block ×3, first 2 shown]
	s_waitcnt lgkmcnt(0)
	v_bfe_u32 v1, v92, 4, 4
	v_fma_mix_f32 v11, v52, v75, -v11 op_sel_hi:[1,0,0]
	v_mul_lo_u32 v75, v1, s9
	v_dot4_i32_i8 v12, v59, v105, v12
	v_mad_u64_u32 v[106:107], s[16:17], v12, v83, v[72:73]
	v_dot4_i32_i8 v1, v75, v6, 0
	v_dot4_i32_i8 v1, v75, v7, v1
	;; [unrolled: 1-line block ×3, first 2 shown]
	v_fmac_f32_e32 v76, v13, v11
	v_cvt_f32_i32_e32 v11, v106
	v_dot4_i32_i8 v106, v75, v9, v1
	v_and_b32_e32 v1, 15, v92
	v_and_b32_sdwa v72, v92, v116 dst_sel:DWORD dst_unused:UNUSED_PAD src0_sel:BYTE_1 src1_sel:DWORD
	v_lshrrev_b32_sdwa v92, v110, v92 dst_sel:DWORD dst_unused:UNUSED_PAD src0_sel:DWORD src1_sel:BYTE_1
	v_mul_lo_u32 v92, v92, s9
	v_and_b32_e32 v1, 0xffff, v1
	v_mul_lo_u32 v71, v1, v71
	v_cvt_f32_i32_e32 v12, v118
	v_dot4_i32_i8 v106, v92, v2, v106
	v_dot4_i32_i8 v106, v92, v3, v106
	v_and_b32_e32 v72, 0xffff, v72
	v_dot4_i32_i8 v106, v92, v4, v106
	v_dot4_i32_i8 v118, v92, v5, v106
	v_mad_u64_u32 v[106:107], s[16:17], v72, v60, v[71:72]
	v_dot4_i32_i8 v60, v75, v93, 0
	v_mul_f32_e32 v12, v101, v12
	v_dot4_i32_i8 v60, v75, v94, v60
	v_fma_mix_f32 v11, v52, v11, -v12 op_sel_hi:[1,0,0]
	v_dot4_i32_i8 v60, v75, v95, v60
	v_fmac_f32_e32 v54, v14, v11
	v_dot4_i32_i8 v11, v10, v93, 0
	v_dot4_i32_i8 v60, v75, v96, v60
	;; [unrolled: 1-line block ×10, first 2 shown]
	v_mul_lo_u32 v60, v11, v1
	v_dot4_i32_i8 v12, v67, v103, v12
	v_dot4_i32_i8 v12, v68, v104, v12
	;; [unrolled: 1-line block ×3, first 2 shown]
	v_cvt_f32_i32_e32 v71, v106
	v_mad_u64_u32 v[106:107], s[16:17], v12, v72, v[60:61]
	v_cvt_f32_i32_e32 v12, v90
	ds_read_u16 v90, v35 offset:28160
	v_cvt_f32_i32_e32 v118, v118
	v_mul_f32_e32 v12, v119, v12
	s_waitcnt lgkmcnt(0)
	v_bfe_u32 v35, v90, 4, 4
	v_mul_lo_u32 v60, v35, s9
	v_mul_f32_e32 v11, v119, v118
	v_fma_mix_f32 v11, v0, v71, -v11 op_sel_hi:[1,0,0]
	v_fmac_f32_e32 v74, v13, v11
	v_dot4_i32_i8 v6, v60, v6, 0
	v_dot4_i32_i8 v6, v60, v7, v6
	;; [unrolled: 1-line block ×4, first 2 shown]
	v_and_b32_e32 v6, 15, v90
	v_and_b32_sdwa v8, v90, v116 dst_sel:DWORD dst_unused:UNUSED_PAD src0_sel:BYTE_1 src1_sel:DWORD
	v_and_b32_e32 v35, 0xffff, v8
	v_and_b32_e32 v71, 0xffff, v6
	v_lshrrev_b32_sdwa v8, v110, v90 dst_sel:DWORD dst_unused:UNUSED_PAD src0_sel:DWORD src1_sel:BYTE_1
	v_mul_lo_u32 v6, v71, v63
	v_mul_lo_u32 v63, v8, s9
	v_cvt_f32_i32_e32 v11, v106
	v_dot4_i32_i8 v2, v63, v2, v7
	v_dot4_i32_i8 v2, v63, v3, v2
	;; [unrolled: 1-line block ×4, first 2 shown]
	v_mad_u64_u32 v[2:3], s[16:17], v35, v123, v[6:7]
	v_fma_mix_f32 v11, v0, v11, -v12 op_sel_hi:[1,0,0]
	v_fmac_f32_e32 v46, v14, v11
	v_cvt_f32_i32_e32 v5, v2
	v_dot4_i32_i8 v2, v60, v93, 0
	v_dot4_i32_i8 v2, v60, v94, v2
	;; [unrolled: 1-line block ×13, first 2 shown]
	v_mul_lo_u32 v2, v11, v71
	v_dot4_i32_i8 v12, v126, v103, v12
	v_cvt_f32_i32_e32 v4, v4
	v_cvt_f32_f16_sdwa v123, v122 dst_sel:DWORD dst_unused:UNUSED_PAD src0_sel:WORD_1
	v_dot4_i32_i8 v12, v125, v104, v12
	v_dot4_i32_i8 v12, v124, v105, v12
                                        ; kill: def $vgpr3 killed $sgpr0 killed $exec
	v_mad_u64_u32 v[2:3], s[16:17], v12, v35, v[2:3]
	v_mul_f32_e32 v3, v123, v4
	v_fma_mix_f32 v3, v122, v5, -v3 op_sel_hi:[1,0,0]
	v_fmac_f32_e32 v70, v13, v3
	v_cvt_f32_i32_e32 v3, v6
	v_cvt_f32_i32_e32 v2, v2
	v_mul_f32_e32 v3, v123, v3
	v_fma_mix_f32 v2, v122, v2, -v3 op_sel_hi:[1,0,0]
	v_fmac_f32_e32 v41, v14, v2
	ds_read2_b32 v[13:14], v121 offset0:64 offset1:96
	ds_read_b128 v[6:9], v120 offset:2048
	ds_read_b128 v[2:5], v120 offset:2064
	s_waitcnt lgkmcnt(1)
	v_dot4_i32_i8 v11, v49, v6, 0
	v_dot4_i32_i8 v11, v100, v7, v11
	;; [unrolled: 1-line block ×6, first 2 shown]
	v_mul_lo_u32 v93, v11, v81
	s_waitcnt lgkmcnt(0)
	v_dot4_i32_i8 v11, v48, v2, 0
	v_dot4_i32_i8 v12, v78, v8, v12
	;; [unrolled: 1-line block ×8, first 2 shown]
	v_mad_u64_u32 v[93:94], s[16:17], v11, v77, v[93:94]
	v_dot4_i32_i8 v12, v80, v4, v12
	v_dot4_i32_i8 v12, v80, v5, v12
	v_cvt_f32_i32_e32 v12, v12
	v_cvt_f32_i32_e32 v11, v93
	v_mul_f32_e32 v12, v82, v12
	v_fma_mix_f32 v11, v99, v11, -v12 op_sel_hi:[1,0,0]
	v_fmac_f32_e32 v40, v13, v11
	v_dot4_i32_i8 v11, v50, v6, 0
	v_dot4_i32_i8 v11, v51, v7, v11
	;; [unrolled: 1-line block ×6, first 2 shown]
	v_mul_lo_u32 v93, v11, v86
	v_dot4_i32_i8 v11, v56, v2, 0
	v_dot4_i32_i8 v12, v84, v8, v12
	;; [unrolled: 1-line block ×8, first 2 shown]
	v_mad_u64_u32 v[93:94], s[16:17], v11, v83, v[93:94]
	v_dot4_i32_i8 v12, v85, v4, v12
	v_dot4_i32_i8 v12, v85, v5, v12
	v_cvt_f32_i32_e32 v12, v12
	v_cvt_f32_i32_e32 v11, v93
	v_mul_f32_e32 v12, v101, v12
	v_fma_mix_f32 v11, v52, v11, -v12 op_sel_hi:[1,0,0]
	v_fmac_f32_e32 v39, v13, v11
	v_dot4_i32_i8 v11, v10, v6, 0
	v_dot4_i32_i8 v11, v73, v7, v11
	;; [unrolled: 1-line block ×6, first 2 shown]
	v_mul_lo_u32 v93, v11, v1
	v_dot4_i32_i8 v11, v65, v2, 0
	v_dot4_i32_i8 v12, v75, v8, v12
	;; [unrolled: 1-line block ×8, first 2 shown]
	v_mad_u64_u32 v[93:94], s[16:17], v11, v72, v[93:94]
	v_dot4_i32_i8 v12, v92, v4, v12
	v_dot4_i32_i8 v12, v92, v5, v12
	v_cvt_f32_i32_e32 v12, v12
	v_cvt_f32_i32_e32 v11, v93
	v_mul_f32_e32 v12, v119, v12
	v_fma_mix_f32 v11, v0, v11, -v12 op_sel_hi:[1,0,0]
	v_fmac_f32_e32 v38, v13, v11
	v_dot4_i32_i8 v11, v79, v6, 0
	v_dot4_i32_i8 v6, v60, v6, 0
	;; [unrolled: 1-line block ×8, first 2 shown]
	v_mul_lo_u32 v6, v7, v71
	v_dot4_i32_i8 v7, v127, v2, 0
	v_dot4_i32_i8 v2, v63, v2, v8
	v_dot4_i32_i8 v7, v126, v3, v7
	v_dot4_i32_i8 v2, v63, v3, v2
	v_dot4_i32_i8 v3, v125, v4, v7
	v_dot4_i32_i8 v2, v63, v4, v2
	v_dot4_i32_i8 v3, v124, v5, v3
	v_dot4_i32_i8 v4, v63, v5, v2
	v_mad_u64_u32 v[2:3], s[16:17], v3, v35, v[6:7]
	v_cvt_f32_i32_e32 v3, v4
	v_cvt_f32_i32_e32 v2, v2
	v_mul_f32_e32 v3, v123, v3
	v_fma_mix_f32 v2, v122, v2, -v3 op_sel_hi:[1,0,0]
	v_fmac_f32_e32 v37, v13, v2
	ds_read_b128 v[6:9], v120 offset:3072
	ds_read_b128 v[2:5], v120 offset:3088
	s_waitcnt lgkmcnt(1)
	v_dot4_i32_i8 v11, v49, v6, 0
	v_dot4_i32_i8 v11, v100, v7, v11
	;; [unrolled: 1-line block ×6, first 2 shown]
	v_mul_lo_u32 v13, v11, v81
	s_waitcnt lgkmcnt(0)
	v_dot4_i32_i8 v11, v48, v2, 0
	v_dot4_i32_i8 v12, v78, v8, v12
	;; [unrolled: 1-line block ×8, first 2 shown]
	v_mad_u64_u32 v[93:94], s[16:17], v11, v77, v[13:14]
	v_dot4_i32_i8 v12, v80, v4, v12
	v_dot4_i32_i8 v12, v80, v5, v12
	v_cvt_f32_i32_e32 v12, v12
	v_cvt_f32_i32_e32 v11, v93
	v_mul_f32_e32 v12, v82, v12
	v_fma_mix_f32 v11, v99, v11, -v12 op_sel_hi:[1,0,0]
	v_fmac_f32_e32 v34, v14, v11
	v_dot4_i32_i8 v11, v50, v6, 0
	v_dot4_i32_i8 v11, v51, v7, v11
	;; [unrolled: 1-line block ×6, first 2 shown]
	v_mul_lo_u32 v13, v11, v86
	v_dot4_i32_i8 v11, v56, v2, 0
	v_dot4_i32_i8 v12, v84, v8, v12
	;; [unrolled: 1-line block ×8, first 2 shown]
	v_mad_u64_u32 v[93:94], s[16:17], v11, v83, v[13:14]
	v_dot4_i32_i8 v12, v85, v4, v12
	v_dot4_i32_i8 v12, v85, v5, v12
	v_cvt_f32_i32_e32 v12, v12
	v_cvt_f32_i32_e32 v11, v93
	v_mul_f32_e32 v12, v101, v12
	v_fma_mix_f32 v11, v52, v11, -v12 op_sel_hi:[1,0,0]
	v_fmac_f32_e32 v33, v14, v11
	v_dot4_i32_i8 v11, v10, v6, 0
	v_dot4_i32_i8 v11, v73, v7, v11
	;; [unrolled: 1-line block ×6, first 2 shown]
	v_mul_lo_u32 v13, v11, v1
	v_dot4_i32_i8 v11, v65, v2, 0
	v_dot4_i32_i8 v12, v75, v8, v12
	;; [unrolled: 1-line block ×8, first 2 shown]
	v_mad_u64_u32 v[93:94], s[16:17], v11, v72, v[13:14]
	v_dot4_i32_i8 v12, v92, v4, v12
	v_dot4_i32_i8 v12, v92, v5, v12
	v_cvt_f32_i32_e32 v12, v12
	v_cvt_f32_i32_e32 v11, v93
	v_mul_f32_e32 v12, v119, v12
	v_fma_mix_f32 v11, v0, v11, -v12 op_sel_hi:[1,0,0]
	v_fmac_f32_e32 v32, v14, v11
	v_dot4_i32_i8 v11, v79, v6, 0
	v_dot4_i32_i8 v6, v60, v6, 0
	;; [unrolled: 1-line block ×8, first 2 shown]
	v_mul_lo_u32 v6, v7, v71
	v_dot4_i32_i8 v7, v127, v2, 0
	v_dot4_i32_i8 v2, v63, v2, v8
	;; [unrolled: 1-line block ×8, first 2 shown]
	v_mad_u64_u32 v[2:3], s[16:17], v3, v35, v[6:7]
	v_cvt_f32_i32_e32 v3, v4
	v_cvt_f32_i32_e32 v2, v2
	v_mul_f32_e32 v3, v123, v3
	v_fma_mix_f32 v2, v122, v2, -v3 op_sel_hi:[1,0,0]
	v_fmac_f32_e32 v31, v14, v2
	ds_read2_b32 v[13:14], v121 offset0:128 offset1:160
	ds_read_b128 v[6:9], v120 offset:4096
	ds_read_b128 v[2:5], v120 offset:4112
	s_waitcnt lgkmcnt(1)
	v_dot4_i32_i8 v11, v49, v6, 0
	v_dot4_i32_i8 v11, v100, v7, v11
	;; [unrolled: 1-line block ×6, first 2 shown]
	v_mul_lo_u32 v93, v11, v81
	s_waitcnt lgkmcnt(0)
	v_dot4_i32_i8 v11, v48, v2, 0
	v_dot4_i32_i8 v12, v78, v8, v12
	;; [unrolled: 1-line block ×8, first 2 shown]
	v_mad_u64_u32 v[93:94], s[16:17], v11, v77, v[93:94]
	v_dot4_i32_i8 v12, v80, v4, v12
	v_dot4_i32_i8 v12, v80, v5, v12
	v_cvt_f32_i32_e32 v12, v12
	v_cvt_f32_i32_e32 v11, v93
	v_mul_f32_e32 v12, v82, v12
	v_fma_mix_f32 v11, v99, v11, -v12 op_sel_hi:[1,0,0]
	v_fmac_f32_e32 v30, v13, v11
	v_dot4_i32_i8 v11, v50, v6, 0
	v_dot4_i32_i8 v11, v51, v7, v11
	;; [unrolled: 1-line block ×6, first 2 shown]
	v_mul_lo_u32 v93, v11, v86
	v_dot4_i32_i8 v11, v56, v2, 0
	v_dot4_i32_i8 v12, v84, v8, v12
	;; [unrolled: 1-line block ×8, first 2 shown]
	v_mad_u64_u32 v[93:94], s[16:17], v11, v83, v[93:94]
	v_dot4_i32_i8 v12, v85, v4, v12
	v_dot4_i32_i8 v12, v85, v5, v12
	v_cvt_f32_i32_e32 v12, v12
	v_cvt_f32_i32_e32 v11, v93
	v_mul_f32_e32 v12, v101, v12
	v_fma_mix_f32 v11, v52, v11, -v12 op_sel_hi:[1,0,0]
	v_fmac_f32_e32 v29, v13, v11
	v_dot4_i32_i8 v11, v10, v6, 0
	v_dot4_i32_i8 v11, v73, v7, v11
	;; [unrolled: 1-line block ×6, first 2 shown]
	v_mul_lo_u32 v93, v11, v1
	v_dot4_i32_i8 v11, v65, v2, 0
	v_dot4_i32_i8 v12, v75, v8, v12
	;; [unrolled: 1-line block ×8, first 2 shown]
	v_mad_u64_u32 v[93:94], s[16:17], v11, v72, v[93:94]
	v_dot4_i32_i8 v12, v92, v4, v12
	v_dot4_i32_i8 v12, v92, v5, v12
	v_cvt_f32_i32_e32 v12, v12
	v_cvt_f32_i32_e32 v11, v93
	v_mul_f32_e32 v12, v119, v12
	v_fma_mix_f32 v11, v0, v11, -v12 op_sel_hi:[1,0,0]
	v_fmac_f32_e32 v28, v13, v11
	v_dot4_i32_i8 v11, v79, v6, 0
	v_dot4_i32_i8 v6, v60, v6, 0
	;; [unrolled: 1-line block ×8, first 2 shown]
	v_mul_lo_u32 v6, v7, v71
	v_dot4_i32_i8 v7, v127, v2, 0
	v_dot4_i32_i8 v2, v63, v2, v8
	;; [unrolled: 1-line block ×8, first 2 shown]
	v_mad_u64_u32 v[2:3], s[16:17], v3, v35, v[6:7]
	v_cvt_f32_i32_e32 v3, v4
	v_cvt_f32_i32_e32 v2, v2
	v_mul_f32_e32 v3, v123, v3
	v_fma_mix_f32 v2, v122, v2, -v3 op_sel_hi:[1,0,0]
	v_fmac_f32_e32 v27, v13, v2
	ds_read_b128 v[6:9], v120 offset:5120
	ds_read_b128 v[2:5], v120 offset:5136
	s_waitcnt lgkmcnt(1)
	v_dot4_i32_i8 v11, v49, v6, 0
	v_dot4_i32_i8 v11, v100, v7, v11
	;; [unrolled: 1-line block ×6, first 2 shown]
	v_mul_lo_u32 v13, v11, v81
	s_waitcnt lgkmcnt(0)
	v_dot4_i32_i8 v11, v48, v2, 0
	v_dot4_i32_i8 v12, v78, v8, v12
	v_dot4_i32_i8 v11, v87, v3, v11
	v_dot4_i32_i8 v12, v78, v9, v12
	v_dot4_i32_i8 v11, v97, v4, v11
	v_dot4_i32_i8 v12, v80, v2, v12
	v_dot4_i32_i8 v11, v98, v5, v11
	v_dot4_i32_i8 v12, v80, v3, v12
	v_mad_u64_u32 v[93:94], s[16:17], v11, v77, v[13:14]
	v_dot4_i32_i8 v12, v80, v4, v12
	v_dot4_i32_i8 v12, v80, v5, v12
	v_cvt_f32_i32_e32 v12, v12
	v_cvt_f32_i32_e32 v11, v93
	v_mul_f32_e32 v12, v82, v12
	v_fma_mix_f32 v11, v99, v11, -v12 op_sel_hi:[1,0,0]
	v_fmac_f32_e32 v26, v14, v11
	v_dot4_i32_i8 v11, v50, v6, 0
	v_dot4_i32_i8 v11, v51, v7, v11
	;; [unrolled: 1-line block ×6, first 2 shown]
	v_mul_lo_u32 v13, v11, v86
	v_dot4_i32_i8 v11, v56, v2, 0
	v_dot4_i32_i8 v12, v84, v8, v12
	;; [unrolled: 1-line block ×8, first 2 shown]
	v_mad_u64_u32 v[93:94], s[16:17], v11, v83, v[13:14]
	v_dot4_i32_i8 v12, v85, v4, v12
	v_dot4_i32_i8 v12, v85, v5, v12
	v_cvt_f32_i32_e32 v12, v12
	v_cvt_f32_i32_e32 v11, v93
	v_mul_f32_e32 v12, v101, v12
	v_fma_mix_f32 v11, v52, v11, -v12 op_sel_hi:[1,0,0]
	v_fmac_f32_e32 v25, v14, v11
	v_dot4_i32_i8 v11, v10, v6, 0
	v_dot4_i32_i8 v11, v73, v7, v11
	;; [unrolled: 1-line block ×6, first 2 shown]
	v_mul_lo_u32 v13, v11, v1
	v_dot4_i32_i8 v11, v65, v2, 0
	v_dot4_i32_i8 v12, v75, v8, v12
	;; [unrolled: 1-line block ×8, first 2 shown]
	v_mad_u64_u32 v[93:94], s[16:17], v11, v72, v[13:14]
	v_dot4_i32_i8 v12, v92, v4, v12
	v_dot4_i32_i8 v12, v92, v5, v12
	v_cvt_f32_i32_e32 v12, v12
	v_cvt_f32_i32_e32 v11, v93
	v_mul_f32_e32 v12, v119, v12
	v_fma_mix_f32 v11, v0, v11, -v12 op_sel_hi:[1,0,0]
	v_fmac_f32_e32 v24, v14, v11
	v_dot4_i32_i8 v11, v79, v6, 0
	v_dot4_i32_i8 v6, v60, v6, 0
	;; [unrolled: 1-line block ×8, first 2 shown]
	v_mul_lo_u32 v6, v7, v71
	v_dot4_i32_i8 v7, v127, v2, 0
	v_dot4_i32_i8 v2, v63, v2, v8
	v_dot4_i32_i8 v7, v126, v3, v7
	v_dot4_i32_i8 v2, v63, v3, v2
	v_dot4_i32_i8 v3, v125, v4, v7
	v_dot4_i32_i8 v2, v63, v4, v2
	v_dot4_i32_i8 v3, v124, v5, v3
	v_dot4_i32_i8 v4, v63, v5, v2
	v_mad_u64_u32 v[2:3], s[16:17], v3, v35, v[6:7]
	v_cvt_f32_i32_e32 v3, v4
	v_cvt_f32_i32_e32 v2, v2
	v_mul_f32_e32 v3, v123, v3
	v_fma_mix_f32 v2, v122, v2, -v3 op_sel_hi:[1,0,0]
	v_fmac_f32_e32 v23, v14, v2
	ds_read2_b32 v[13:14], v121 offset0:192 offset1:224
	ds_read_b128 v[6:9], v120 offset:6144
	ds_read_b128 v[2:5], v120 offset:6160
	v_add_u32_e32 v121, 4, v121
	s_waitcnt lgkmcnt(1)
	v_dot4_i32_i8 v11, v49, v6, 0
	v_dot4_i32_i8 v11, v100, v7, v11
	;; [unrolled: 1-line block ×6, first 2 shown]
	v_mul_lo_u32 v93, v11, v81
	s_waitcnt lgkmcnt(0)
	v_dot4_i32_i8 v11, v48, v2, 0
	v_dot4_i32_i8 v12, v78, v8, v12
	;; [unrolled: 1-line block ×8, first 2 shown]
	v_mad_u64_u32 v[93:94], s[16:17], v11, v77, v[93:94]
	v_dot4_i32_i8 v12, v80, v4, v12
	v_dot4_i32_i8 v12, v80, v5, v12
	v_cvt_f32_i32_e32 v12, v12
	v_cvt_f32_i32_e32 v11, v93
	v_mul_f32_e32 v12, v82, v12
	v_fma_mix_f32 v11, v99, v11, -v12 op_sel_hi:[1,0,0]
	v_fmac_f32_e32 v22, v13, v11
	v_dot4_i32_i8 v11, v50, v6, 0
	v_dot4_i32_i8 v11, v51, v7, v11
	;; [unrolled: 1-line block ×6, first 2 shown]
	v_mul_lo_u32 v93, v11, v86
	v_dot4_i32_i8 v11, v56, v2, 0
	v_dot4_i32_i8 v12, v84, v8, v12
	;; [unrolled: 1-line block ×8, first 2 shown]
	v_mad_u64_u32 v[93:94], s[16:17], v11, v83, v[93:94]
	v_dot4_i32_i8 v12, v85, v4, v12
	v_dot4_i32_i8 v12, v85, v5, v12
	v_cvt_f32_i32_e32 v12, v12
	v_cvt_f32_i32_e32 v11, v93
	v_mul_f32_e32 v12, v101, v12
	v_fma_mix_f32 v11, v52, v11, -v12 op_sel_hi:[1,0,0]
	v_fmac_f32_e32 v21, v13, v11
	v_dot4_i32_i8 v11, v10, v6, 0
	v_dot4_i32_i8 v11, v73, v7, v11
	;; [unrolled: 1-line block ×6, first 2 shown]
	v_mul_lo_u32 v93, v11, v1
	v_dot4_i32_i8 v11, v65, v2, 0
	v_dot4_i32_i8 v12, v75, v8, v12
	;; [unrolled: 1-line block ×8, first 2 shown]
	v_mad_u64_u32 v[93:94], s[16:17], v11, v72, v[93:94]
	v_dot4_i32_i8 v12, v92, v4, v12
	v_dot4_i32_i8 v12, v92, v5, v12
	v_cvt_f32_i32_e32 v12, v12
	v_cvt_f32_i32_e32 v11, v93
	v_mov_b32_e32 v93, v117
	v_mul_f32_e32 v12, v119, v12
	v_fma_mix_f32 v11, v0, v11, -v12 op_sel_hi:[1,0,0]
	v_fmac_f32_e32 v20, v13, v11
	v_dot4_i32_i8 v11, v79, v6, 0
	v_dot4_i32_i8 v6, v60, v6, 0
	;; [unrolled: 1-line block ×8, first 2 shown]
	v_mul_lo_u32 v6, v7, v71
	v_dot4_i32_i8 v7, v127, v2, 0
	v_dot4_i32_i8 v2, v63, v2, v8
	;; [unrolled: 1-line block ×8, first 2 shown]
	v_mad_u64_u32 v[2:3], s[16:17], v3, v35, v[6:7]
	v_cvt_f32_i32_e32 v3, v4
	v_cvt_f32_i32_e32 v2, v2
	v_mul_f32_e32 v3, v123, v3
	v_fma_mix_f32 v2, v122, v2, -v3 op_sel_hi:[1,0,0]
	v_fmac_f32_e32 v19, v13, v2
	ds_read_b128 v[6:9], v120 offset:7168
	ds_read_b128 v[2:5], v120 offset:7184
	v_add_u32_e32 v120, 32, v120
	s_waitcnt lgkmcnt(1)
	v_dot4_i32_i8 v11, v49, v6, 0
	v_dot4_i32_i8 v11, v100, v7, v11
	;; [unrolled: 1-line block ×6, first 2 shown]
	v_mul_lo_u32 v13, v11, v81
	s_waitcnt lgkmcnt(0)
	v_dot4_i32_i8 v11, v48, v2, 0
	v_dot4_i32_i8 v12, v78, v8, v12
	v_dot4_i32_i8 v11, v87, v3, v11
	v_dot4_i32_i8 v12, v78, v9, v12
	v_dot4_i32_i8 v11, v97, v4, v11
	v_dot4_i32_i8 v12, v80, v2, v12
	v_dot4_i32_i8 v11, v98, v5, v11
	v_dot4_i32_i8 v12, v80, v3, v12
	v_mad_u64_u32 v[47:48], s[16:17], v11, v77, v[13:14]
	v_dot4_i32_i8 v12, v80, v4, v12
	v_dot4_i32_i8 v12, v80, v5, v12
	v_cvt_f32_i32_e32 v12, v12
	v_cvt_f32_i32_e32 v11, v47
	v_dot4_i32_i8 v10, v10, v6, 0
	v_dot4_i32_i8 v10, v73, v7, v10
	v_mul_f32_e32 v12, v82, v12
	v_fma_mix_f32 v11, v99, v11, -v12 op_sel_hi:[1,0,0]
	v_fmac_f32_e32 v18, v14, v11
	v_dot4_i32_i8 v11, v50, v6, 0
	v_dot4_i32_i8 v11, v51, v7, v11
	;; [unrolled: 1-line block ×6, first 2 shown]
	v_mul_lo_u32 v13, v11, v86
	v_dot4_i32_i8 v11, v56, v2, 0
	v_dot4_i32_i8 v12, v84, v8, v12
	;; [unrolled: 1-line block ×8, first 2 shown]
	v_mad_u64_u32 v[47:48], s[16:17], v11, v83, v[13:14]
	v_dot4_i32_i8 v12, v85, v4, v12
	v_dot4_i32_i8 v12, v85, v5, v12
	v_cvt_f32_i32_e32 v12, v12
	v_cvt_f32_i32_e32 v11, v47
	v_dot4_i32_i8 v10, v61, v8, v10
	v_dot4_i32_i8 v10, v64, v9, v10
	v_mul_f32_e32 v12, v101, v12
	v_fma_mix_f32 v11, v52, v11, -v12 op_sel_hi:[1,0,0]
	v_fmac_f32_e32 v17, v14, v11
	v_dot4_i32_i8 v11, v75, v6, 0
	v_dot4_i32_i8 v11, v75, v7, v11
	v_mul_lo_u32 v1, v10, v1
	v_dot4_i32_i8 v10, v65, v2, 0
	v_dot4_i32_i8 v11, v75, v8, v11
	v_dot4_i32_i8 v10, v67, v3, v10
	v_dot4_i32_i8 v11, v75, v9, v11
	v_dot4_i32_i8 v10, v68, v4, v10
	v_dot4_i32_i8 v11, v92, v2, v11
	v_dot4_i32_i8 v10, v69, v5, v10
	v_dot4_i32_i8 v11, v92, v3, v11
	v_mad_u64_u32 v[47:48], s[16:17], v10, v72, v[1:2]
	v_dot4_i32_i8 v11, v92, v4, v11
	v_dot4_i32_i8 v11, v92, v5, v11
	v_cvt_f32_i32_e32 v10, v11
	v_cvt_f32_i32_e32 v1, v47
	v_mov_b32_e32 v81, v108
	v_mov_b32_e32 v84, v112
	v_mul_f32_e32 v10, v119, v10
	v_fma_mix_f32 v0, v0, v1, -v10 op_sel_hi:[1,0,0]
	v_fmac_f32_e32 v16, v14, v0
	v_dot4_i32_i8 v0, v79, v6, 0
	v_dot4_i32_i8 v1, v60, v6, 0
	;; [unrolled: 1-line block ×12, first 2 shown]
	buffer_load_dword v63, off, s[20:23], 0 ; 4-byte Folded Reload
	v_mul_lo_u32 v6, v6, v71
	v_dot4_i32_i8 v1, v127, v2, 0
	v_dot4_i32_i8 v1, v126, v3, v1
	;; [unrolled: 1-line block ×4, first 2 shown]
	v_mad_u64_u32 v[1:2], s[16:17], v1, v35, v[6:7]
	v_cvt_f32_i32_e32 v0, v0
	s_add_i32 s16, s15, 2
	v_cvt_f32_i32_e32 v1, v1
	v_mov_b32_e32 v86, v114
	v_mul_f32_e32 v0, v123, v0
	v_mov_b32_e32 v85, v113
	v_fma_mix_f32 v0, v122, v1, -v0 op_sel_hi:[1,0,0]
	v_mov_b32_e32 v61, v44
	v_mov_b32_e32 v64, v111
	;; [unrolled: 1-line block ×5, first 2 shown]
	v_fmac_f32_e32 v15, v14, v0
	s_cmp_lt_u32 s15, 14
	s_mov_b32 s15, s16
	s_cbranch_scc1 .LBB127_10
; %bb.11:                               ;   in Loop: Header=BB127_7 Depth=1
	s_or_b32 s15, s7, 1
	s_cmp_ge_i32 s15, s4
	s_waitcnt vmcnt(0)
	s_barrier
	s_cbranch_scc1 .LBB127_5
; %bb.12:                               ;   in Loop: Header=BB127_7 Depth=1
	buffer_load_dword v0, off, s[20:23], 0 offset:244 ; 4-byte Folded Reload
	s_mov_b32 s15, 16
	v_mov_b32_e32 v116, v115
	v_mov_b32_e32 v115, 15
	;; [unrolled: 1-line block ×3, first 2 shown]
	s_waitcnt vmcnt(0)
	v_add_u32_e32 v2, s14, v0
	buffer_load_dword v0, off, s[20:23], 0 offset:8 ; 4-byte Folded Reload
	buffer_load_dword v3, off, s[20:23], 0 offset:40 ; 4-byte Folded Reload
	;; [unrolled: 1-line block ×3, first 2 shown]
	s_waitcnt vmcnt(2)
	v_add_u32_e32 v0, v2, v0
	s_waitcnt vmcnt(0)
	v_mad_i64_i32 v[0:1], s[16:17], v0, 36, v[3:4]
	global_load_dword v0, v[0:1], off offset:4
	s_nop 0
	buffer_load_dword v1, off, s[20:23], 0 offset:88 ; 4-byte Folded Reload
	s_waitcnt vmcnt(0)
	ds_write_b32 v1, v0
	buffer_load_dword v0, off, s[20:23], 0 offset:12 ; 4-byte Folded Reload
	s_waitcnt vmcnt(0)
	v_add_u32_e32 v0, v2, v0
	v_mad_i64_i32 v[0:1], s[16:17], v0, 36, v[3:4]
	global_load_dword v0, v[0:1], off offset:4
	s_nop 0
	buffer_load_dword v1, off, s[20:23], 0 offset:56 ; 4-byte Folded Reload
	s_waitcnt vmcnt(0)
	ds_write_b32 v1, v0
	buffer_load_dword v0, off, s[20:23], 0 offset:16 ; 4-byte Folded Reload
	s_waitcnt vmcnt(0)
	v_add_u32_e32 v0, v2, v0
	v_mad_i64_i32 v[0:1], s[16:17], v0, 36, v[3:4]
	global_load_dword v0, v[0:1], off offset:4
	s_nop 0
	buffer_load_dword v1, off, s[20:23], 0 offset:60 ; 4-byte Folded Reload
	s_waitcnt vmcnt(0)
	ds_write_b32 v1, v0
	buffer_load_dword v0, off, s[20:23], 0 offset:20 ; 4-byte Folded Reload
	s_waitcnt vmcnt(0)
	v_add_u32_e32 v0, v2, v0
	v_mad_i64_i32 v[0:1], s[16:17], v0, 36, v[3:4]
	global_load_dword v0, v[0:1], off offset:4
	s_nop 0
	buffer_load_dword v1, off, s[20:23], 0 offset:64 ; 4-byte Folded Reload
	s_waitcnt vmcnt(0)
	ds_write_b32 v1, v0
	buffer_load_dword v0, off, s[20:23], 0 offset:24 ; 4-byte Folded Reload
	s_waitcnt vmcnt(0)
	v_add_u32_e32 v0, v2, v0
	v_mad_i64_i32 v[0:1], s[16:17], v0, 36, v[3:4]
	global_load_dword v0, v[0:1], off offset:4
	s_nop 0
	buffer_load_dword v1, off, s[20:23], 0 offset:68 ; 4-byte Folded Reload
	s_waitcnt vmcnt(0)
	ds_write_b32 v1, v0
	buffer_load_dword v0, off, s[20:23], 0 offset:28 ; 4-byte Folded Reload
	s_waitcnt vmcnt(0)
	v_add_u32_e32 v0, v2, v0
	v_mad_i64_i32 v[0:1], s[16:17], v0, 36, v[3:4]
	global_load_dword v0, v[0:1], off offset:4
	s_nop 0
	buffer_load_dword v1, off, s[20:23], 0 offset:72 ; 4-byte Folded Reload
	s_waitcnt vmcnt(0)
	ds_write_b32 v1, v0
	buffer_load_dword v0, off, s[20:23], 0 offset:32 ; 4-byte Folded Reload
	s_waitcnt vmcnt(0)
	v_add_u32_e32 v0, v2, v0
	v_mad_i64_i32 v[0:1], s[16:17], v0, 36, v[3:4]
	global_load_dword v0, v[0:1], off offset:4
	s_nop 0
	buffer_load_dword v1, off, s[20:23], 0 offset:76 ; 4-byte Folded Reload
	s_waitcnt vmcnt(0)
	ds_write_b32 v1, v0
	buffer_load_dword v0, off, s[20:23], 0 offset:36 ; 4-byte Folded Reload
	s_waitcnt vmcnt(0)
	v_add_u32_e32 v0, v2, v0
	v_mad_i64_i32 v[0:1], s[16:17], v0, 36, v[3:4]
	global_load_dword v0, v[0:1], off offset:4
	s_nop 0
	buffer_load_dword v1, off, s[20:23], 0 offset:80 ; 4-byte Folded Reload
	s_waitcnt vmcnt(0)
	ds_write_b32 v1, v0
	buffer_load_dword v0, off, s[20:23], 0 offset:84 ; 4-byte Folded Reload
	s_waitcnt vmcnt(0)
	v_add_u32_e32 v0, 8, v0
	v_mad_u64_u32 v[0:1], s[16:17], v0, 36, s[2:3]
	global_load_dword v0, v[0:1], off
	s_nop 0
	buffer_load_dword v1, off, s[20:23], 0 offset:4 ; 4-byte Folded Reload
	s_waitcnt vmcnt(1)
	v_cvt_f32_f16_e32 v0, v0
	s_waitcnt vmcnt(0)
	ds_write_b32 v1, v0
	s_waitcnt lgkmcnt(0)
	s_barrier
	buffer_load_dword v120, off, s[20:23], 0 offset:52 ; 4-byte Folded Reload
	buffer_load_dword v121, off, s[20:23], 0 offset:48 ; 4-byte Folded Reload
.LBB127_13:                             ;   Parent Loop BB127_7 Depth=1
                                        ; =>  This Inner Loop Header: Depth=2
	s_and_b32 s17, s15, 0x3ffffff8
	v_lshl_add_u32 v11, s17, 2, v91
	s_waitcnt vmcnt(0)
	ds_read2_b32 v[13:14], v121 offset1:32
	ds_read_b128 v[6:9], v120
	ds_read_b128 v[2:5], v120 offset:16
	ds_read2_b32 v[0:1], v11 offset1:1
	s_add_i32 s18, s15, -16
	s_lshr_b32 s17, s15, 2
	s_and_b32 s17, s17, 0x3ffffffc
	s_addk_i32 s17, 0x7280
	s_waitcnt lgkmcnt(0)
	v_ashrrev_i32_e32 v0, s18, v0
	v_and_b32_e32 v49, 0x3030303, v0
	v_ashrrev_i32_e32 v0, s18, v1
	v_and_b32_e32 v100, 0x3030303, v0
	ds_read2_b32 v[0:1], v11 offset0:2 offset1:3
	s_and_b32 s16, s15, -16
	s_add_i32 s16, s15, s16
	v_add_u32_e32 v83, s16, v61
	v_add_u32_e32 v77, s16, v12
	s_waitcnt lgkmcnt(0)
	v_ashrrev_i32_e32 v0, s18, v0
	v_and_b32_e32 v45, 0x3030303, v0
	v_ashrrev_i32_e32 v0, s18, v1
	v_and_b32_e32 v47, 0x3030303, v0
	ds_read2_b32 v[0:1], v11 offset0:4 offset1:5
	v_add_u32_e32 v35, s16, v81
	s_waitcnt lgkmcnt(0)
	v_ashrrev_i32_e32 v0, s18, v0
	v_and_b32_e32 v48, 0x3030303, v0
	v_ashrrev_i32_e32 v0, s18, v1
	v_and_b32_e32 v87, 0x3030303, v0
	ds_read2_b32 v[0:1], v11 offset0:6 offset1:7
	s_waitcnt lgkmcnt(0)
	v_ashrrev_i32_e32 v0, s18, v0
	v_and_b32_e32 v97, 0x3030303, v0
	v_ashrrev_i32_e32 v0, s18, v1
	v_and_b32_e32 v98, 0x3030303, v0
	v_add3_u32 v0, s17, v116, v10
	ds_read_b32 v99, v0
	v_dot4_i32_i8 v0, v49, v6, 0
	v_dot4_i32_i8 v0, v100, v7, v0
	;; [unrolled: 1-line block ×8, first 2 shown]
	v_add_u32_e32 v0, 0x1080, v11
	ds_read2_b32 v[0:1], v0 offset1:1
	s_waitcnt lgkmcnt(0)
	v_ashrrev_i32_e32 v0, s18, v0
	v_and_b32_e32 v50, 0x3030303, v0
	v_ashrrev_i32_e32 v0, s18, v1
	v_and_b32_e32 v51, 0x3030303, v0
	v_add_u32_e32 v0, 0x1088, v11
	ds_read2_b32 v[0:1], v0 offset1:1
	s_waitcnt lgkmcnt(0)
	v_ashrrev_i32_e32 v0, s18, v0
	v_and_b32_e32 v53, 0x3030303, v0
	v_ashrrev_i32_e32 v0, s18, v1
	v_and_b32_e32 v55, 0x3030303, v0
	v_add_u32_e32 v0, 0x1090, v11
	ds_read2_b32 v[0:1], v0 offset1:1
	s_waitcnt lgkmcnt(0)
	v_ashrrev_i32_e32 v0, s18, v0
	v_and_b32_e32 v56, 0x3030303, v0
	v_ashrrev_i32_e32 v0, s18, v1
	v_and_b32_e32 v57, 0x3030303, v0
	v_add_u32_e32 v0, 0x1098, v11
	ds_read2_b32 v[0:1], v0 offset1:1
	s_waitcnt lgkmcnt(0)
	v_ashrrev_i32_e32 v0, s18, v0
	v_and_b32_e32 v58, 0x3030303, v0
	v_ashrrev_i32_e32 v0, s18, v1
	v_and_b32_e32 v59, 0x3030303, v0
	v_add3_u32 v0, s17, v63, v64
	ds_read_b32 v52, v0
	v_dot4_i32_i8 v0, v50, v6, 0
	v_dot4_i32_i8 v0, v51, v7, v0
	;; [unrolled: 1-line block ×8, first 2 shown]
	v_add_u32_e32 v0, 0x2100, v11
	ds_read2_b32 v[0:1], v0 offset1:1
	s_waitcnt lgkmcnt(1)
	v_cvt_f32_f16_sdwa v101, v52 dst_sel:DWORD dst_unused:UNUSED_PAD src0_sel:WORD_1
	s_waitcnt lgkmcnt(0)
	v_ashrrev_i32_e32 v0, s18, v0
	v_and_b32_e32 v10, 0x3030303, v0
	v_ashrrev_i32_e32 v0, s18, v1
	v_and_b32_e32 v73, 0x3030303, v0
	v_add_u32_e32 v0, 0x2108, v11
	ds_read2_b32 v[0:1], v0 offset1:1
	v_dot4_i32_i8 v12, v10, v6, 0
	v_dot4_i32_i8 v12, v73, v7, v12
	s_waitcnt lgkmcnt(0)
	v_ashrrev_i32_e32 v0, s18, v0
	v_and_b32_e32 v61, 0x3030303, v0
	v_ashrrev_i32_e32 v0, s18, v1
	v_and_b32_e32 v64, 0x3030303, v0
	v_add_u32_e32 v0, 0x2110, v11
	ds_read2_b32 v[0:1], v0 offset1:1
	v_dot4_i32_i8 v12, v61, v8, v12
	v_dot4_i32_i8 v71, v64, v9, v12
	;; [unrolled: 9-line block ×3, first 2 shown]
	s_waitcnt lgkmcnt(0)
	v_ashrrev_i32_e32 v0, s18, v0
	v_and_b32_e32 v68, 0x3030303, v0
	v_ashrrev_i32_e32 v0, s18, v1
	v_and_b32_e32 v69, 0x3030303, v0
	v_dot4_i32_i8 v12, v68, v4, v12
	v_dot4_i32_i8 v60, v69, v5, v12
	v_add_u32_e32 v12, 0x3180, v11
	v_add3_u32 v0, s17, v84, v85
	ds_read2_b32 v[84:85], v12 offset1:1
	v_add_u32_e32 v1, s16, v66
	ds_read_b32 v0, v0
	s_waitcnt lgkmcnt(1)
	v_ashrrev_i32_e32 v12, s18, v84
	v_and_b32_e32 v79, 0x3030303, v12
	v_ashrrev_i32_e32 v12, s18, v85
	v_and_b32_e32 v89, 0x3030303, v12
	v_add_u32_e32 v12, 0x3188, v11
	ds_read2_b32 v[84:85], v12 offset1:1
	s_waitcnt lgkmcnt(0)
	v_ashrrev_i32_e32 v12, s18, v84
	v_and_b32_e32 v88, 0x3030303, v12
	v_ashrrev_i32_e32 v12, s18, v85
	v_and_b32_e32 v66, 0x3030303, v12
	v_add_u32_e32 v12, 0x3190, v11
	ds_read2_b32 v[84:85], v12 offset1:1
	v_add_u32_e32 v11, 0x3198, v11
	s_waitcnt lgkmcnt(0)
	v_ashrrev_i32_e32 v12, s18, v84
	v_and_b32_e32 v127, 0x3030303, v12
	v_ashrrev_i32_e32 v12, s18, v85
	ds_read2_b32 v[84:85], v11 offset1:1
	v_and_b32_e32 v126, 0x3030303, v12
	v_cvt_f32_f16_sdwa v119, v0 dst_sel:DWORD dst_unused:UNUSED_PAD src0_sel:WORD_1
	s_waitcnt lgkmcnt(0)
	v_ashrrev_i32_e32 v11, s18, v84
	v_and_b32_e32 v125, 0x3030303, v11
	v_ashrrev_i32_e32 v11, s18, v85
	v_and_b32_e32 v124, 0x3030303, v11
	v_add3_u32 v11, s17, v86, v93
	ds_read_b32 v122, v11
	ds_read_b128 v[93:96], v120 offset:1024
	ds_read_b128 v[102:105], v120 offset:1040
	ds_read_u16 v85, v77 offset:25072
	v_dot4_i32_i8 v11, v79, v6, 0
	v_dot4_i32_i8 v11, v89, v7, v11
	;; [unrolled: 1-line block ×4, first 2 shown]
	s_waitcnt lgkmcnt(0)
	v_bfe_u32 v77, v85, 4, 4
	v_mul_lo_u32 v78, v77, s9
	v_and_b32_e32 v81, 15, v85
	v_and_b32_e32 v81, 0xffff, v81
	v_mul_lo_u32 v84, v81, v80
	v_lshrrev_b32_sdwa v80, v110, v85 dst_sel:DWORD dst_unused:UNUSED_PAD src0_sel:DWORD src1_sel:BYTE_1
	v_dot4_i32_i8 v77, v78, v6, 0
	v_mul_lo_u32 v80, v80, s9
	v_dot4_i32_i8 v77, v78, v7, v77
	v_dot4_i32_i8 v77, v78, v8, v77
	;; [unrolled: 1-line block ×3, first 2 shown]
	v_and_b32_sdwa v77, v85, v115 dst_sel:DWORD dst_unused:UNUSED_PAD src0_sel:BYTE_1 src1_sel:DWORD
	v_dot4_i32_i8 v85, v80, v2, v86
	v_dot4_i32_i8 v85, v80, v3, v85
	;; [unrolled: 1-line block ×3, first 2 shown]
	v_and_b32_e32 v77, 0xffff, v77
	v_dot4_i32_i8 v86, v80, v5, v85
                                        ; kill: def $vgpr85 killed $sgpr0 killed $exec
	v_dot4_i32_i8 v11, v127, v2, 0
	v_mad_u64_u32 v[84:85], s[16:17], v77, v82, v[84:85]
	v_dot4_i32_i8 v82, v78, v93, 0
	v_dot4_i32_i8 v11, v126, v3, v11
	;; [unrolled: 1-line block ×16, first 2 shown]
	v_mul_lo_u32 v82, v11, v81
	v_dot4_i32_i8 v12, v87, v103, v12
	v_dot4_i32_i8 v12, v97, v104, v12
	;; [unrolled: 1-line block ×3, first 2 shown]
	v_cvt_f32_i32_e32 v90, v84
	v_mad_u64_u32 v[84:85], s[16:17], v12, v77, v[82:83]
	v_cvt_f32_i32_e32 v86, v86
	v_cvt_f32_f16_sdwa v82, v99 dst_sel:DWORD dst_unused:UNUSED_PAD src0_sel:WORD_1
	ds_read_u16 v85, v83 offset:26096
	v_cvt_f32_i32_e32 v12, v92
	v_mul_f32_e32 v11, v82, v86
	v_fma_mix_f32 v11, v99, v90, -v11 op_sel_hi:[1,0,0]
	s_waitcnt lgkmcnt(0)
	v_bfe_u32 v83, v85, 4, 4
	v_fmac_f32_e32 v36, v13, v11
	v_cvt_f32_i32_e32 v11, v84
	v_mul_lo_u32 v84, v83, s9
	v_and_b32_e32 v86, 15, v85
	v_and_b32_e32 v86, 0xffff, v86
	v_mul_lo_u32 v75, v86, v75
	v_dot4_i32_i8 v83, v84, v6, 0
	v_dot4_i32_i8 v83, v84, v7, v83
	;; [unrolled: 1-line block ×4, first 2 shown]
	v_and_b32_sdwa v83, v85, v115 dst_sel:DWORD dst_unused:UNUSED_PAD src0_sel:BYTE_1 src1_sel:DWORD
	v_lshrrev_b32_sdwa v85, v110, v85 dst_sel:DWORD dst_unused:UNUSED_PAD src0_sel:DWORD src1_sel:BYTE_1
	v_mul_lo_u32 v85, v85, s9
	v_and_b32_e32 v83, 0xffff, v83
	v_mad_u64_u32 v[106:107], s[16:17], v83, v72, v[75:76]
	v_dot4_i32_i8 v90, v85, v2, v90
	v_dot4_i32_i8 v90, v85, v3, v90
	;; [unrolled: 1-line block ×3, first 2 shown]
	v_mul_f32_e32 v12, v82, v12
	v_dot4_i32_i8 v90, v85, v4, v90
	v_dot4_i32_i8 v72, v84, v94, v72
	v_fma_mix_f32 v11, v99, v11, -v12 op_sel_hi:[1,0,0]
	v_dot4_i32_i8 v90, v85, v5, v90
	v_dot4_i32_i8 v72, v84, v95, v72
	v_fmac_f32_e32 v62, v14, v11
	v_dot4_i32_i8 v11, v50, v93, 0
	v_cvt_f32_i32_e32 v90, v90
	v_dot4_i32_i8 v72, v84, v96, v72
	v_dot4_i32_i8 v11, v51, v94, v11
	;; [unrolled: 1-line block ×8, first 2 shown]
	v_mul_lo_u32 v72, v11, v86
	v_mul_f32_e32 v11, v101, v90
	ds_read_u16 v90, v1 offset:27120
	v_cvt_f32_i32_e32 v75, v106
	v_dot4_i32_i8 v12, v56, v102, 0
	v_dot4_i32_i8 v12, v57, v103, v12
	;; [unrolled: 1-line block ×3, first 2 shown]
	s_waitcnt lgkmcnt(0)
	v_bfe_u32 v1, v90, 4, 4
	v_fma_mix_f32 v11, v52, v75, -v11 op_sel_hi:[1,0,0]
	v_mul_lo_u32 v75, v1, s9
	v_dot4_i32_i8 v12, v59, v105, v12
	v_mad_u64_u32 v[106:107], s[16:17], v12, v83, v[72:73]
	v_dot4_i32_i8 v1, v75, v6, 0
	v_dot4_i32_i8 v1, v75, v7, v1
	;; [unrolled: 1-line block ×3, first 2 shown]
	v_fmac_f32_e32 v76, v13, v11
	v_cvt_f32_i32_e32 v11, v106
	v_dot4_i32_i8 v106, v75, v9, v1
	v_and_b32_e32 v1, 15, v90
	v_and_b32_sdwa v72, v90, v115 dst_sel:DWORD dst_unused:UNUSED_PAD src0_sel:BYTE_1 src1_sel:DWORD
	v_lshrrev_b32_sdwa v90, v110, v90 dst_sel:DWORD dst_unused:UNUSED_PAD src0_sel:DWORD src1_sel:BYTE_1
	v_cvt_f32_i32_e32 v12, v92
	v_and_b32_e32 v1, 0xffff, v1
	v_mul_lo_u32 v92, v90, s9
	v_mul_lo_u32 v71, v1, v71
	v_and_b32_e32 v72, 0xffff, v72
	v_mul_f32_e32 v12, v101, v12
	v_dot4_i32_i8 v90, v92, v2, v106
	v_dot4_i32_i8 v90, v92, v3, v90
	v_mad_u64_u32 v[106:107], s[16:17], v72, v60, v[71:72]
	v_dot4_i32_i8 v60, v75, v93, 0
	v_dot4_i32_i8 v90, v92, v4, v90
	;; [unrolled: 1-line block ×3, first 2 shown]
	v_fma_mix_f32 v11, v52, v11, -v12 op_sel_hi:[1,0,0]
	v_dot4_i32_i8 v90, v92, v5, v90
	v_dot4_i32_i8 v60, v75, v95, v60
	v_fmac_f32_e32 v54, v14, v11
	v_dot4_i32_i8 v11, v10, v93, 0
	v_cvt_f32_i32_e32 v90, v90
	v_dot4_i32_i8 v60, v75, v96, v60
	v_dot4_i32_i8 v11, v73, v94, v11
	;; [unrolled: 1-line block ×8, first 2 shown]
	v_mul_lo_u32 v60, v11, v1
	v_mul_f32_e32 v11, v119, v90
	ds_read_u16 v90, v35 offset:28144
	v_dot4_i32_i8 v12, v65, v102, 0
	v_dot4_i32_i8 v12, v67, v103, v12
	v_dot4_i32_i8 v12, v68, v104, v12
	v_dot4_i32_i8 v12, v69, v105, v12
	s_waitcnt lgkmcnt(0)
	v_bfe_u32 v35, v90, 4, 4
	v_cvt_f32_i32_e32 v71, v106
	v_mad_u64_u32 v[106:107], s[16:17], v12, v72, v[60:61]
	v_mul_lo_u32 v60, v35, s9
	v_fma_mix_f32 v11, v0, v71, -v11 op_sel_hi:[1,0,0]
	v_cvt_f32_i32_e32 v12, v118
	v_fmac_f32_e32 v74, v13, v11
	v_dot4_i32_i8 v6, v60, v6, 0
	v_dot4_i32_i8 v6, v60, v7, v6
	;; [unrolled: 1-line block ×4, first 2 shown]
	v_and_b32_e32 v6, 15, v90
	v_and_b32_sdwa v8, v90, v115 dst_sel:DWORD dst_unused:UNUSED_PAD src0_sel:BYTE_1 src1_sel:DWORD
	v_and_b32_e32 v35, 0xffff, v8
	v_and_b32_e32 v71, 0xffff, v6
	v_lshrrev_b32_sdwa v8, v110, v90 dst_sel:DWORD dst_unused:UNUSED_PAD src0_sel:DWORD src1_sel:BYTE_1
	v_mul_lo_u32 v6, v71, v63
	v_mul_lo_u32 v63, v8, s9
	v_cvt_f32_i32_e32 v11, v106
	v_mul_f32_e32 v12, v119, v12
	v_dot4_i32_i8 v2, v63, v2, v7
	v_dot4_i32_i8 v2, v63, v3, v2
	;; [unrolled: 1-line block ×4, first 2 shown]
	v_mad_u64_u32 v[2:3], s[16:17], v35, v123, v[6:7]
	v_fma_mix_f32 v11, v0, v11, -v12 op_sel_hi:[1,0,0]
	v_fmac_f32_e32 v46, v14, v11
	v_cvt_f32_i32_e32 v5, v2
	v_dot4_i32_i8 v2, v60, v93, 0
	v_dot4_i32_i8 v2, v60, v94, v2
	;; [unrolled: 1-line block ×13, first 2 shown]
	v_mul_lo_u32 v2, v11, v71
	v_dot4_i32_i8 v12, v126, v103, v12
	v_cvt_f32_i32_e32 v4, v4
	v_cvt_f32_f16_sdwa v123, v122 dst_sel:DWORD dst_unused:UNUSED_PAD src0_sel:WORD_1
	v_dot4_i32_i8 v12, v125, v104, v12
	v_dot4_i32_i8 v12, v124, v105, v12
                                        ; kill: def $vgpr3 killed $sgpr0 killed $exec
	v_mad_u64_u32 v[2:3], s[16:17], v12, v35, v[2:3]
	v_mul_f32_e32 v3, v123, v4
	v_fma_mix_f32 v3, v122, v5, -v3 op_sel_hi:[1,0,0]
	v_fmac_f32_e32 v70, v13, v3
	v_cvt_f32_i32_e32 v3, v6
	v_cvt_f32_i32_e32 v2, v2
	v_mul_f32_e32 v3, v123, v3
	v_fma_mix_f32 v2, v122, v2, -v3 op_sel_hi:[1,0,0]
	v_fmac_f32_e32 v41, v14, v2
	ds_read2_b32 v[13:14], v121 offset0:64 offset1:96
	ds_read_b128 v[6:9], v120 offset:2048
	ds_read_b128 v[2:5], v120 offset:2064
	s_waitcnt lgkmcnt(1)
	v_dot4_i32_i8 v11, v49, v6, 0
	v_dot4_i32_i8 v11, v100, v7, v11
	;; [unrolled: 1-line block ×6, first 2 shown]
	v_mul_lo_u32 v93, v11, v81
	s_waitcnt lgkmcnt(0)
	v_dot4_i32_i8 v11, v48, v2, 0
	v_dot4_i32_i8 v12, v78, v8, v12
	v_dot4_i32_i8 v11, v87, v3, v11
	v_dot4_i32_i8 v12, v78, v9, v12
	v_dot4_i32_i8 v11, v97, v4, v11
	v_dot4_i32_i8 v12, v80, v2, v12
	v_dot4_i32_i8 v11, v98, v5, v11
	v_dot4_i32_i8 v12, v80, v3, v12
	v_mad_u64_u32 v[93:94], s[16:17], v11, v77, v[93:94]
	v_dot4_i32_i8 v12, v80, v4, v12
	v_dot4_i32_i8 v12, v80, v5, v12
	v_cvt_f32_i32_e32 v12, v12
	v_cvt_f32_i32_e32 v11, v93
	v_mul_f32_e32 v12, v82, v12
	v_fma_mix_f32 v11, v99, v11, -v12 op_sel_hi:[1,0,0]
	v_fmac_f32_e32 v40, v13, v11
	v_dot4_i32_i8 v11, v50, v6, 0
	v_dot4_i32_i8 v11, v51, v7, v11
	;; [unrolled: 1-line block ×6, first 2 shown]
	v_mul_lo_u32 v93, v11, v86
	v_dot4_i32_i8 v11, v56, v2, 0
	v_dot4_i32_i8 v12, v84, v8, v12
	;; [unrolled: 1-line block ×8, first 2 shown]
	v_mad_u64_u32 v[93:94], s[16:17], v11, v83, v[93:94]
	v_dot4_i32_i8 v12, v85, v4, v12
	v_dot4_i32_i8 v12, v85, v5, v12
	v_cvt_f32_i32_e32 v12, v12
	v_cvt_f32_i32_e32 v11, v93
	v_mul_f32_e32 v12, v101, v12
	v_fma_mix_f32 v11, v52, v11, -v12 op_sel_hi:[1,0,0]
	v_fmac_f32_e32 v39, v13, v11
	v_dot4_i32_i8 v11, v10, v6, 0
	v_dot4_i32_i8 v11, v73, v7, v11
	;; [unrolled: 1-line block ×6, first 2 shown]
	v_mul_lo_u32 v93, v11, v1
	v_dot4_i32_i8 v11, v65, v2, 0
	v_dot4_i32_i8 v12, v75, v8, v12
	;; [unrolled: 1-line block ×8, first 2 shown]
	v_mad_u64_u32 v[93:94], s[16:17], v11, v72, v[93:94]
	v_dot4_i32_i8 v12, v92, v4, v12
	v_dot4_i32_i8 v12, v92, v5, v12
	v_cvt_f32_i32_e32 v12, v12
	v_cvt_f32_i32_e32 v11, v93
	v_mul_f32_e32 v12, v119, v12
	v_fma_mix_f32 v11, v0, v11, -v12 op_sel_hi:[1,0,0]
	v_fmac_f32_e32 v38, v13, v11
	v_dot4_i32_i8 v11, v79, v6, 0
	v_dot4_i32_i8 v6, v60, v6, 0
	v_dot4_i32_i8 v11, v89, v7, v11
	v_dot4_i32_i8 v6, v60, v7, v6
	v_dot4_i32_i8 v7, v88, v8, v11
	v_dot4_i32_i8 v6, v60, v8, v6
	v_dot4_i32_i8 v7, v66, v9, v7
	v_dot4_i32_i8 v8, v60, v9, v6
	v_mul_lo_u32 v6, v7, v71
	v_dot4_i32_i8 v7, v127, v2, 0
	v_dot4_i32_i8 v2, v63, v2, v8
	;; [unrolled: 1-line block ×8, first 2 shown]
	v_mad_u64_u32 v[2:3], s[16:17], v3, v35, v[6:7]
	v_cvt_f32_i32_e32 v3, v4
	v_cvt_f32_i32_e32 v2, v2
	v_mul_f32_e32 v3, v123, v3
	v_fma_mix_f32 v2, v122, v2, -v3 op_sel_hi:[1,0,0]
	v_fmac_f32_e32 v37, v13, v2
	ds_read_b128 v[6:9], v120 offset:3072
	ds_read_b128 v[2:5], v120 offset:3088
	s_waitcnt lgkmcnt(1)
	v_dot4_i32_i8 v11, v49, v6, 0
	v_dot4_i32_i8 v11, v100, v7, v11
	;; [unrolled: 1-line block ×6, first 2 shown]
	v_mul_lo_u32 v13, v11, v81
	s_waitcnt lgkmcnt(0)
	v_dot4_i32_i8 v11, v48, v2, 0
	v_dot4_i32_i8 v12, v78, v8, v12
	;; [unrolled: 1-line block ×8, first 2 shown]
	v_mad_u64_u32 v[93:94], s[16:17], v11, v77, v[13:14]
	v_dot4_i32_i8 v12, v80, v4, v12
	v_dot4_i32_i8 v12, v80, v5, v12
	v_cvt_f32_i32_e32 v12, v12
	v_cvt_f32_i32_e32 v11, v93
	v_mul_f32_e32 v12, v82, v12
	v_fma_mix_f32 v11, v99, v11, -v12 op_sel_hi:[1,0,0]
	v_fmac_f32_e32 v34, v14, v11
	v_dot4_i32_i8 v11, v50, v6, 0
	v_dot4_i32_i8 v11, v51, v7, v11
	;; [unrolled: 1-line block ×6, first 2 shown]
	v_mul_lo_u32 v13, v11, v86
	v_dot4_i32_i8 v11, v56, v2, 0
	v_dot4_i32_i8 v12, v84, v8, v12
	;; [unrolled: 1-line block ×8, first 2 shown]
	v_mad_u64_u32 v[93:94], s[16:17], v11, v83, v[13:14]
	v_dot4_i32_i8 v12, v85, v4, v12
	v_dot4_i32_i8 v12, v85, v5, v12
	v_cvt_f32_i32_e32 v12, v12
	v_cvt_f32_i32_e32 v11, v93
	v_mul_f32_e32 v12, v101, v12
	v_fma_mix_f32 v11, v52, v11, -v12 op_sel_hi:[1,0,0]
	v_fmac_f32_e32 v33, v14, v11
	v_dot4_i32_i8 v11, v10, v6, 0
	v_dot4_i32_i8 v11, v73, v7, v11
	;; [unrolled: 1-line block ×6, first 2 shown]
	v_mul_lo_u32 v13, v11, v1
	v_dot4_i32_i8 v11, v65, v2, 0
	v_dot4_i32_i8 v12, v75, v8, v12
	;; [unrolled: 1-line block ×8, first 2 shown]
	v_mad_u64_u32 v[93:94], s[16:17], v11, v72, v[13:14]
	v_dot4_i32_i8 v12, v92, v4, v12
	v_dot4_i32_i8 v12, v92, v5, v12
	v_cvt_f32_i32_e32 v12, v12
	v_cvt_f32_i32_e32 v11, v93
	v_mul_f32_e32 v12, v119, v12
	v_fma_mix_f32 v11, v0, v11, -v12 op_sel_hi:[1,0,0]
	v_fmac_f32_e32 v32, v14, v11
	v_dot4_i32_i8 v11, v79, v6, 0
	v_dot4_i32_i8 v6, v60, v6, 0
	;; [unrolled: 1-line block ×8, first 2 shown]
	v_mul_lo_u32 v6, v7, v71
	v_dot4_i32_i8 v7, v127, v2, 0
	v_dot4_i32_i8 v2, v63, v2, v8
	v_dot4_i32_i8 v7, v126, v3, v7
	v_dot4_i32_i8 v2, v63, v3, v2
	v_dot4_i32_i8 v3, v125, v4, v7
	v_dot4_i32_i8 v2, v63, v4, v2
	v_dot4_i32_i8 v3, v124, v5, v3
	v_dot4_i32_i8 v4, v63, v5, v2
	v_mad_u64_u32 v[2:3], s[16:17], v3, v35, v[6:7]
	v_cvt_f32_i32_e32 v3, v4
	v_cvt_f32_i32_e32 v2, v2
	v_mul_f32_e32 v3, v123, v3
	v_fma_mix_f32 v2, v122, v2, -v3 op_sel_hi:[1,0,0]
	v_fmac_f32_e32 v31, v14, v2
	ds_read2_b32 v[13:14], v121 offset0:128 offset1:160
	ds_read_b128 v[6:9], v120 offset:4096
	ds_read_b128 v[2:5], v120 offset:4112
	s_waitcnt lgkmcnt(1)
	v_dot4_i32_i8 v11, v49, v6, 0
	v_dot4_i32_i8 v11, v100, v7, v11
	;; [unrolled: 1-line block ×6, first 2 shown]
	v_mul_lo_u32 v93, v11, v81
	s_waitcnt lgkmcnt(0)
	v_dot4_i32_i8 v11, v48, v2, 0
	v_dot4_i32_i8 v12, v78, v8, v12
	;; [unrolled: 1-line block ×8, first 2 shown]
	v_mad_u64_u32 v[93:94], s[16:17], v11, v77, v[93:94]
	v_dot4_i32_i8 v12, v80, v4, v12
	v_dot4_i32_i8 v12, v80, v5, v12
	v_cvt_f32_i32_e32 v12, v12
	v_cvt_f32_i32_e32 v11, v93
	v_mul_f32_e32 v12, v82, v12
	v_fma_mix_f32 v11, v99, v11, -v12 op_sel_hi:[1,0,0]
	v_fmac_f32_e32 v30, v13, v11
	v_dot4_i32_i8 v11, v50, v6, 0
	v_dot4_i32_i8 v11, v51, v7, v11
	;; [unrolled: 1-line block ×6, first 2 shown]
	v_mul_lo_u32 v93, v11, v86
	v_dot4_i32_i8 v11, v56, v2, 0
	v_dot4_i32_i8 v12, v84, v8, v12
	;; [unrolled: 1-line block ×8, first 2 shown]
	v_mad_u64_u32 v[93:94], s[16:17], v11, v83, v[93:94]
	v_dot4_i32_i8 v12, v85, v4, v12
	v_dot4_i32_i8 v12, v85, v5, v12
	v_cvt_f32_i32_e32 v12, v12
	v_cvt_f32_i32_e32 v11, v93
	v_mul_f32_e32 v12, v101, v12
	v_fma_mix_f32 v11, v52, v11, -v12 op_sel_hi:[1,0,0]
	v_fmac_f32_e32 v29, v13, v11
	v_dot4_i32_i8 v11, v10, v6, 0
	v_dot4_i32_i8 v11, v73, v7, v11
	;; [unrolled: 1-line block ×6, first 2 shown]
	v_mul_lo_u32 v93, v11, v1
	v_dot4_i32_i8 v11, v65, v2, 0
	v_dot4_i32_i8 v12, v75, v8, v12
	;; [unrolled: 1-line block ×8, first 2 shown]
	v_mad_u64_u32 v[93:94], s[16:17], v11, v72, v[93:94]
	v_dot4_i32_i8 v12, v92, v4, v12
	v_dot4_i32_i8 v12, v92, v5, v12
	v_cvt_f32_i32_e32 v12, v12
	v_cvt_f32_i32_e32 v11, v93
	v_mul_f32_e32 v12, v119, v12
	v_fma_mix_f32 v11, v0, v11, -v12 op_sel_hi:[1,0,0]
	v_fmac_f32_e32 v28, v13, v11
	v_dot4_i32_i8 v11, v79, v6, 0
	v_dot4_i32_i8 v6, v60, v6, 0
	v_dot4_i32_i8 v11, v89, v7, v11
	v_dot4_i32_i8 v6, v60, v7, v6
	v_dot4_i32_i8 v7, v88, v8, v11
	v_dot4_i32_i8 v6, v60, v8, v6
	v_dot4_i32_i8 v7, v66, v9, v7
	v_dot4_i32_i8 v8, v60, v9, v6
	v_mul_lo_u32 v6, v7, v71
	v_dot4_i32_i8 v7, v127, v2, 0
	v_dot4_i32_i8 v2, v63, v2, v8
	;; [unrolled: 1-line block ×8, first 2 shown]
	v_mad_u64_u32 v[2:3], s[16:17], v3, v35, v[6:7]
	v_cvt_f32_i32_e32 v3, v4
	v_cvt_f32_i32_e32 v2, v2
	v_mul_f32_e32 v3, v123, v3
	v_fma_mix_f32 v2, v122, v2, -v3 op_sel_hi:[1,0,0]
	v_fmac_f32_e32 v27, v13, v2
	ds_read_b128 v[6:9], v120 offset:5120
	ds_read_b128 v[2:5], v120 offset:5136
	s_waitcnt lgkmcnt(1)
	v_dot4_i32_i8 v11, v49, v6, 0
	v_dot4_i32_i8 v11, v100, v7, v11
	;; [unrolled: 1-line block ×6, first 2 shown]
	v_mul_lo_u32 v13, v11, v81
	s_waitcnt lgkmcnt(0)
	v_dot4_i32_i8 v11, v48, v2, 0
	v_dot4_i32_i8 v12, v78, v8, v12
	;; [unrolled: 1-line block ×8, first 2 shown]
	v_mad_u64_u32 v[93:94], s[16:17], v11, v77, v[13:14]
	v_dot4_i32_i8 v12, v80, v4, v12
	v_dot4_i32_i8 v12, v80, v5, v12
	v_cvt_f32_i32_e32 v12, v12
	v_cvt_f32_i32_e32 v11, v93
	v_mul_f32_e32 v12, v82, v12
	v_fma_mix_f32 v11, v99, v11, -v12 op_sel_hi:[1,0,0]
	v_fmac_f32_e32 v26, v14, v11
	v_dot4_i32_i8 v11, v50, v6, 0
	v_dot4_i32_i8 v11, v51, v7, v11
	;; [unrolled: 1-line block ×6, first 2 shown]
	v_mul_lo_u32 v13, v11, v86
	v_dot4_i32_i8 v11, v56, v2, 0
	v_dot4_i32_i8 v12, v84, v8, v12
	v_dot4_i32_i8 v11, v57, v3, v11
	v_dot4_i32_i8 v12, v84, v9, v12
	v_dot4_i32_i8 v11, v58, v4, v11
	v_dot4_i32_i8 v12, v85, v2, v12
	v_dot4_i32_i8 v11, v59, v5, v11
	v_dot4_i32_i8 v12, v85, v3, v12
	v_mad_u64_u32 v[93:94], s[16:17], v11, v83, v[13:14]
	v_dot4_i32_i8 v12, v85, v4, v12
	v_dot4_i32_i8 v12, v85, v5, v12
	v_cvt_f32_i32_e32 v12, v12
	v_cvt_f32_i32_e32 v11, v93
	v_mul_f32_e32 v12, v101, v12
	v_fma_mix_f32 v11, v52, v11, -v12 op_sel_hi:[1,0,0]
	v_fmac_f32_e32 v25, v14, v11
	v_dot4_i32_i8 v11, v10, v6, 0
	v_dot4_i32_i8 v11, v73, v7, v11
	;; [unrolled: 1-line block ×6, first 2 shown]
	v_mul_lo_u32 v13, v11, v1
	v_dot4_i32_i8 v11, v65, v2, 0
	v_dot4_i32_i8 v12, v75, v8, v12
	;; [unrolled: 1-line block ×8, first 2 shown]
	v_mad_u64_u32 v[93:94], s[16:17], v11, v72, v[13:14]
	v_dot4_i32_i8 v12, v92, v4, v12
	v_dot4_i32_i8 v12, v92, v5, v12
	v_cvt_f32_i32_e32 v12, v12
	v_cvt_f32_i32_e32 v11, v93
	v_mul_f32_e32 v12, v119, v12
	v_fma_mix_f32 v11, v0, v11, -v12 op_sel_hi:[1,0,0]
	v_fmac_f32_e32 v24, v14, v11
	v_dot4_i32_i8 v11, v79, v6, 0
	v_dot4_i32_i8 v6, v60, v6, 0
	v_dot4_i32_i8 v11, v89, v7, v11
	v_dot4_i32_i8 v6, v60, v7, v6
	v_dot4_i32_i8 v7, v88, v8, v11
	v_dot4_i32_i8 v6, v60, v8, v6
	v_dot4_i32_i8 v7, v66, v9, v7
	v_dot4_i32_i8 v8, v60, v9, v6
	v_mul_lo_u32 v6, v7, v71
	v_dot4_i32_i8 v7, v127, v2, 0
	v_dot4_i32_i8 v2, v63, v2, v8
	;; [unrolled: 1-line block ×8, first 2 shown]
	v_mad_u64_u32 v[2:3], s[16:17], v3, v35, v[6:7]
	v_cvt_f32_i32_e32 v3, v4
	v_cvt_f32_i32_e32 v2, v2
	v_mul_f32_e32 v3, v123, v3
	v_fma_mix_f32 v2, v122, v2, -v3 op_sel_hi:[1,0,0]
	v_fmac_f32_e32 v23, v14, v2
	ds_read2_b32 v[13:14], v121 offset0:192 offset1:224
	ds_read_b128 v[6:9], v120 offset:6144
	ds_read_b128 v[2:5], v120 offset:6160
	v_add_u32_e32 v121, 4, v121
	s_waitcnt lgkmcnt(1)
	v_dot4_i32_i8 v11, v49, v6, 0
	v_dot4_i32_i8 v11, v100, v7, v11
	;; [unrolled: 1-line block ×6, first 2 shown]
	v_mul_lo_u32 v93, v11, v81
	s_waitcnt lgkmcnt(0)
	v_dot4_i32_i8 v11, v48, v2, 0
	v_dot4_i32_i8 v12, v78, v8, v12
	;; [unrolled: 1-line block ×8, first 2 shown]
	v_mad_u64_u32 v[93:94], s[16:17], v11, v77, v[93:94]
	v_dot4_i32_i8 v12, v80, v4, v12
	v_dot4_i32_i8 v12, v80, v5, v12
	v_cvt_f32_i32_e32 v12, v12
	v_cvt_f32_i32_e32 v11, v93
	v_mul_f32_e32 v12, v82, v12
	v_fma_mix_f32 v11, v99, v11, -v12 op_sel_hi:[1,0,0]
	v_fmac_f32_e32 v22, v13, v11
	v_dot4_i32_i8 v11, v50, v6, 0
	v_dot4_i32_i8 v11, v51, v7, v11
	v_dot4_i32_i8 v11, v53, v8, v11
	v_dot4_i32_i8 v12, v84, v6, 0
	v_dot4_i32_i8 v11, v55, v9, v11
	v_dot4_i32_i8 v12, v84, v7, v12
	v_mul_lo_u32 v93, v11, v86
	v_dot4_i32_i8 v11, v56, v2, 0
	v_dot4_i32_i8 v12, v84, v8, v12
	;; [unrolled: 1-line block ×8, first 2 shown]
	v_mad_u64_u32 v[93:94], s[16:17], v11, v83, v[93:94]
	v_dot4_i32_i8 v12, v85, v4, v12
	v_dot4_i32_i8 v12, v85, v5, v12
	v_cvt_f32_i32_e32 v12, v12
	v_cvt_f32_i32_e32 v11, v93
	v_mul_f32_e32 v12, v101, v12
	v_fma_mix_f32 v11, v52, v11, -v12 op_sel_hi:[1,0,0]
	v_fmac_f32_e32 v21, v13, v11
	v_dot4_i32_i8 v11, v10, v6, 0
	v_dot4_i32_i8 v11, v73, v7, v11
	;; [unrolled: 1-line block ×6, first 2 shown]
	v_mul_lo_u32 v93, v11, v1
	v_dot4_i32_i8 v11, v65, v2, 0
	v_dot4_i32_i8 v12, v75, v8, v12
	v_dot4_i32_i8 v11, v67, v3, v11
	v_dot4_i32_i8 v12, v75, v9, v12
	v_dot4_i32_i8 v11, v68, v4, v11
	v_dot4_i32_i8 v12, v92, v2, v12
	v_dot4_i32_i8 v11, v69, v5, v11
	v_dot4_i32_i8 v12, v92, v3, v12
	v_mad_u64_u32 v[93:94], s[16:17], v11, v72, v[93:94]
	v_dot4_i32_i8 v12, v92, v4, v12
	v_dot4_i32_i8 v12, v92, v5, v12
	v_cvt_f32_i32_e32 v12, v12
	v_cvt_f32_i32_e32 v11, v93
	v_mov_b32_e32 v93, v117
	v_mul_f32_e32 v12, v119, v12
	v_fma_mix_f32 v11, v0, v11, -v12 op_sel_hi:[1,0,0]
	v_fmac_f32_e32 v20, v13, v11
	v_dot4_i32_i8 v11, v79, v6, 0
	v_dot4_i32_i8 v6, v60, v6, 0
	;; [unrolled: 1-line block ×8, first 2 shown]
	v_mul_lo_u32 v6, v7, v71
	v_dot4_i32_i8 v7, v127, v2, 0
	v_dot4_i32_i8 v2, v63, v2, v8
	;; [unrolled: 1-line block ×8, first 2 shown]
	v_mad_u64_u32 v[2:3], s[16:17], v3, v35, v[6:7]
	v_cvt_f32_i32_e32 v3, v4
	v_cvt_f32_i32_e32 v2, v2
	v_mul_f32_e32 v3, v123, v3
	v_fma_mix_f32 v2, v122, v2, -v3 op_sel_hi:[1,0,0]
	v_fmac_f32_e32 v19, v13, v2
	ds_read_b128 v[6:9], v120 offset:7168
	ds_read_b128 v[2:5], v120 offset:7184
	v_add_u32_e32 v120, 32, v120
	s_waitcnt lgkmcnt(1)
	v_dot4_i32_i8 v11, v49, v6, 0
	v_dot4_i32_i8 v11, v100, v7, v11
	;; [unrolled: 1-line block ×6, first 2 shown]
	v_mul_lo_u32 v13, v11, v81
	s_waitcnt lgkmcnt(0)
	v_dot4_i32_i8 v11, v48, v2, 0
	v_dot4_i32_i8 v12, v78, v8, v12
	;; [unrolled: 1-line block ×8, first 2 shown]
	v_mad_u64_u32 v[47:48], s[16:17], v11, v77, v[13:14]
	v_dot4_i32_i8 v12, v80, v4, v12
	v_dot4_i32_i8 v12, v80, v5, v12
	v_cvt_f32_i32_e32 v12, v12
	v_cvt_f32_i32_e32 v11, v47
	v_dot4_i32_i8 v10, v10, v6, 0
	v_dot4_i32_i8 v10, v73, v7, v10
	v_mul_f32_e32 v12, v82, v12
	v_fma_mix_f32 v11, v99, v11, -v12 op_sel_hi:[1,0,0]
	v_fmac_f32_e32 v18, v14, v11
	v_dot4_i32_i8 v11, v50, v6, 0
	v_dot4_i32_i8 v11, v51, v7, v11
	;; [unrolled: 1-line block ×6, first 2 shown]
	v_mul_lo_u32 v13, v11, v86
	v_dot4_i32_i8 v11, v56, v2, 0
	v_dot4_i32_i8 v12, v84, v8, v12
	v_dot4_i32_i8 v11, v57, v3, v11
	v_dot4_i32_i8 v12, v84, v9, v12
	v_dot4_i32_i8 v11, v58, v4, v11
	v_dot4_i32_i8 v12, v85, v2, v12
	v_dot4_i32_i8 v11, v59, v5, v11
	v_dot4_i32_i8 v12, v85, v3, v12
	v_mad_u64_u32 v[47:48], s[16:17], v11, v83, v[13:14]
	v_dot4_i32_i8 v12, v85, v4, v12
	v_dot4_i32_i8 v12, v85, v5, v12
	v_cvt_f32_i32_e32 v12, v12
	v_cvt_f32_i32_e32 v11, v47
	v_dot4_i32_i8 v10, v61, v8, v10
	v_dot4_i32_i8 v10, v64, v9, v10
	v_mul_f32_e32 v12, v101, v12
	v_fma_mix_f32 v11, v52, v11, -v12 op_sel_hi:[1,0,0]
	v_fmac_f32_e32 v17, v14, v11
	v_dot4_i32_i8 v11, v75, v6, 0
	v_dot4_i32_i8 v11, v75, v7, v11
	v_mul_lo_u32 v1, v10, v1
	v_dot4_i32_i8 v10, v65, v2, 0
	v_dot4_i32_i8 v11, v75, v8, v11
	;; [unrolled: 1-line block ×8, first 2 shown]
	v_mad_u64_u32 v[47:48], s[16:17], v10, v72, v[1:2]
	v_dot4_i32_i8 v11, v92, v4, v11
	v_dot4_i32_i8 v11, v92, v5, v11
	v_cvt_f32_i32_e32 v10, v11
	v_cvt_f32_i32_e32 v1, v47
	v_mov_b32_e32 v81, v108
	v_mov_b32_e32 v84, v112
	v_mul_f32_e32 v10, v119, v10
	v_fma_mix_f32 v0, v0, v1, -v10 op_sel_hi:[1,0,0]
	v_fmac_f32_e32 v16, v14, v0
	v_dot4_i32_i8 v0, v79, v6, 0
	v_dot4_i32_i8 v1, v60, v6, 0
	v_dot4_i32_i8 v0, v89, v7, v0
	v_dot4_i32_i8 v1, v60, v7, v1
	v_dot4_i32_i8 v0, v88, v8, v0
	v_dot4_i32_i8 v1, v60, v8, v1
	v_dot4_i32_i8 v6, v66, v9, v0
	v_dot4_i32_i8 v0, v60, v9, v1
	v_dot4_i32_i8 v0, v63, v2, v0
	v_dot4_i32_i8 v0, v63, v3, v0
	v_dot4_i32_i8 v0, v63, v4, v0
	v_dot4_i32_i8 v0, v63, v5, v0
	buffer_load_dword v63, off, s[20:23], 0 ; 4-byte Folded Reload
	v_mul_lo_u32 v6, v6, v71
	v_dot4_i32_i8 v1, v127, v2, 0
	v_dot4_i32_i8 v1, v126, v3, v1
	;; [unrolled: 1-line block ×4, first 2 shown]
	v_mad_u64_u32 v[1:2], s[16:17], v1, v35, v[6:7]
	v_cvt_f32_i32_e32 v0, v0
	s_add_i32 s16, s15, 2
	v_cvt_f32_i32_e32 v1, v1
	v_mov_b32_e32 v86, v114
	v_mul_f32_e32 v0, v123, v0
	v_mov_b32_e32 v85, v113
	v_fma_mix_f32 v0, v122, v1, -v0 op_sel_hi:[1,0,0]
	v_mov_b32_e32 v61, v44
	v_mov_b32_e32 v64, v111
	;; [unrolled: 1-line block ×5, first 2 shown]
	v_fmac_f32_e32 v15, v14, v0
	s_cmp_lt_u32 s15, 22
	s_mov_b32 s15, s16
	s_cbranch_scc1 .LBB127_13
; %bb.14:                               ;   in Loop: Header=BB127_7 Depth=1
	s_waitcnt vmcnt(0)
	s_barrier
	buffer_load_dword v0, off, s[20:23], 0 offset:248 ; 4-byte Folded Reload
	s_waitcnt vmcnt(0)
	v_add_u32_e32 v2, s14, v0
	buffer_load_dword v0, off, s[20:23], 0 offset:8 ; 4-byte Folded Reload
	buffer_load_dword v3, off, s[20:23], 0 offset:40 ; 4-byte Folded Reload
	;; [unrolled: 1-line block ×3, first 2 shown]
	s_waitcnt vmcnt(2)
	v_add_u32_e32 v0, v2, v0
	s_waitcnt vmcnt(0)
	v_mad_i64_i32 v[0:1], s[14:15], v0, 36, v[3:4]
	global_load_dword v0, v[0:1], off offset:4
	s_nop 0
	buffer_load_dword v1, off, s[20:23], 0 offset:88 ; 4-byte Folded Reload
	s_waitcnt vmcnt(0)
	ds_write_b32 v1, v0
	buffer_load_dword v0, off, s[20:23], 0 offset:12 ; 4-byte Folded Reload
	s_waitcnt vmcnt(0)
	v_add_u32_e32 v0, v2, v0
	v_mad_i64_i32 v[0:1], s[14:15], v0, 36, v[3:4]
	global_load_dword v0, v[0:1], off offset:4
	s_nop 0
	buffer_load_dword v1, off, s[20:23], 0 offset:56 ; 4-byte Folded Reload
	s_waitcnt vmcnt(0)
	ds_write_b32 v1, v0
	buffer_load_dword v0, off, s[20:23], 0 offset:16 ; 4-byte Folded Reload
	s_waitcnt vmcnt(0)
	v_add_u32_e32 v0, v2, v0
	;; [unrolled: 9-line block ×8, first 2 shown]
	v_mad_u64_u32 v[0:1], s[14:15], v0, 36, s[2:3]
	s_mov_b32 s14, 24
	global_load_dword v0, v[0:1], off
	s_nop 0
	buffer_load_dword v1, off, s[20:23], 0 offset:4 ; 4-byte Folded Reload
	s_waitcnt vmcnt(1)
	v_cvt_f32_f16_e32 v0, v0
	s_waitcnt vmcnt(0)
	ds_write_b32 v1, v0
	s_waitcnt lgkmcnt(0)
	s_barrier
	buffer_load_dword v118, off, s[20:23], 0 offset:52 ; 4-byte Folded Reload
	buffer_load_dword v119, off, s[20:23], 0 offset:48 ; 4-byte Folded Reload
.LBB127_15:                             ;   Parent Loop BB127_7 Depth=1
                                        ; =>  This Inner Loop Header: Depth=2
	s_and_b32 s16, s14, 0x3ffffff8
	v_lshl_add_u32 v11, s16, 2, v91
	s_waitcnt vmcnt(0)
	ds_read2_b32 v[13:14], v119 offset1:32
	ds_read_b128 v[6:9], v118
	ds_read_b128 v[2:5], v118 offset:16
	ds_read2_b32 v[0:1], v11 offset1:1
	s_sub_i32 s17, s14, 24
	s_lshr_b32 s16, s14, 2
	s_and_b32 s16, s16, 0x3ffffffc
	s_addk_i32 s16, 0x7280
	s_waitcnt lgkmcnt(0)
	v_ashrrev_i32_e32 v0, s17, v0
	v_and_b32_e32 v49, 0x3030303, v0
	v_ashrrev_i32_e32 v0, s17, v1
	v_and_b32_e32 v100, 0x3030303, v0
	ds_read2_b32 v[0:1], v11 offset0:2 offset1:3
	s_and_b32 s15, s14, -16
	s_add_i32 s15, s14, s15
	v_add_u32_e32 v83, s15, v61
	v_add_u32_e32 v77, s15, v12
	s_waitcnt lgkmcnt(0)
	v_ashrrev_i32_e32 v0, s17, v0
	v_and_b32_e32 v45, 0x3030303, v0
	v_ashrrev_i32_e32 v0, s17, v1
	v_and_b32_e32 v47, 0x3030303, v0
	ds_read2_b32 v[0:1], v11 offset0:4 offset1:5
	v_add_u32_e32 v35, s15, v81
	s_waitcnt lgkmcnt(0)
	v_ashrrev_i32_e32 v0, s17, v0
	v_and_b32_e32 v48, 0x3030303, v0
	v_ashrrev_i32_e32 v0, s17, v1
	v_and_b32_e32 v87, 0x3030303, v0
	ds_read2_b32 v[0:1], v11 offset0:6 offset1:7
	s_waitcnt lgkmcnt(0)
	v_ashrrev_i32_e32 v0, s17, v0
	v_and_b32_e32 v97, 0x3030303, v0
	v_ashrrev_i32_e32 v0, s17, v1
	v_and_b32_e32 v98, 0x3030303, v0
	v_add3_u32 v0, s16, v116, v10
	ds_read_b32 v99, v0
	v_dot4_i32_i8 v0, v49, v6, 0
	v_dot4_i32_i8 v0, v100, v7, v0
	;; [unrolled: 1-line block ×8, first 2 shown]
	v_add_u32_e32 v0, 0x1080, v11
	ds_read2_b32 v[0:1], v0 offset1:1
	s_waitcnt lgkmcnt(0)
	v_ashrrev_i32_e32 v0, s17, v0
	v_and_b32_e32 v50, 0x3030303, v0
	v_ashrrev_i32_e32 v0, s17, v1
	v_and_b32_e32 v51, 0x3030303, v0
	v_add_u32_e32 v0, 0x1088, v11
	ds_read2_b32 v[0:1], v0 offset1:1
	s_waitcnt lgkmcnt(0)
	v_ashrrev_i32_e32 v0, s17, v0
	v_and_b32_e32 v53, 0x3030303, v0
	v_ashrrev_i32_e32 v0, s17, v1
	v_and_b32_e32 v55, 0x3030303, v0
	;; [unrolled: 7-line block ×4, first 2 shown]
	v_add3_u32 v0, s16, v63, v64
	ds_read_b32 v52, v0
	v_dot4_i32_i8 v0, v50, v6, 0
	v_dot4_i32_i8 v0, v51, v7, v0
	;; [unrolled: 1-line block ×8, first 2 shown]
	v_add_u32_e32 v0, 0x2100, v11
	ds_read2_b32 v[0:1], v0 offset1:1
	s_waitcnt lgkmcnt(1)
	v_cvt_f32_f16_sdwa v101, v52 dst_sel:DWORD dst_unused:UNUSED_PAD src0_sel:WORD_1
	s_waitcnt lgkmcnt(0)
	v_ashrrev_i32_e32 v0, s17, v0
	v_and_b32_e32 v10, 0x3030303, v0
	v_ashrrev_i32_e32 v0, s17, v1
	v_and_b32_e32 v73, 0x3030303, v0
	v_add_u32_e32 v0, 0x2108, v11
	ds_read2_b32 v[0:1], v0 offset1:1
	v_dot4_i32_i8 v12, v10, v6, 0
	v_dot4_i32_i8 v12, v73, v7, v12
	s_waitcnt lgkmcnt(0)
	v_ashrrev_i32_e32 v0, s17, v0
	v_and_b32_e32 v61, 0x3030303, v0
	v_ashrrev_i32_e32 v0, s17, v1
	v_and_b32_e32 v64, 0x3030303, v0
	v_add_u32_e32 v0, 0x2110, v11
	ds_read2_b32 v[0:1], v0 offset1:1
	v_dot4_i32_i8 v12, v61, v8, v12
	v_dot4_i32_i8 v71, v64, v9, v12
	;; [unrolled: 9-line block ×3, first 2 shown]
	s_waitcnt lgkmcnt(0)
	v_ashrrev_i32_e32 v0, s17, v0
	v_and_b32_e32 v68, 0x3030303, v0
	v_ashrrev_i32_e32 v0, s17, v1
	v_and_b32_e32 v69, 0x3030303, v0
	v_dot4_i32_i8 v12, v68, v4, v12
	v_dot4_i32_i8 v60, v69, v5, v12
	v_add_u32_e32 v12, 0x3180, v11
	v_add3_u32 v0, s16, v84, v85
	ds_read2_b32 v[84:85], v12 offset1:1
	v_add_u32_e32 v1, s15, v66
	ds_read_b32 v0, v0
	s_add_i32 s15, s14, 2
	s_cmp_lt_u32 s14, 30
	s_waitcnt lgkmcnt(1)
	v_ashrrev_i32_e32 v12, s17, v84
	v_and_b32_e32 v79, 0x3030303, v12
	v_ashrrev_i32_e32 v12, s17, v85
	v_and_b32_e32 v89, 0x3030303, v12
	v_add_u32_e32 v12, 0x3188, v11
	ds_read2_b32 v[84:85], v12 offset1:1
	s_mov_b32 s14, s15
	s_waitcnt lgkmcnt(0)
	v_ashrrev_i32_e32 v12, s17, v84
	v_and_b32_e32 v88, 0x3030303, v12
	v_ashrrev_i32_e32 v12, s17, v85
	v_and_b32_e32 v66, 0x3030303, v12
	v_add_u32_e32 v12, 0x3190, v11
	ds_read2_b32 v[84:85], v12 offset1:1
	v_add_u32_e32 v11, 0x3198, v11
	s_waitcnt lgkmcnt(0)
	v_ashrrev_i32_e32 v12, s17, v84
	v_and_b32_e32 v125, 0x3030303, v12
	v_ashrrev_i32_e32 v12, s17, v85
	ds_read2_b32 v[84:85], v11 offset1:1
	v_and_b32_e32 v124, 0x3030303, v12
	v_cvt_f32_f16_sdwa v126, v0 dst_sel:DWORD dst_unused:UNUSED_PAD src0_sel:WORD_1
	s_waitcnt lgkmcnt(0)
	v_ashrrev_i32_e32 v11, s17, v84
	v_and_b32_e32 v123, 0x3030303, v11
	v_ashrrev_i32_e32 v11, s17, v85
	v_and_b32_e32 v122, 0x3030303, v11
	v_add3_u32 v11, s16, v86, v93
	ds_read_b32 v120, v11
	ds_read_b128 v[93:96], v118 offset:1024
	ds_read_b128 v[102:105], v118 offset:1040
	ds_read_u16 v85, v77 offset:25072
	v_dot4_i32_i8 v11, v79, v6, 0
	v_dot4_i32_i8 v11, v89, v7, v11
	v_dot4_i32_i8 v11, v88, v8, v11
	v_dot4_i32_i8 v63, v66, v9, v11
	s_waitcnt lgkmcnt(0)
	v_bfe_u32 v77, v85, 4, 4
	v_mul_lo_u32 v78, v77, s9
	v_and_b32_e32 v81, 15, v85
	v_and_b32_e32 v81, 0xffff, v81
	v_mul_lo_u32 v84, v81, v80
	v_lshrrev_b32_sdwa v80, v110, v85 dst_sel:DWORD dst_unused:UNUSED_PAD src0_sel:DWORD src1_sel:BYTE_1
	v_dot4_i32_i8 v77, v78, v6, 0
	v_mul_lo_u32 v80, v80, s9
	v_dot4_i32_i8 v77, v78, v7, v77
	v_dot4_i32_i8 v77, v78, v8, v77
	;; [unrolled: 1-line block ×3, first 2 shown]
	v_and_b32_sdwa v77, v85, v115 dst_sel:DWORD dst_unused:UNUSED_PAD src0_sel:BYTE_1 src1_sel:DWORD
	v_dot4_i32_i8 v85, v80, v2, v86
	v_dot4_i32_i8 v85, v80, v3, v85
	;; [unrolled: 1-line block ×3, first 2 shown]
	v_and_b32_e32 v77, 0xffff, v77
	v_dot4_i32_i8 v86, v80, v5, v85
                                        ; kill: def $vgpr85 killed $sgpr0 killed $exec
	v_dot4_i32_i8 v11, v125, v2, 0
	v_mad_u64_u32 v[84:85], s[16:17], v77, v82, v[84:85]
	v_dot4_i32_i8 v82, v78, v93, 0
	v_dot4_i32_i8 v11, v124, v3, v11
	;; [unrolled: 1-line block ×16, first 2 shown]
	v_mul_lo_u32 v82, v11, v81
	v_dot4_i32_i8 v12, v87, v103, v12
	v_dot4_i32_i8 v12, v97, v104, v12
	;; [unrolled: 1-line block ×3, first 2 shown]
	v_cvt_f32_i32_e32 v90, v84
	v_mad_u64_u32 v[84:85], s[16:17], v12, v77, v[82:83]
	v_cvt_f32_i32_e32 v86, v86
	v_cvt_f32_f16_sdwa v82, v99 dst_sel:DWORD dst_unused:UNUSED_PAD src0_sel:WORD_1
	ds_read_u16 v85, v83 offset:26096
	v_cvt_f32_i32_e32 v12, v92
	v_mul_f32_e32 v11, v82, v86
	v_fma_mix_f32 v11, v99, v90, -v11 op_sel_hi:[1,0,0]
	s_waitcnt lgkmcnt(0)
	v_bfe_u32 v83, v85, 4, 4
	v_fmac_f32_e32 v36, v13, v11
	v_cvt_f32_i32_e32 v11, v84
	v_mul_lo_u32 v84, v83, s9
	v_and_b32_e32 v86, 15, v85
	v_and_b32_e32 v86, 0xffff, v86
	v_mul_lo_u32 v75, v86, v75
	v_dot4_i32_i8 v83, v84, v6, 0
	v_dot4_i32_i8 v83, v84, v7, v83
	;; [unrolled: 1-line block ×4, first 2 shown]
	v_and_b32_sdwa v83, v85, v115 dst_sel:DWORD dst_unused:UNUSED_PAD src0_sel:BYTE_1 src1_sel:DWORD
	v_lshrrev_b32_sdwa v85, v110, v85 dst_sel:DWORD dst_unused:UNUSED_PAD src0_sel:DWORD src1_sel:BYTE_1
	v_mul_lo_u32 v85, v85, s9
	v_and_b32_e32 v83, 0xffff, v83
	v_mad_u64_u32 v[106:107], s[16:17], v83, v72, v[75:76]
	v_dot4_i32_i8 v90, v85, v2, v90
	v_dot4_i32_i8 v90, v85, v3, v90
	v_dot4_i32_i8 v72, v84, v93, 0
	v_mul_f32_e32 v12, v82, v12
	v_dot4_i32_i8 v90, v85, v4, v90
	v_dot4_i32_i8 v72, v84, v94, v72
	v_fma_mix_f32 v11, v99, v11, -v12 op_sel_hi:[1,0,0]
	v_dot4_i32_i8 v90, v85, v5, v90
	v_dot4_i32_i8 v72, v84, v95, v72
	v_fmac_f32_e32 v62, v14, v11
	v_dot4_i32_i8 v11, v50, v93, 0
	v_cvt_f32_i32_e32 v90, v90
	v_dot4_i32_i8 v72, v84, v96, v72
	v_dot4_i32_i8 v11, v51, v94, v11
	;; [unrolled: 1-line block ×8, first 2 shown]
	v_mul_lo_u32 v72, v11, v86
	v_mul_f32_e32 v11, v101, v90
	ds_read_u16 v90, v1 offset:27120
	v_cvt_f32_i32_e32 v75, v106
	v_dot4_i32_i8 v12, v56, v102, 0
	v_dot4_i32_i8 v12, v57, v103, v12
	;; [unrolled: 1-line block ×3, first 2 shown]
	s_waitcnt lgkmcnt(0)
	v_bfe_u32 v1, v90, 4, 4
	v_fma_mix_f32 v11, v52, v75, -v11 op_sel_hi:[1,0,0]
	v_mul_lo_u32 v75, v1, s9
	v_dot4_i32_i8 v12, v59, v105, v12
	v_mad_u64_u32 v[106:107], s[16:17], v12, v83, v[72:73]
	v_dot4_i32_i8 v1, v75, v6, 0
	v_dot4_i32_i8 v1, v75, v7, v1
	;; [unrolled: 1-line block ×3, first 2 shown]
	v_fmac_f32_e32 v76, v13, v11
	v_cvt_f32_i32_e32 v11, v106
	v_dot4_i32_i8 v106, v75, v9, v1
	v_and_b32_e32 v1, 15, v90
	v_and_b32_sdwa v72, v90, v115 dst_sel:DWORD dst_unused:UNUSED_PAD src0_sel:BYTE_1 src1_sel:DWORD
	v_lshrrev_b32_sdwa v90, v110, v90 dst_sel:DWORD dst_unused:UNUSED_PAD src0_sel:DWORD src1_sel:BYTE_1
	v_cvt_f32_i32_e32 v12, v92
	v_and_b32_e32 v1, 0xffff, v1
	v_mul_lo_u32 v92, v90, s9
	v_mul_lo_u32 v71, v1, v71
	v_and_b32_e32 v72, 0xffff, v72
	v_mul_f32_e32 v12, v101, v12
	v_dot4_i32_i8 v90, v92, v2, v106
	v_dot4_i32_i8 v90, v92, v3, v90
	v_mad_u64_u32 v[106:107], s[16:17], v72, v60, v[71:72]
	v_dot4_i32_i8 v60, v75, v93, 0
	v_dot4_i32_i8 v90, v92, v4, v90
	;; [unrolled: 1-line block ×3, first 2 shown]
	v_fma_mix_f32 v11, v52, v11, -v12 op_sel_hi:[1,0,0]
	v_dot4_i32_i8 v90, v92, v5, v90
	v_dot4_i32_i8 v60, v75, v95, v60
	v_fmac_f32_e32 v54, v14, v11
	v_dot4_i32_i8 v11, v10, v93, 0
	v_cvt_f32_i32_e32 v90, v90
	v_dot4_i32_i8 v60, v75, v96, v60
	v_dot4_i32_i8 v11, v73, v94, v11
	;; [unrolled: 1-line block ×8, first 2 shown]
	v_mul_lo_u32 v60, v11, v1
	v_mul_f32_e32 v11, v126, v90
	ds_read_u16 v90, v35 offset:28144
	v_dot4_i32_i8 v12, v65, v102, 0
	v_dot4_i32_i8 v12, v67, v103, v12
	;; [unrolled: 1-line block ×4, first 2 shown]
	s_waitcnt lgkmcnt(0)
	v_bfe_u32 v35, v90, 4, 4
	v_cvt_f32_i32_e32 v71, v106
	v_mad_u64_u32 v[106:107], s[16:17], v12, v72, v[60:61]
	v_mul_lo_u32 v60, v35, s9
	v_fma_mix_f32 v11, v0, v71, -v11 op_sel_hi:[1,0,0]
	v_cvt_f32_i32_e32 v12, v127
	v_fmac_f32_e32 v74, v13, v11
	v_dot4_i32_i8 v6, v60, v6, 0
	v_dot4_i32_i8 v6, v60, v7, v6
	;; [unrolled: 1-line block ×4, first 2 shown]
	v_and_b32_e32 v6, 15, v90
	v_and_b32_sdwa v8, v90, v115 dst_sel:DWORD dst_unused:UNUSED_PAD src0_sel:BYTE_1 src1_sel:DWORD
	v_and_b32_e32 v35, 0xffff, v8
	v_and_b32_e32 v71, 0xffff, v6
	v_lshrrev_b32_sdwa v8, v110, v90 dst_sel:DWORD dst_unused:UNUSED_PAD src0_sel:DWORD src1_sel:BYTE_1
	v_mul_lo_u32 v6, v71, v63
	v_mul_lo_u32 v63, v8, s9
	v_cvt_f32_i32_e32 v11, v106
	v_mul_f32_e32 v12, v126, v12
	v_dot4_i32_i8 v2, v63, v2, v7
	v_dot4_i32_i8 v2, v63, v3, v2
	;; [unrolled: 1-line block ×4, first 2 shown]
	v_mad_u64_u32 v[2:3], s[16:17], v35, v121, v[6:7]
	v_fma_mix_f32 v11, v0, v11, -v12 op_sel_hi:[1,0,0]
	v_fmac_f32_e32 v46, v14, v11
	v_cvt_f32_i32_e32 v5, v2
	v_dot4_i32_i8 v2, v60, v93, 0
	v_dot4_i32_i8 v2, v60, v94, v2
	;; [unrolled: 1-line block ×13, first 2 shown]
	v_mul_lo_u32 v2, v11, v71
	v_dot4_i32_i8 v12, v124, v103, v12
	v_cvt_f32_i32_e32 v4, v4
	v_cvt_f32_f16_sdwa v121, v120 dst_sel:DWORD dst_unused:UNUSED_PAD src0_sel:WORD_1
	v_dot4_i32_i8 v12, v123, v104, v12
	v_dot4_i32_i8 v12, v122, v105, v12
                                        ; kill: def $vgpr3 killed $sgpr0 killed $exec
	v_mad_u64_u32 v[2:3], s[16:17], v12, v35, v[2:3]
	v_mul_f32_e32 v3, v121, v4
	v_fma_mix_f32 v3, v120, v5, -v3 op_sel_hi:[1,0,0]
	v_fmac_f32_e32 v70, v13, v3
	v_cvt_f32_i32_e32 v3, v6
	v_cvt_f32_i32_e32 v2, v2
	v_mul_f32_e32 v3, v121, v3
	v_fma_mix_f32 v2, v120, v2, -v3 op_sel_hi:[1,0,0]
	v_fmac_f32_e32 v41, v14, v2
	ds_read2_b32 v[13:14], v119 offset0:64 offset1:96
	ds_read_b128 v[6:9], v118 offset:2048
	ds_read_b128 v[2:5], v118 offset:2064
	s_waitcnt lgkmcnt(1)
	v_dot4_i32_i8 v11, v49, v6, 0
	v_dot4_i32_i8 v11, v100, v7, v11
	;; [unrolled: 1-line block ×6, first 2 shown]
	v_mul_lo_u32 v93, v11, v81
	s_waitcnt lgkmcnt(0)
	v_dot4_i32_i8 v11, v48, v2, 0
	v_dot4_i32_i8 v12, v78, v8, v12
	;; [unrolled: 1-line block ×8, first 2 shown]
	v_mad_u64_u32 v[93:94], s[16:17], v11, v77, v[93:94]
	v_dot4_i32_i8 v12, v80, v4, v12
	v_dot4_i32_i8 v12, v80, v5, v12
	v_cvt_f32_i32_e32 v12, v12
	v_cvt_f32_i32_e32 v11, v93
	v_mul_f32_e32 v12, v82, v12
	v_fma_mix_f32 v11, v99, v11, -v12 op_sel_hi:[1,0,0]
	v_fmac_f32_e32 v40, v13, v11
	v_dot4_i32_i8 v11, v50, v6, 0
	v_dot4_i32_i8 v11, v51, v7, v11
	;; [unrolled: 1-line block ×6, first 2 shown]
	v_mul_lo_u32 v93, v11, v86
	v_dot4_i32_i8 v11, v56, v2, 0
	v_dot4_i32_i8 v12, v84, v8, v12
	;; [unrolled: 1-line block ×8, first 2 shown]
	v_mad_u64_u32 v[93:94], s[16:17], v11, v83, v[93:94]
	v_dot4_i32_i8 v12, v85, v4, v12
	v_dot4_i32_i8 v12, v85, v5, v12
	v_cvt_f32_i32_e32 v12, v12
	v_cvt_f32_i32_e32 v11, v93
	v_mul_f32_e32 v12, v101, v12
	v_fma_mix_f32 v11, v52, v11, -v12 op_sel_hi:[1,0,0]
	v_fmac_f32_e32 v39, v13, v11
	v_dot4_i32_i8 v11, v10, v6, 0
	v_dot4_i32_i8 v11, v73, v7, v11
	;; [unrolled: 1-line block ×6, first 2 shown]
	v_mul_lo_u32 v93, v11, v1
	v_dot4_i32_i8 v11, v65, v2, 0
	v_dot4_i32_i8 v12, v75, v8, v12
	;; [unrolled: 1-line block ×8, first 2 shown]
	v_mad_u64_u32 v[93:94], s[16:17], v11, v72, v[93:94]
	v_dot4_i32_i8 v12, v92, v4, v12
	v_dot4_i32_i8 v12, v92, v5, v12
	v_cvt_f32_i32_e32 v12, v12
	v_cvt_f32_i32_e32 v11, v93
	v_mul_f32_e32 v12, v126, v12
	v_fma_mix_f32 v11, v0, v11, -v12 op_sel_hi:[1,0,0]
	v_fmac_f32_e32 v38, v13, v11
	v_dot4_i32_i8 v11, v79, v6, 0
	v_dot4_i32_i8 v6, v60, v6, 0
	v_dot4_i32_i8 v11, v89, v7, v11
	v_dot4_i32_i8 v6, v60, v7, v6
	v_dot4_i32_i8 v7, v88, v8, v11
	v_dot4_i32_i8 v6, v60, v8, v6
	v_dot4_i32_i8 v7, v66, v9, v7
	v_dot4_i32_i8 v8, v60, v9, v6
	v_mul_lo_u32 v6, v7, v71
	v_dot4_i32_i8 v7, v125, v2, 0
	v_dot4_i32_i8 v2, v63, v2, v8
	;; [unrolled: 1-line block ×8, first 2 shown]
	v_mad_u64_u32 v[2:3], s[16:17], v3, v35, v[6:7]
	v_cvt_f32_i32_e32 v3, v4
	v_cvt_f32_i32_e32 v2, v2
	v_mul_f32_e32 v3, v121, v3
	v_fma_mix_f32 v2, v120, v2, -v3 op_sel_hi:[1,0,0]
	v_fmac_f32_e32 v37, v13, v2
	ds_read_b128 v[6:9], v118 offset:3072
	ds_read_b128 v[2:5], v118 offset:3088
	s_waitcnt lgkmcnt(1)
	v_dot4_i32_i8 v11, v49, v6, 0
	v_dot4_i32_i8 v11, v100, v7, v11
	;; [unrolled: 1-line block ×6, first 2 shown]
	v_mul_lo_u32 v13, v11, v81
	s_waitcnt lgkmcnt(0)
	v_dot4_i32_i8 v11, v48, v2, 0
	v_dot4_i32_i8 v12, v78, v8, v12
	;; [unrolled: 1-line block ×8, first 2 shown]
	v_mad_u64_u32 v[93:94], s[16:17], v11, v77, v[13:14]
	v_dot4_i32_i8 v12, v80, v4, v12
	v_dot4_i32_i8 v12, v80, v5, v12
	v_cvt_f32_i32_e32 v12, v12
	v_cvt_f32_i32_e32 v11, v93
	v_mul_f32_e32 v12, v82, v12
	v_fma_mix_f32 v11, v99, v11, -v12 op_sel_hi:[1,0,0]
	v_fmac_f32_e32 v34, v14, v11
	v_dot4_i32_i8 v11, v50, v6, 0
	v_dot4_i32_i8 v11, v51, v7, v11
	;; [unrolled: 1-line block ×6, first 2 shown]
	v_mul_lo_u32 v13, v11, v86
	v_dot4_i32_i8 v11, v56, v2, 0
	v_dot4_i32_i8 v12, v84, v8, v12
	;; [unrolled: 1-line block ×8, first 2 shown]
	v_mad_u64_u32 v[93:94], s[16:17], v11, v83, v[13:14]
	v_dot4_i32_i8 v12, v85, v4, v12
	v_dot4_i32_i8 v12, v85, v5, v12
	v_cvt_f32_i32_e32 v12, v12
	v_cvt_f32_i32_e32 v11, v93
	v_mul_f32_e32 v12, v101, v12
	v_fma_mix_f32 v11, v52, v11, -v12 op_sel_hi:[1,0,0]
	v_fmac_f32_e32 v33, v14, v11
	v_dot4_i32_i8 v11, v10, v6, 0
	v_dot4_i32_i8 v11, v73, v7, v11
	;; [unrolled: 1-line block ×6, first 2 shown]
	v_mul_lo_u32 v13, v11, v1
	v_dot4_i32_i8 v11, v65, v2, 0
	v_dot4_i32_i8 v12, v75, v8, v12
	;; [unrolled: 1-line block ×8, first 2 shown]
	v_mad_u64_u32 v[93:94], s[16:17], v11, v72, v[13:14]
	v_dot4_i32_i8 v12, v92, v4, v12
	v_dot4_i32_i8 v12, v92, v5, v12
	v_cvt_f32_i32_e32 v12, v12
	v_cvt_f32_i32_e32 v11, v93
	v_mul_f32_e32 v12, v126, v12
	v_fma_mix_f32 v11, v0, v11, -v12 op_sel_hi:[1,0,0]
	v_fmac_f32_e32 v32, v14, v11
	v_dot4_i32_i8 v11, v79, v6, 0
	v_dot4_i32_i8 v6, v60, v6, 0
	;; [unrolled: 1-line block ×8, first 2 shown]
	v_mul_lo_u32 v6, v7, v71
	v_dot4_i32_i8 v7, v125, v2, 0
	v_dot4_i32_i8 v2, v63, v2, v8
	;; [unrolled: 1-line block ×8, first 2 shown]
	v_mad_u64_u32 v[2:3], s[16:17], v3, v35, v[6:7]
	v_cvt_f32_i32_e32 v3, v4
	v_cvt_f32_i32_e32 v2, v2
	v_mul_f32_e32 v3, v121, v3
	v_fma_mix_f32 v2, v120, v2, -v3 op_sel_hi:[1,0,0]
	v_fmac_f32_e32 v31, v14, v2
	ds_read2_b32 v[13:14], v119 offset0:128 offset1:160
	ds_read_b128 v[6:9], v118 offset:4096
	ds_read_b128 v[2:5], v118 offset:4112
	s_waitcnt lgkmcnt(1)
	v_dot4_i32_i8 v11, v49, v6, 0
	v_dot4_i32_i8 v11, v100, v7, v11
	;; [unrolled: 1-line block ×6, first 2 shown]
	v_mul_lo_u32 v93, v11, v81
	s_waitcnt lgkmcnt(0)
	v_dot4_i32_i8 v11, v48, v2, 0
	v_dot4_i32_i8 v12, v78, v8, v12
	;; [unrolled: 1-line block ×8, first 2 shown]
	v_mad_u64_u32 v[93:94], s[16:17], v11, v77, v[93:94]
	v_dot4_i32_i8 v12, v80, v4, v12
	v_dot4_i32_i8 v12, v80, v5, v12
	v_cvt_f32_i32_e32 v12, v12
	v_cvt_f32_i32_e32 v11, v93
	v_mul_f32_e32 v12, v82, v12
	v_fma_mix_f32 v11, v99, v11, -v12 op_sel_hi:[1,0,0]
	v_fmac_f32_e32 v30, v13, v11
	v_dot4_i32_i8 v11, v50, v6, 0
	v_dot4_i32_i8 v11, v51, v7, v11
	;; [unrolled: 1-line block ×6, first 2 shown]
	v_mul_lo_u32 v93, v11, v86
	v_dot4_i32_i8 v11, v56, v2, 0
	v_dot4_i32_i8 v12, v84, v8, v12
	;; [unrolled: 1-line block ×8, first 2 shown]
	v_mad_u64_u32 v[93:94], s[16:17], v11, v83, v[93:94]
	v_dot4_i32_i8 v12, v85, v4, v12
	v_dot4_i32_i8 v12, v85, v5, v12
	v_cvt_f32_i32_e32 v12, v12
	v_cvt_f32_i32_e32 v11, v93
	v_mul_f32_e32 v12, v101, v12
	v_fma_mix_f32 v11, v52, v11, -v12 op_sel_hi:[1,0,0]
	v_fmac_f32_e32 v29, v13, v11
	v_dot4_i32_i8 v11, v10, v6, 0
	v_dot4_i32_i8 v11, v73, v7, v11
	;; [unrolled: 1-line block ×6, first 2 shown]
	v_mul_lo_u32 v93, v11, v1
	v_dot4_i32_i8 v11, v65, v2, 0
	v_dot4_i32_i8 v12, v75, v8, v12
	;; [unrolled: 1-line block ×8, first 2 shown]
	v_mad_u64_u32 v[93:94], s[16:17], v11, v72, v[93:94]
	v_dot4_i32_i8 v12, v92, v4, v12
	v_dot4_i32_i8 v12, v92, v5, v12
	v_cvt_f32_i32_e32 v12, v12
	v_cvt_f32_i32_e32 v11, v93
	v_mul_f32_e32 v12, v126, v12
	v_fma_mix_f32 v11, v0, v11, -v12 op_sel_hi:[1,0,0]
	v_fmac_f32_e32 v28, v13, v11
	v_dot4_i32_i8 v11, v79, v6, 0
	v_dot4_i32_i8 v6, v60, v6, 0
	;; [unrolled: 1-line block ×8, first 2 shown]
	v_mul_lo_u32 v6, v7, v71
	v_dot4_i32_i8 v7, v125, v2, 0
	v_dot4_i32_i8 v2, v63, v2, v8
	;; [unrolled: 1-line block ×8, first 2 shown]
	v_mad_u64_u32 v[2:3], s[16:17], v3, v35, v[6:7]
	v_cvt_f32_i32_e32 v3, v4
	v_cvt_f32_i32_e32 v2, v2
	v_mul_f32_e32 v3, v121, v3
	v_fma_mix_f32 v2, v120, v2, -v3 op_sel_hi:[1,0,0]
	v_fmac_f32_e32 v27, v13, v2
	ds_read_b128 v[6:9], v118 offset:5120
	ds_read_b128 v[2:5], v118 offset:5136
	s_waitcnt lgkmcnt(1)
	v_dot4_i32_i8 v11, v49, v6, 0
	v_dot4_i32_i8 v11, v100, v7, v11
	;; [unrolled: 1-line block ×6, first 2 shown]
	v_mul_lo_u32 v13, v11, v81
	s_waitcnt lgkmcnt(0)
	v_dot4_i32_i8 v11, v48, v2, 0
	v_dot4_i32_i8 v12, v78, v8, v12
	;; [unrolled: 1-line block ×8, first 2 shown]
	v_mad_u64_u32 v[93:94], s[16:17], v11, v77, v[13:14]
	v_dot4_i32_i8 v12, v80, v4, v12
	v_dot4_i32_i8 v12, v80, v5, v12
	v_cvt_f32_i32_e32 v12, v12
	v_cvt_f32_i32_e32 v11, v93
	v_mul_f32_e32 v12, v82, v12
	v_fma_mix_f32 v11, v99, v11, -v12 op_sel_hi:[1,0,0]
	v_fmac_f32_e32 v26, v14, v11
	v_dot4_i32_i8 v11, v50, v6, 0
	v_dot4_i32_i8 v11, v51, v7, v11
	;; [unrolled: 1-line block ×6, first 2 shown]
	v_mul_lo_u32 v13, v11, v86
	v_dot4_i32_i8 v11, v56, v2, 0
	v_dot4_i32_i8 v12, v84, v8, v12
	;; [unrolled: 1-line block ×8, first 2 shown]
	v_mad_u64_u32 v[93:94], s[16:17], v11, v83, v[13:14]
	v_dot4_i32_i8 v12, v85, v4, v12
	v_dot4_i32_i8 v12, v85, v5, v12
	v_cvt_f32_i32_e32 v12, v12
	v_cvt_f32_i32_e32 v11, v93
	v_mul_f32_e32 v12, v101, v12
	v_fma_mix_f32 v11, v52, v11, -v12 op_sel_hi:[1,0,0]
	v_fmac_f32_e32 v25, v14, v11
	v_dot4_i32_i8 v11, v10, v6, 0
	v_dot4_i32_i8 v11, v73, v7, v11
	;; [unrolled: 1-line block ×6, first 2 shown]
	v_mul_lo_u32 v13, v11, v1
	v_dot4_i32_i8 v11, v65, v2, 0
	v_dot4_i32_i8 v12, v75, v8, v12
	;; [unrolled: 1-line block ×8, first 2 shown]
	v_mad_u64_u32 v[93:94], s[16:17], v11, v72, v[13:14]
	v_dot4_i32_i8 v12, v92, v4, v12
	v_dot4_i32_i8 v12, v92, v5, v12
	v_cvt_f32_i32_e32 v12, v12
	v_cvt_f32_i32_e32 v11, v93
	v_mul_f32_e32 v12, v126, v12
	v_fma_mix_f32 v11, v0, v11, -v12 op_sel_hi:[1,0,0]
	v_fmac_f32_e32 v24, v14, v11
	v_dot4_i32_i8 v11, v79, v6, 0
	v_dot4_i32_i8 v6, v60, v6, 0
	;; [unrolled: 1-line block ×8, first 2 shown]
	v_mul_lo_u32 v6, v7, v71
	v_dot4_i32_i8 v7, v125, v2, 0
	v_dot4_i32_i8 v2, v63, v2, v8
	v_dot4_i32_i8 v7, v124, v3, v7
	v_dot4_i32_i8 v2, v63, v3, v2
	v_dot4_i32_i8 v3, v123, v4, v7
	v_dot4_i32_i8 v2, v63, v4, v2
	v_dot4_i32_i8 v3, v122, v5, v3
	v_dot4_i32_i8 v4, v63, v5, v2
	v_mad_u64_u32 v[2:3], s[16:17], v3, v35, v[6:7]
	v_cvt_f32_i32_e32 v3, v4
	v_cvt_f32_i32_e32 v2, v2
	v_mul_f32_e32 v3, v121, v3
	v_fma_mix_f32 v2, v120, v2, -v3 op_sel_hi:[1,0,0]
	v_fmac_f32_e32 v23, v14, v2
	ds_read2_b32 v[13:14], v119 offset0:192 offset1:224
	ds_read_b128 v[6:9], v118 offset:6144
	ds_read_b128 v[2:5], v118 offset:6160
	v_add_u32_e32 v119, 4, v119
	s_waitcnt lgkmcnt(1)
	v_dot4_i32_i8 v11, v49, v6, 0
	v_dot4_i32_i8 v11, v100, v7, v11
	;; [unrolled: 1-line block ×6, first 2 shown]
	v_mul_lo_u32 v93, v11, v81
	s_waitcnt lgkmcnt(0)
	v_dot4_i32_i8 v11, v48, v2, 0
	v_dot4_i32_i8 v12, v78, v8, v12
	;; [unrolled: 1-line block ×8, first 2 shown]
	v_mad_u64_u32 v[93:94], s[16:17], v11, v77, v[93:94]
	v_dot4_i32_i8 v12, v80, v4, v12
	v_dot4_i32_i8 v12, v80, v5, v12
	v_cvt_f32_i32_e32 v12, v12
	v_cvt_f32_i32_e32 v11, v93
	v_mul_f32_e32 v12, v82, v12
	v_fma_mix_f32 v11, v99, v11, -v12 op_sel_hi:[1,0,0]
	v_fmac_f32_e32 v22, v13, v11
	v_dot4_i32_i8 v11, v50, v6, 0
	v_dot4_i32_i8 v11, v51, v7, v11
	;; [unrolled: 1-line block ×6, first 2 shown]
	v_mul_lo_u32 v93, v11, v86
	v_dot4_i32_i8 v11, v56, v2, 0
	v_dot4_i32_i8 v12, v84, v8, v12
	;; [unrolled: 1-line block ×8, first 2 shown]
	v_mad_u64_u32 v[93:94], s[16:17], v11, v83, v[93:94]
	v_dot4_i32_i8 v12, v85, v4, v12
	v_dot4_i32_i8 v12, v85, v5, v12
	v_cvt_f32_i32_e32 v12, v12
	v_cvt_f32_i32_e32 v11, v93
	v_mul_f32_e32 v12, v101, v12
	v_fma_mix_f32 v11, v52, v11, -v12 op_sel_hi:[1,0,0]
	v_fmac_f32_e32 v21, v13, v11
	v_dot4_i32_i8 v11, v10, v6, 0
	v_dot4_i32_i8 v11, v73, v7, v11
	;; [unrolled: 1-line block ×6, first 2 shown]
	v_mul_lo_u32 v93, v11, v1
	v_dot4_i32_i8 v11, v65, v2, 0
	v_dot4_i32_i8 v12, v75, v8, v12
	;; [unrolled: 1-line block ×8, first 2 shown]
	v_mad_u64_u32 v[93:94], s[16:17], v11, v72, v[93:94]
	v_dot4_i32_i8 v12, v92, v4, v12
	v_dot4_i32_i8 v12, v92, v5, v12
	v_cvt_f32_i32_e32 v12, v12
	v_cvt_f32_i32_e32 v11, v93
	v_mov_b32_e32 v93, v117
	v_mul_f32_e32 v12, v126, v12
	v_fma_mix_f32 v11, v0, v11, -v12 op_sel_hi:[1,0,0]
	v_fmac_f32_e32 v20, v13, v11
	v_dot4_i32_i8 v11, v79, v6, 0
	v_dot4_i32_i8 v6, v60, v6, 0
	;; [unrolled: 1-line block ×8, first 2 shown]
	v_mul_lo_u32 v6, v7, v71
	v_dot4_i32_i8 v7, v125, v2, 0
	v_dot4_i32_i8 v2, v63, v2, v8
	;; [unrolled: 1-line block ×8, first 2 shown]
	v_mad_u64_u32 v[2:3], s[16:17], v3, v35, v[6:7]
	v_cvt_f32_i32_e32 v3, v4
	v_cvt_f32_i32_e32 v2, v2
	v_mul_f32_e32 v3, v121, v3
	v_fma_mix_f32 v2, v120, v2, -v3 op_sel_hi:[1,0,0]
	v_fmac_f32_e32 v19, v13, v2
	ds_read_b128 v[6:9], v118 offset:7168
	ds_read_b128 v[2:5], v118 offset:7184
	v_add_u32_e32 v118, 32, v118
	s_waitcnt lgkmcnt(1)
	v_dot4_i32_i8 v11, v49, v6, 0
	v_dot4_i32_i8 v11, v100, v7, v11
	;; [unrolled: 1-line block ×6, first 2 shown]
	v_mul_lo_u32 v13, v11, v81
	s_waitcnt lgkmcnt(0)
	v_dot4_i32_i8 v11, v48, v2, 0
	v_dot4_i32_i8 v12, v78, v8, v12
	;; [unrolled: 1-line block ×8, first 2 shown]
	v_mad_u64_u32 v[47:48], s[16:17], v11, v77, v[13:14]
	v_dot4_i32_i8 v12, v80, v4, v12
	v_dot4_i32_i8 v12, v80, v5, v12
	v_cvt_f32_i32_e32 v12, v12
	v_cvt_f32_i32_e32 v11, v47
	v_dot4_i32_i8 v10, v10, v6, 0
	v_dot4_i32_i8 v10, v73, v7, v10
	v_mul_f32_e32 v12, v82, v12
	v_fma_mix_f32 v11, v99, v11, -v12 op_sel_hi:[1,0,0]
	v_fmac_f32_e32 v18, v14, v11
	v_dot4_i32_i8 v11, v50, v6, 0
	v_dot4_i32_i8 v11, v51, v7, v11
	;; [unrolled: 1-line block ×6, first 2 shown]
	v_mul_lo_u32 v13, v11, v86
	v_dot4_i32_i8 v11, v56, v2, 0
	v_dot4_i32_i8 v12, v84, v8, v12
	;; [unrolled: 1-line block ×8, first 2 shown]
	v_mad_u64_u32 v[47:48], s[16:17], v11, v83, v[13:14]
	v_dot4_i32_i8 v12, v85, v4, v12
	v_dot4_i32_i8 v12, v85, v5, v12
	v_cvt_f32_i32_e32 v12, v12
	v_cvt_f32_i32_e32 v11, v47
	v_dot4_i32_i8 v10, v61, v8, v10
	v_dot4_i32_i8 v10, v64, v9, v10
	v_mul_f32_e32 v12, v101, v12
	v_fma_mix_f32 v11, v52, v11, -v12 op_sel_hi:[1,0,0]
	v_fmac_f32_e32 v17, v14, v11
	v_dot4_i32_i8 v11, v75, v6, 0
	v_dot4_i32_i8 v11, v75, v7, v11
	v_mul_lo_u32 v1, v10, v1
	v_dot4_i32_i8 v10, v65, v2, 0
	v_dot4_i32_i8 v11, v75, v8, v11
	;; [unrolled: 1-line block ×8, first 2 shown]
	v_mad_u64_u32 v[47:48], s[16:17], v10, v72, v[1:2]
	v_dot4_i32_i8 v11, v92, v4, v11
	v_dot4_i32_i8 v11, v92, v5, v11
	v_cvt_f32_i32_e32 v10, v11
	v_cvt_f32_i32_e32 v1, v47
	v_mov_b32_e32 v81, v108
	v_mov_b32_e32 v84, v112
	v_mul_f32_e32 v10, v126, v10
	v_fma_mix_f32 v0, v0, v1, -v10 op_sel_hi:[1,0,0]
	v_fmac_f32_e32 v16, v14, v0
	v_dot4_i32_i8 v0, v79, v6, 0
	v_dot4_i32_i8 v1, v60, v6, 0
	;; [unrolled: 1-line block ×12, first 2 shown]
	buffer_load_dword v63, off, s[20:23], 0 ; 4-byte Folded Reload
	v_mul_lo_u32 v6, v6, v71
	v_dot4_i32_i8 v1, v125, v2, 0
	v_dot4_i32_i8 v1, v124, v3, v1
	;; [unrolled: 1-line block ×4, first 2 shown]
	v_mad_u64_u32 v[1:2], s[16:17], v1, v35, v[6:7]
	v_cvt_f32_i32_e32 v0, v0
	v_mov_b32_e32 v86, v114
	v_cvt_f32_i32_e32 v1, v1
	v_mov_b32_e32 v85, v113
	v_mul_f32_e32 v0, v121, v0
	v_mov_b32_e32 v61, v44
	v_fma_mix_f32 v0, v120, v1, -v0 op_sel_hi:[1,0,0]
	v_mov_b32_e32 v64, v111
	v_mov_b32_e32 v12, v43
	v_mov_b32_e32 v10, v109
	v_mov_b32_e32 v66, v42
	v_fmac_f32_e32 v15, v14, v0
	s_cbranch_scc1 .LBB127_15
; %bb.16:                               ;   in Loop: Header=BB127_7 Depth=1
	v_mov_b32_e32 v11, v91
	s_waitcnt vmcnt(0)
	s_barrier
	s_branch .LBB127_6
.LBB127_17:
	buffer_load_dword v0, off, s[20:23], 0 offset:256 ; 4-byte Folded Reload
	buffer_load_dword v42, off, s[20:23], 0 offset:252 ; 4-byte Folded Reload
.LBB127_18:
	s_waitcnt vmcnt(1)
	v_cmp_gt_u32_e32 vcc, s8, v0
	s_and_saveexec_b64 s[0:1], vcc
	s_cbranch_execz .LBB127_69
; %bb.19:
	v_mul_lo_u32 v4, v0, s10
	s_waitcnt vmcnt(0)
	v_add_u32_e32 v0, s6, v42
	v_cmp_gt_u32_e32 vcc, s10, v0
	s_and_saveexec_b64 s[2:3], vcc
	s_cbranch_execz .LBB127_21
; %bb.20:
	v_add_u32_e32 v1, v0, v4
	v_mov_b32_e32 v2, 0
	v_lshlrev_b64 v[1:2], 2, v[1:2]
	s_waitcnt lgkmcnt(0)
	v_mov_b32_e32 v3, s13
	v_add_co_u32_e64 v1, s[0:1], s12, v1
	v_addc_co_u32_e64 v2, s[0:1], v3, v2, s[0:1]
	global_store_dword v[1:2], v36, off
.LBB127_21:
	s_or_b64 exec, exec, s[2:3]
	v_add_u32_e32 v1, 32, v0
	v_cmp_gt_u32_e64 s[0:1], s10, v1
	s_and_saveexec_b64 s[4:5], s[0:1]
	s_cbranch_execz .LBB127_23
; %bb.22:
	v_add_u32_e32 v2, v1, v4
	v_mov_b32_e32 v3, 0
	v_lshlrev_b64 v[2:3], 2, v[2:3]
	s_waitcnt lgkmcnt(0)
	v_mov_b32_e32 v5, s13
	v_add_co_u32_e64 v2, s[2:3], s12, v2
	v_addc_co_u32_e64 v3, s[2:3], v5, v3, s[2:3]
	global_store_dword v[2:3], v76, off
.LBB127_23:
	s_or_b64 exec, exec, s[4:5]
	v_add_u32_e32 v2, 64, v0
	v_cmp_gt_u32_e64 s[2:3], s10, v2
	s_and_saveexec_b64 s[6:7], s[2:3]
	;; [unrolled: 15-line block ×3, first 2 shown]
	s_cbranch_execz .LBB127_27
; %bb.26:
	v_add_u32_e32 v4, v3, v4
	v_mov_b32_e32 v5, 0
	v_lshlrev_b64 v[4:5], 2, v[4:5]
	s_waitcnt lgkmcnt(0)
	v_mov_b32_e32 v6, s13
	v_add_co_u32_e64 v4, s[6:7], s12, v4
	v_addc_co_u32_e64 v5, s[6:7], v6, v5, s[6:7]
	global_store_dword v[4:5], v70, off
.LBB127_27:
	s_or_b64 exec, exec, s[14:15]
	v_add3_u32 v4, v35, s11, 8
	v_cmp_gt_u32_e64 s[6:7], s8, v4
	s_and_b64 exec, exec, s[6:7]
	s_cbranch_execz .LBB127_69
; %bb.28:
	v_mul_lo_u32 v4, v4, s10
	s_and_saveexec_b64 s[14:15], vcc
	s_cbranch_execnz .LBB127_70
; %bb.29:
	s_or_b64 exec, exec, s[14:15]
	s_and_saveexec_b64 s[14:15], s[0:1]
	s_cbranch_execnz .LBB127_71
.LBB127_30:
	s_or_b64 exec, exec, s[14:15]
	s_and_saveexec_b64 s[14:15], s[2:3]
	s_cbranch_execnz .LBB127_72
.LBB127_31:
	s_or_b64 exec, exec, s[14:15]
	s_and_saveexec_b64 s[14:15], s[4:5]
	s_cbranch_execz .LBB127_33
.LBB127_32:
	v_add_u32_e32 v4, v4, v3
	v_mov_b32_e32 v5, 0
	v_lshlrev_b64 v[4:5], 2, v[4:5]
	s_waitcnt lgkmcnt(0)
	v_mov_b32_e32 v6, s13
	v_add_co_u32_e64 v4, s[6:7], s12, v4
	v_addc_co_u32_e64 v5, s[6:7], v6, v5, s[6:7]
	global_store_dword v[4:5], v41, off
.LBB127_33:
	s_or_b64 exec, exec, s[14:15]
	v_add3_u32 v4, v35, s11, 16
	v_cmp_gt_u32_e64 s[6:7], s8, v4
	s_and_b64 exec, exec, s[6:7]
	s_cbranch_execz .LBB127_69
; %bb.34:
	v_mul_lo_u32 v4, v4, s10
	s_and_saveexec_b64 s[14:15], vcc
	s_cbranch_execnz .LBB127_73
; %bb.35:
	s_or_b64 exec, exec, s[14:15]
	s_and_saveexec_b64 s[14:15], s[0:1]
	s_cbranch_execnz .LBB127_74
.LBB127_36:
	s_or_b64 exec, exec, s[14:15]
	s_and_saveexec_b64 s[14:15], s[2:3]
	s_cbranch_execnz .LBB127_75
.LBB127_37:
	s_or_b64 exec, exec, s[14:15]
	s_and_saveexec_b64 s[14:15], s[4:5]
	s_cbranch_execz .LBB127_39
.LBB127_38:
	v_add_u32_e32 v4, v4, v3
	v_mov_b32_e32 v5, 0
	v_lshlrev_b64 v[4:5], 2, v[4:5]
	s_waitcnt lgkmcnt(0)
	v_mov_b32_e32 v6, s13
	v_add_co_u32_e64 v4, s[6:7], s12, v4
	v_addc_co_u32_e64 v5, s[6:7], v6, v5, s[6:7]
	global_store_dword v[4:5], v37, off
.LBB127_39:
	s_or_b64 exec, exec, s[14:15]
	v_add3_u32 v4, v35, s11, 24
	v_cmp_gt_u32_e64 s[6:7], s8, v4
	s_and_b64 exec, exec, s[6:7]
	s_cbranch_execz .LBB127_69
; %bb.40:
	v_mul_lo_u32 v4, v4, s10
	s_and_saveexec_b64 s[14:15], vcc
	s_cbranch_execnz .LBB127_76
; %bb.41:
	s_or_b64 exec, exec, s[14:15]
	s_and_saveexec_b64 s[14:15], s[0:1]
	s_cbranch_execnz .LBB127_77
.LBB127_42:
	s_or_b64 exec, exec, s[14:15]
	s_and_saveexec_b64 s[14:15], s[2:3]
	s_cbranch_execnz .LBB127_78
.LBB127_43:
	s_or_b64 exec, exec, s[14:15]
	s_and_saveexec_b64 s[14:15], s[4:5]
	s_cbranch_execz .LBB127_45
.LBB127_44:
	v_add_u32_e32 v4, v4, v3
	v_mov_b32_e32 v5, 0
	v_lshlrev_b64 v[4:5], 2, v[4:5]
	s_waitcnt lgkmcnt(0)
	v_mov_b32_e32 v6, s13
	v_add_co_u32_e64 v4, s[6:7], s12, v4
	v_addc_co_u32_e64 v5, s[6:7], v6, v5, s[6:7]
	global_store_dword v[4:5], v31, off
.LBB127_45:
	s_or_b64 exec, exec, s[14:15]
	v_add3_u32 v4, v35, s11, 32
	v_cmp_gt_u32_e64 s[6:7], s8, v4
	s_and_b64 exec, exec, s[6:7]
	s_cbranch_execz .LBB127_69
; %bb.46:
	v_mul_lo_u32 v4, v4, s10
	s_and_saveexec_b64 s[14:15], vcc
	s_cbranch_execnz .LBB127_79
; %bb.47:
	s_or_b64 exec, exec, s[14:15]
	s_and_saveexec_b64 s[14:15], s[0:1]
	s_cbranch_execnz .LBB127_80
.LBB127_48:
	s_or_b64 exec, exec, s[14:15]
	s_and_saveexec_b64 s[14:15], s[2:3]
	s_cbranch_execnz .LBB127_81
.LBB127_49:
	s_or_b64 exec, exec, s[14:15]
	s_and_saveexec_b64 s[14:15], s[4:5]
	s_cbranch_execz .LBB127_51
.LBB127_50:
	v_add_u32_e32 v4, v4, v3
	v_mov_b32_e32 v5, 0
	v_lshlrev_b64 v[4:5], 2, v[4:5]
	s_waitcnt lgkmcnt(0)
	v_mov_b32_e32 v6, s13
	v_add_co_u32_e64 v4, s[6:7], s12, v4
	v_addc_co_u32_e64 v5, s[6:7], v6, v5, s[6:7]
	global_store_dword v[4:5], v27, off
.LBB127_51:
	s_or_b64 exec, exec, s[14:15]
	v_add3_u32 v4, v35, s11, 40
	v_cmp_gt_u32_e64 s[6:7], s8, v4
	s_and_b64 exec, exec, s[6:7]
	s_cbranch_execz .LBB127_69
; %bb.52:
	v_mul_lo_u32 v4, v4, s10
	s_and_saveexec_b64 s[14:15], vcc
	s_cbranch_execnz .LBB127_82
; %bb.53:
	s_or_b64 exec, exec, s[14:15]
	s_and_saveexec_b64 s[14:15], s[0:1]
	s_cbranch_execnz .LBB127_83
.LBB127_54:
	s_or_b64 exec, exec, s[14:15]
	s_and_saveexec_b64 s[14:15], s[2:3]
	s_cbranch_execnz .LBB127_84
.LBB127_55:
	s_or_b64 exec, exec, s[14:15]
	s_and_saveexec_b64 s[14:15], s[4:5]
	s_cbranch_execz .LBB127_57
.LBB127_56:
	v_add_u32_e32 v4, v4, v3
	v_mov_b32_e32 v5, 0
	v_lshlrev_b64 v[4:5], 2, v[4:5]
	s_waitcnt lgkmcnt(0)
	v_mov_b32_e32 v6, s13
	v_add_co_u32_e64 v4, s[6:7], s12, v4
	v_addc_co_u32_e64 v5, s[6:7], v6, v5, s[6:7]
	global_store_dword v[4:5], v23, off
.LBB127_57:
	s_or_b64 exec, exec, s[14:15]
	v_add3_u32 v4, v35, s11, 48
	v_cmp_gt_u32_e64 s[6:7], s8, v4
	s_and_b64 exec, exec, s[6:7]
	s_cbranch_execz .LBB127_69
; %bb.58:
	v_mul_lo_u32 v4, v4, s10
	s_and_saveexec_b64 s[14:15], vcc
	s_cbranch_execnz .LBB127_85
; %bb.59:
	s_or_b64 exec, exec, s[14:15]
	s_and_saveexec_b64 s[14:15], s[0:1]
	s_cbranch_execnz .LBB127_86
.LBB127_60:
	s_or_b64 exec, exec, s[14:15]
	s_and_saveexec_b64 s[14:15], s[2:3]
	s_cbranch_execnz .LBB127_87
.LBB127_61:
	s_or_b64 exec, exec, s[14:15]
	s_and_saveexec_b64 s[14:15], s[4:5]
	s_cbranch_execz .LBB127_63
.LBB127_62:
	v_add_u32_e32 v4, v4, v3
	v_mov_b32_e32 v5, 0
	v_lshlrev_b64 v[4:5], 2, v[4:5]
	s_waitcnt lgkmcnt(0)
	v_mov_b32_e32 v6, s13
	v_add_co_u32_e64 v4, s[6:7], s12, v4
	v_addc_co_u32_e64 v5, s[6:7], v6, v5, s[6:7]
	global_store_dword v[4:5], v19, off
.LBB127_63:
	s_or_b64 exec, exec, s[14:15]
	v_add3_u32 v4, v35, s11, 56
	v_cmp_gt_u32_e64 s[6:7], s8, v4
	s_and_b64 exec, exec, s[6:7]
	s_cbranch_execz .LBB127_69
; %bb.64:
	v_mul_lo_u32 v4, v4, s10
	s_and_saveexec_b64 s[6:7], vcc
	s_cbranch_execnz .LBB127_88
; %bb.65:
	s_or_b64 exec, exec, s[6:7]
	s_and_saveexec_b64 s[6:7], s[0:1]
	s_cbranch_execnz .LBB127_89
.LBB127_66:
	s_or_b64 exec, exec, s[6:7]
	s_and_saveexec_b64 s[0:1], s[2:3]
	s_cbranch_execnz .LBB127_90
.LBB127_67:
	s_or_b64 exec, exec, s[0:1]
	s_and_b64 exec, exec, s[4:5]
	s_cbranch_execz .LBB127_69
.LBB127_68:
	v_add_u32_e32 v0, v4, v3
	v_mov_b32_e32 v1, 0
	v_lshlrev_b64 v[0:1], 2, v[0:1]
	s_waitcnt lgkmcnt(0)
	v_mov_b32_e32 v2, s13
	v_add_co_u32_e32 v0, vcc, s12, v0
	v_addc_co_u32_e32 v1, vcc, v2, v1, vcc
	global_store_dword v[0:1], v15, off
.LBB127_69:
	s_endpgm
.LBB127_70:
	v_add_u32_e32 v5, v4, v0
	v_mov_b32_e32 v6, 0
	v_lshlrev_b64 v[5:6], 2, v[5:6]
	s_waitcnt lgkmcnt(0)
	v_mov_b32_e32 v7, s13
	v_add_co_u32_e64 v5, s[6:7], s12, v5
	v_addc_co_u32_e64 v6, s[6:7], v7, v6, s[6:7]
	global_store_dword v[5:6], v62, off
	s_or_b64 exec, exec, s[14:15]
	s_and_saveexec_b64 s[14:15], s[0:1]
	s_cbranch_execz .LBB127_30
.LBB127_71:
	v_add_u32_e32 v5, v4, v1
	v_mov_b32_e32 v6, 0
	v_lshlrev_b64 v[5:6], 2, v[5:6]
	s_waitcnt lgkmcnt(0)
	v_mov_b32_e32 v7, s13
	v_add_co_u32_e64 v5, s[6:7], s12, v5
	v_addc_co_u32_e64 v6, s[6:7], v7, v6, s[6:7]
	global_store_dword v[5:6], v54, off
	s_or_b64 exec, exec, s[14:15]
	s_and_saveexec_b64 s[14:15], s[2:3]
	s_cbranch_execz .LBB127_31
.LBB127_72:
	v_add_u32_e32 v5, v4, v2
	v_mov_b32_e32 v6, 0
	v_lshlrev_b64 v[5:6], 2, v[5:6]
	s_waitcnt lgkmcnt(0)
	v_mov_b32_e32 v7, s13
	v_add_co_u32_e64 v5, s[6:7], s12, v5
	v_addc_co_u32_e64 v6, s[6:7], v7, v6, s[6:7]
	global_store_dword v[5:6], v46, off
	s_or_b64 exec, exec, s[14:15]
	s_and_saveexec_b64 s[14:15], s[4:5]
	s_cbranch_execnz .LBB127_32
	s_branch .LBB127_33
.LBB127_73:
	v_add_u32_e32 v5, v4, v0
	v_mov_b32_e32 v6, 0
	v_lshlrev_b64 v[5:6], 2, v[5:6]
	s_waitcnt lgkmcnt(0)
	v_mov_b32_e32 v7, s13
	v_add_co_u32_e64 v5, s[6:7], s12, v5
	v_addc_co_u32_e64 v6, s[6:7], v7, v6, s[6:7]
	global_store_dword v[5:6], v40, off
	s_or_b64 exec, exec, s[14:15]
	s_and_saveexec_b64 s[14:15], s[0:1]
	s_cbranch_execz .LBB127_36
.LBB127_74:
	v_add_u32_e32 v5, v4, v1
	v_mov_b32_e32 v6, 0
	v_lshlrev_b64 v[5:6], 2, v[5:6]
	s_waitcnt lgkmcnt(0)
	v_mov_b32_e32 v7, s13
	v_add_co_u32_e64 v5, s[6:7], s12, v5
	v_addc_co_u32_e64 v6, s[6:7], v7, v6, s[6:7]
	global_store_dword v[5:6], v39, off
	s_or_b64 exec, exec, s[14:15]
	s_and_saveexec_b64 s[14:15], s[2:3]
	s_cbranch_execz .LBB127_37
.LBB127_75:
	v_add_u32_e32 v5, v4, v2
	v_mov_b32_e32 v6, 0
	v_lshlrev_b64 v[5:6], 2, v[5:6]
	s_waitcnt lgkmcnt(0)
	v_mov_b32_e32 v7, s13
	v_add_co_u32_e64 v5, s[6:7], s12, v5
	v_addc_co_u32_e64 v6, s[6:7], v7, v6, s[6:7]
	global_store_dword v[5:6], v38, off
	s_or_b64 exec, exec, s[14:15]
	s_and_saveexec_b64 s[14:15], s[4:5]
	s_cbranch_execnz .LBB127_38
	s_branch .LBB127_39
.LBB127_76:
	v_add_u32_e32 v5, v4, v0
	v_mov_b32_e32 v6, 0
	v_lshlrev_b64 v[5:6], 2, v[5:6]
	s_waitcnt lgkmcnt(0)
	v_mov_b32_e32 v7, s13
	v_add_co_u32_e64 v5, s[6:7], s12, v5
	v_addc_co_u32_e64 v6, s[6:7], v7, v6, s[6:7]
	global_store_dword v[5:6], v34, off
	s_or_b64 exec, exec, s[14:15]
	s_and_saveexec_b64 s[14:15], s[0:1]
	s_cbranch_execz .LBB127_42
.LBB127_77:
	v_add_u32_e32 v5, v4, v1
	v_mov_b32_e32 v6, 0
	v_lshlrev_b64 v[5:6], 2, v[5:6]
	s_waitcnt lgkmcnt(0)
	v_mov_b32_e32 v7, s13
	v_add_co_u32_e64 v5, s[6:7], s12, v5
	v_addc_co_u32_e64 v6, s[6:7], v7, v6, s[6:7]
	global_store_dword v[5:6], v33, off
	s_or_b64 exec, exec, s[14:15]
	s_and_saveexec_b64 s[14:15], s[2:3]
	s_cbranch_execz .LBB127_43
.LBB127_78:
	v_add_u32_e32 v5, v4, v2
	v_mov_b32_e32 v6, 0
	v_lshlrev_b64 v[5:6], 2, v[5:6]
	s_waitcnt lgkmcnt(0)
	v_mov_b32_e32 v7, s13
	v_add_co_u32_e64 v5, s[6:7], s12, v5
	v_addc_co_u32_e64 v6, s[6:7], v7, v6, s[6:7]
	global_store_dword v[5:6], v32, off
	s_or_b64 exec, exec, s[14:15]
	s_and_saveexec_b64 s[14:15], s[4:5]
	s_cbranch_execnz .LBB127_44
	s_branch .LBB127_45
.LBB127_79:
	v_add_u32_e32 v5, v4, v0
	v_mov_b32_e32 v6, 0
	v_lshlrev_b64 v[5:6], 2, v[5:6]
	s_waitcnt lgkmcnt(0)
	v_mov_b32_e32 v7, s13
	v_add_co_u32_e64 v5, s[6:7], s12, v5
	v_addc_co_u32_e64 v6, s[6:7], v7, v6, s[6:7]
	global_store_dword v[5:6], v30, off
	s_or_b64 exec, exec, s[14:15]
	s_and_saveexec_b64 s[14:15], s[0:1]
	s_cbranch_execz .LBB127_48
.LBB127_80:
	v_add_u32_e32 v5, v4, v1
	v_mov_b32_e32 v6, 0
	v_lshlrev_b64 v[5:6], 2, v[5:6]
	s_waitcnt lgkmcnt(0)
	v_mov_b32_e32 v7, s13
	v_add_co_u32_e64 v5, s[6:7], s12, v5
	v_addc_co_u32_e64 v6, s[6:7], v7, v6, s[6:7]
	global_store_dword v[5:6], v29, off
	s_or_b64 exec, exec, s[14:15]
	s_and_saveexec_b64 s[14:15], s[2:3]
	s_cbranch_execz .LBB127_49
.LBB127_81:
	v_add_u32_e32 v5, v4, v2
	v_mov_b32_e32 v6, 0
	v_lshlrev_b64 v[5:6], 2, v[5:6]
	s_waitcnt lgkmcnt(0)
	v_mov_b32_e32 v7, s13
	v_add_co_u32_e64 v5, s[6:7], s12, v5
	v_addc_co_u32_e64 v6, s[6:7], v7, v6, s[6:7]
	global_store_dword v[5:6], v28, off
	s_or_b64 exec, exec, s[14:15]
	s_and_saveexec_b64 s[14:15], s[4:5]
	s_cbranch_execnz .LBB127_50
	s_branch .LBB127_51
.LBB127_82:
	v_add_u32_e32 v5, v4, v0
	v_mov_b32_e32 v6, 0
	v_lshlrev_b64 v[5:6], 2, v[5:6]
	s_waitcnt lgkmcnt(0)
	v_mov_b32_e32 v7, s13
	v_add_co_u32_e64 v5, s[6:7], s12, v5
	v_addc_co_u32_e64 v6, s[6:7], v7, v6, s[6:7]
	global_store_dword v[5:6], v26, off
	s_or_b64 exec, exec, s[14:15]
	s_and_saveexec_b64 s[14:15], s[0:1]
	s_cbranch_execz .LBB127_54
.LBB127_83:
	v_add_u32_e32 v5, v4, v1
	v_mov_b32_e32 v6, 0
	v_lshlrev_b64 v[5:6], 2, v[5:6]
	s_waitcnt lgkmcnt(0)
	v_mov_b32_e32 v7, s13
	v_add_co_u32_e64 v5, s[6:7], s12, v5
	v_addc_co_u32_e64 v6, s[6:7], v7, v6, s[6:7]
	global_store_dword v[5:6], v25, off
	s_or_b64 exec, exec, s[14:15]
	s_and_saveexec_b64 s[14:15], s[2:3]
	s_cbranch_execz .LBB127_55
.LBB127_84:
	v_add_u32_e32 v5, v4, v2
	v_mov_b32_e32 v6, 0
	v_lshlrev_b64 v[5:6], 2, v[5:6]
	s_waitcnt lgkmcnt(0)
	v_mov_b32_e32 v7, s13
	v_add_co_u32_e64 v5, s[6:7], s12, v5
	v_addc_co_u32_e64 v6, s[6:7], v7, v6, s[6:7]
	global_store_dword v[5:6], v24, off
	s_or_b64 exec, exec, s[14:15]
	s_and_saveexec_b64 s[14:15], s[4:5]
	s_cbranch_execnz .LBB127_56
	s_branch .LBB127_57
.LBB127_85:
	v_add_u32_e32 v5, v4, v0
	v_mov_b32_e32 v6, 0
	v_lshlrev_b64 v[5:6], 2, v[5:6]
	s_waitcnt lgkmcnt(0)
	v_mov_b32_e32 v7, s13
	v_add_co_u32_e64 v5, s[6:7], s12, v5
	v_addc_co_u32_e64 v6, s[6:7], v7, v6, s[6:7]
	global_store_dword v[5:6], v22, off
	s_or_b64 exec, exec, s[14:15]
	s_and_saveexec_b64 s[14:15], s[0:1]
	s_cbranch_execz .LBB127_60
.LBB127_86:
	v_add_u32_e32 v5, v4, v1
	v_mov_b32_e32 v6, 0
	v_lshlrev_b64 v[5:6], 2, v[5:6]
	s_waitcnt lgkmcnt(0)
	v_mov_b32_e32 v7, s13
	v_add_co_u32_e64 v5, s[6:7], s12, v5
	v_addc_co_u32_e64 v6, s[6:7], v7, v6, s[6:7]
	global_store_dword v[5:6], v21, off
	s_or_b64 exec, exec, s[14:15]
	s_and_saveexec_b64 s[14:15], s[2:3]
	s_cbranch_execz .LBB127_61
.LBB127_87:
	v_add_u32_e32 v5, v4, v2
	v_mov_b32_e32 v6, 0
	v_lshlrev_b64 v[5:6], 2, v[5:6]
	s_waitcnt lgkmcnt(0)
	v_mov_b32_e32 v7, s13
	v_add_co_u32_e64 v5, s[6:7], s12, v5
	v_addc_co_u32_e64 v6, s[6:7], v7, v6, s[6:7]
	global_store_dword v[5:6], v20, off
	s_or_b64 exec, exec, s[14:15]
	s_and_saveexec_b64 s[14:15], s[4:5]
	s_cbranch_execnz .LBB127_62
	s_branch .LBB127_63
.LBB127_88:
	v_add_u32_e32 v5, v4, v0
	v_mov_b32_e32 v6, 0
	v_lshlrev_b64 v[5:6], 2, v[5:6]
	s_waitcnt lgkmcnt(0)
	v_mov_b32_e32 v0, s13
	v_add_co_u32_e32 v5, vcc, s12, v5
	v_addc_co_u32_e32 v6, vcc, v0, v6, vcc
	global_store_dword v[5:6], v18, off
	s_or_b64 exec, exec, s[6:7]
	s_and_saveexec_b64 s[6:7], s[0:1]
	s_cbranch_execz .LBB127_66
.LBB127_89:
	v_add_u32_e32 v0, v4, v1
	v_mov_b32_e32 v1, 0
	v_lshlrev_b64 v[0:1], 2, v[0:1]
	s_waitcnt lgkmcnt(0)
	v_mov_b32_e32 v5, s13
	v_add_co_u32_e32 v0, vcc, s12, v0
	v_addc_co_u32_e32 v1, vcc, v5, v1, vcc
	global_store_dword v[0:1], v17, off
	s_or_b64 exec, exec, s[6:7]
	s_and_saveexec_b64 s[0:1], s[2:3]
	s_cbranch_execz .LBB127_67
.LBB127_90:
	v_add_u32_e32 v0, v4, v2
	v_mov_b32_e32 v1, 0
	v_lshlrev_b64 v[0:1], 2, v[0:1]
	s_waitcnt lgkmcnt(0)
	v_mov_b32_e32 v2, s13
	v_add_co_u32_e32 v0, vcc, s12, v0
	v_addc_co_u32_e32 v1, vcc, v2, v1, vcc
	global_store_dword v[0:1], v16, off
	s_or_b64 exec, exec, s[0:1]
	s_and_b64 exec, exec, s[4:5]
	s_cbranch_execnz .LBB127_68
	s_branch .LBB127_69
	.section	.rodata,"a",@progbits
	.p2align	6, 0x0
	.amdhsa_kernel _ZL12mul_mat_q2_KIfLb0EEvPKvS1_PT_iiiii
		.amdhsa_group_segment_fixed_size 31392
		.amdhsa_private_segment_fixed_size 264
		.amdhsa_kernarg_size 44
		.amdhsa_user_sgpr_count 6
		.amdhsa_user_sgpr_private_segment_buffer 1
		.amdhsa_user_sgpr_dispatch_ptr 0
		.amdhsa_user_sgpr_queue_ptr 0
		.amdhsa_user_sgpr_kernarg_segment_ptr 1
		.amdhsa_user_sgpr_dispatch_id 0
		.amdhsa_user_sgpr_flat_scratch_init 0
		.amdhsa_user_sgpr_private_segment_size 0
		.amdhsa_uses_dynamic_stack 0
		.amdhsa_system_sgpr_private_segment_wavefront_offset 1
		.amdhsa_system_sgpr_workgroup_id_x 1
		.amdhsa_system_sgpr_workgroup_id_y 1
		.amdhsa_system_sgpr_workgroup_id_z 0
		.amdhsa_system_sgpr_workgroup_info 0
		.amdhsa_system_vgpr_workitem_id 1
		.amdhsa_next_free_vgpr 128
		.amdhsa_next_free_sgpr 98
		.amdhsa_reserve_vcc 1
		.amdhsa_reserve_flat_scratch 0
		.amdhsa_float_round_mode_32 0
		.amdhsa_float_round_mode_16_64 0
		.amdhsa_float_denorm_mode_32 3
		.amdhsa_float_denorm_mode_16_64 3
		.amdhsa_dx10_clamp 1
		.amdhsa_ieee_mode 1
		.amdhsa_fp16_overflow 0
		.amdhsa_exception_fp_ieee_invalid_op 0
		.amdhsa_exception_fp_denorm_src 0
		.amdhsa_exception_fp_ieee_div_zero 0
		.amdhsa_exception_fp_ieee_overflow 0
		.amdhsa_exception_fp_ieee_underflow 0
		.amdhsa_exception_fp_ieee_inexact 0
		.amdhsa_exception_int_div_zero 0
	.end_amdhsa_kernel
	.section	.text._ZL12mul_mat_q2_KIfLb0EEvPKvS1_PT_iiiii,"axG",@progbits,_ZL12mul_mat_q2_KIfLb0EEvPKvS1_PT_iiiii,comdat
.Lfunc_end127:
	.size	_ZL12mul_mat_q2_KIfLb0EEvPKvS1_PT_iiiii, .Lfunc_end127-_ZL12mul_mat_q2_KIfLb0EEvPKvS1_PT_iiiii
                                        ; -- End function
	.set _ZL12mul_mat_q2_KIfLb0EEvPKvS1_PT_iiiii.num_vgpr, 128
	.set _ZL12mul_mat_q2_KIfLb0EEvPKvS1_PT_iiiii.num_agpr, 0
	.set _ZL12mul_mat_q2_KIfLb0EEvPKvS1_PT_iiiii.numbered_sgpr, 24
	.set _ZL12mul_mat_q2_KIfLb0EEvPKvS1_PT_iiiii.num_named_barrier, 0
	.set _ZL12mul_mat_q2_KIfLb0EEvPKvS1_PT_iiiii.private_seg_size, 264
	.set _ZL12mul_mat_q2_KIfLb0EEvPKvS1_PT_iiiii.uses_vcc, 1
	.set _ZL12mul_mat_q2_KIfLb0EEvPKvS1_PT_iiiii.uses_flat_scratch, 0
	.set _ZL12mul_mat_q2_KIfLb0EEvPKvS1_PT_iiiii.has_dyn_sized_stack, 0
	.set _ZL12mul_mat_q2_KIfLb0EEvPKvS1_PT_iiiii.has_recursion, 0
	.set _ZL12mul_mat_q2_KIfLb0EEvPKvS1_PT_iiiii.has_indirect_call, 0
	.section	.AMDGPU.csdata,"",@progbits
; Kernel info:
; codeLenInByte = 35236
; TotalNumSgprs: 28
; NumVgprs: 128
; ScratchSize: 264
; MemoryBound: 0
; FloatMode: 240
; IeeeMode: 1
; LDSByteSize: 31392 bytes/workgroup (compile time only)
; SGPRBlocks: 12
; VGPRBlocks: 31
; NumSGPRsForWavesPerEU: 102
; NumVGPRsForWavesPerEU: 128
; Occupancy: 2
; WaveLimiterHint : 0
; COMPUTE_PGM_RSRC2:SCRATCH_EN: 1
; COMPUTE_PGM_RSRC2:USER_SGPR: 6
; COMPUTE_PGM_RSRC2:TRAP_HANDLER: 0
; COMPUTE_PGM_RSRC2:TGID_X_EN: 1
; COMPUTE_PGM_RSRC2:TGID_Y_EN: 1
; COMPUTE_PGM_RSRC2:TGID_Z_EN: 0
; COMPUTE_PGM_RSRC2:TIDIG_COMP_CNT: 1
	.section	.text._ZL12mul_mat_q2_KIfLb1EEvPKvS1_PT_iiiii,"axG",@progbits,_ZL12mul_mat_q2_KIfLb1EEvPKvS1_PT_iiiii,comdat
	.globl	_ZL12mul_mat_q2_KIfLb1EEvPKvS1_PT_iiiii ; -- Begin function _ZL12mul_mat_q2_KIfLb1EEvPKvS1_PT_iiiii
	.p2align	8
	.type	_ZL12mul_mat_q2_KIfLb1EEvPKvS1_PT_iiiii,@function
_ZL12mul_mat_q2_KIfLb1EEvPKvS1_PT_iiiii: ; @_ZL12mul_mat_q2_KIfLb1EEvPKvS1_PT_iiiii
; %bb.0:
	s_mov_b64 s[22:23], s[2:3]
	s_mov_b64 s[20:21], s[0:1]
	s_add_u32 s20, s20, s8
	s_load_dwordx4 s[8:11], s[4:5], 0x18
	s_load_dword s14, s[4:5], 0x28
	s_addc_u32 s21, s21, 0
	v_mov_b32_e32 v48, v1
	s_lshl_b32 s15, s7, 6
	v_mov_b32_e32 v56, v0
	s_waitcnt lgkmcnt(0)
	s_cmpk_gt_i32 s8, 0xff
	v_add_u32_e32 v57, s15, v48
	s_cbranch_scc1 .LBB128_2
; %bb.1:
	v_add_u32_e32 v0, s15, v48
	s_mov_b64 s[0:1], 0
	s_branch .LBB128_3
.LBB128_2:
	s_mov_b64 s[0:1], -1
                                        ; implicit-def: $vgpr0
.LBB128_3:
	s_load_dwordx2 s[12:13], s[4:5], 0x10
	s_lshl_b32 s6, s6, 7
	v_mov_b32_e32 v31, 0
	s_andn2_b64 vcc, exec, s[0:1]
	v_mov_b32_e32 v35, 0
	v_mov_b32_e32 v39, 0
	;; [unrolled: 1-line block ×31, first 2 shown]
	s_cbranch_vccnz .LBB128_17
; %bb.4:
	s_load_dwordx4 s[0:3], s[4:5], 0x0
	s_ashr_i32 s4, s8, 31
	s_lshr_b32 s4, s4, 24
	s_add_i32 s4, s8, s4
	s_ashr_i32 s5, s11, 31
	s_ashr_i32 s4, s4, 8
	s_lshr_b32 s5, s5, 27
	s_add_i32 s5, s11, s5
	s_mul_i32 s7, s4, s6
	s_ashr_i32 s8, s5, 5
	s_mul_hi_i32 s11, s7, 0x54
	s_mulk_i32 s7, 0x54
	s_waitcnt lgkmcnt(0)
	s_add_u32 s0, s0, s7
	s_addc_u32 s1, s1, s11
	s_not_b32 s7, s6
	v_lshlrev_b32_e32 v0, 2, v56
	s_add_i32 s9, s9, s7
	v_and_b32_e32 v1, 60, v0
	buffer_store_dword v1, off, s[20:23], 0 offset:96 ; 4-byte Folded Spill
	v_min_i32_e32 v1, s9, v48
	v_mul_lo_u32 v2, v1, s4
	s_movk_i32 s11, 0x84
	v_add_u32_e32 v9, 8, v48
	v_add_u32_e32 v10, 16, v48
	buffer_store_dword v2, off, s[20:23], 0 offset:100 ; 4-byte Folded Spill
	v_mad_u64_u32 v[1:2], s[16:17], v1, s11, v[0:1]
	buffer_store_dword v1, off, s[20:23], 0 offset:104 ; 4-byte Folded Spill
	s_nop 0
	buffer_store_dword v2, off, s[20:23], 0 offset:108 ; 4-byte Folded Spill
	v_min_i32_e32 v1, s9, v9
	v_mul_lo_u32 v2, v1, s4
	v_add_u32_e32 v13, 24, v48
	v_add_u32_e32 v14, 32, v48
	;; [unrolled: 1-line block ×3, first 2 shown]
	buffer_store_dword v2, off, s[20:23], 0 offset:112 ; 4-byte Folded Spill
	v_mad_u64_u32 v[1:2], s[16:17], v1, s11, v[0:1]
	buffer_store_dword v1, off, s[20:23], 0 offset:116 ; 4-byte Folded Spill
	s_nop 0
	buffer_store_dword v2, off, s[20:23], 0 offset:120 ; 4-byte Folded Spill
	v_min_i32_e32 v1, s9, v10
	v_mul_lo_u32 v2, v1, s4
	v_add_u32_e32 v16, 48, v48
	v_add_u32_e32 v17, 56, v48
	v_lshlrev_b32_e32 v18, 4, v48
	buffer_store_dword v2, off, s[20:23], 0 offset:124 ; 4-byte Folded Spill
	v_mad_u64_u32 v[1:2], s[16:17], v1, s11, v[0:1]
	buffer_store_dword v1, off, s[20:23], 0 offset:128 ; 4-byte Folded Spill
	s_nop 0
	buffer_store_dword v2, off, s[20:23], 0 offset:132 ; 4-byte Folded Spill
	v_min_i32_e32 v1, s9, v13
	v_mul_lo_u32 v2, v1, s4
	v_and_b32_e32 v3, 1, v56
	v_and_b32_e32 v27, 28, v0
	v_add_u32_e32 v5, 8, v57
	buffer_store_dword v2, off, s[20:23], 0 offset:136 ; 4-byte Folded Spill
	v_mad_u64_u32 v[1:2], s[16:17], v1, s11, v[0:1]
	buffer_store_dword v1, off, s[20:23], 0 offset:140 ; 4-byte Folded Spill
	s_nop 0
	buffer_store_dword v2, off, s[20:23], 0 offset:144 ; 4-byte Folded Spill
	v_min_i32_e32 v1, s9, v14
	v_mul_lo_u32 v2, v1, s4
	v_cvt_f64_u32_e32 v[5:6], v5
	v_add_u32_e32 v7, 16, v57
	v_cvt_f64_u32_e32 v[7:8], v7
	buffer_store_dword v2, off, s[20:23], 0 offset:148 ; 4-byte Folded Spill
	v_mad_u64_u32 v[1:2], s[16:17], v1, s11, v[0:1]
	buffer_store_dword v1, off, s[20:23], 0 offset:152 ; 4-byte Folded Spill
	s_nop 0
	buffer_store_dword v2, off, s[20:23], 0 offset:156 ; 4-byte Folded Spill
	v_min_i32_e32 v1, s9, v15
	v_mul_lo_u32 v2, v1, s4
	v_lshlrev_b32_e32 v34, 7, v48
	s_movk_i32 s5, 0x54
	v_lshrrev_b32_e32 v105, 4, v56
	buffer_store_dword v2, off, s[20:23], 0 offset:160 ; 4-byte Folded Spill
	v_mad_u64_u32 v[1:2], s[16:17], v1, s11, v[0:1]
	buffer_store_dword v1, off, s[20:23], 0 offset:164 ; 4-byte Folded Spill
	s_nop 0
	buffer_store_dword v2, off, s[20:23], 0 offset:168 ; 4-byte Folded Spill
	v_min_i32_e32 v1, s9, v16
	v_mul_lo_u32 v2, v1, s4
	s_mov_b32 s7, 0
	v_mov_b32_e32 v50, 0
	v_mov_b32_e32 v94, 15
	buffer_store_dword v2, off, s[20:23], 0 offset:172 ; 4-byte Folded Spill
	v_mad_u64_u32 v[1:2], s[16:17], v1, s11, v[0:1]
	buffer_store_dword v1, off, s[20:23], 0 offset:176 ; 4-byte Folded Spill
	s_nop 0
	buffer_store_dword v2, off, s[20:23], 0 offset:180 ; 4-byte Folded Spill
	v_min_i32_e32 v1, s9, v17
	v_mul_lo_u32 v2, v1, s4
	v_mov_b32_e32 v103, 4
	v_mov_b32_e32 v80, 0
	v_mov_b32_e32 v59, 0
	buffer_store_dword v2, off, s[20:23], 0 offset:184 ; 4-byte Folded Spill
	v_mad_u64_u32 v[1:2], s[16:17], v1, s11, v[0:1]
	buffer_store_dword v1, off, s[20:23], 0 offset:188 ; 4-byte Folded Spill
	s_nop 0
	buffer_store_dword v2, off, s[20:23], 0 offset:192 ; 4-byte Folded Spill
	v_add_u32_e32 v1, 64, v48
	v_min_i32_e32 v1, s9, v1
	v_mul_lo_u32 v2, v1, s4
	v_mov_b32_e32 v52, 0
	v_mov_b32_e32 v46, 0
	v_mov_b32_e32 v42, 0
	buffer_store_dword v2, off, s[20:23], 0 offset:196 ; 4-byte Folded Spill
	v_mad_u64_u32 v[1:2], s[16:17], v1, s11, v[0:1]
	buffer_store_dword v1, off, s[20:23], 0 offset:200 ; 4-byte Folded Spill
	s_nop 0
	buffer_store_dword v2, off, s[20:23], 0 offset:204 ; 4-byte Folded Spill
	v_add_u32_e32 v1, 0x48, v48
	;; [unrolled: 11-line block ×8, first 2 shown]
	v_min_i32_e32 v1, s9, v1
	v_mul_lo_u32 v2, v1, s4
	v_mov_b32_e32 v43, 0
	v_mov_b32_e32 v39, 0
	buffer_store_dword v2, off, s[20:23], 0 offset:280 ; 4-byte Folded Spill
	v_mad_u64_u32 v[1:2], s[16:17], v1, s11, v[0:1]
	buffer_store_dword v1, off, s[20:23], 0 offset:284 ; 4-byte Folded Spill
	s_nop 0
	buffer_store_dword v2, off, s[20:23], 0 offset:288 ; 4-byte Folded Spill
	v_lshrrev_b32_e32 v1, 1, v56
	v_add_u32_e32 v1, v1, v18
	v_and_b32_e32 v1, 0x7f, v1
	v_min_i32_e32 v1, s9, v1
	v_mul_lo_u32 v2, v1, s4
	buffer_store_dword v3, off, s[20:23], 0 offset:292 ; 4-byte Folded Spill
	v_lshlrev_b32_e32 v3, 2, v3
	s_movk_i32 s11, 0x7280
	buffer_store_dword v2, off, s[20:23], 0 offset:296 ; 4-byte Folded Spill
	v_ashrrev_i32_e32 v2, 31, v1
	v_lshrrev_b32_e32 v2, 28, v2
	v_add_u32_e32 v2, v1, v2
	v_ashrrev_i32_e32 v2, 4, v2
	v_lshlrev_b32_e32 v2, 2, v2
	v_add3_u32 v19, v2, v3, s11
	v_and_b32_e32 v2, 7, v56
	v_cmp_lt_u32_e32 vcc, 3, v2
	v_lshlrev_b32_e32 v20, 3, v1
	v_lshrrev_b32_e32 v1, 3, v56
	v_cndmask_b32_e64 v3, 0, 1, vcc
	buffer_store_dword v1, off, s[20:23], 0 offset:300 ; 4-byte Folded Spill
	v_lshl_add_u32 v1, v48, 2, v1
	buffer_store_dword v3, off, s[20:23], 0 offset:304 ; 4-byte Folded Spill
	v_and_b32_e32 v3, 12, v0
	buffer_store_dword v3, off, s[20:23], 0 offset:308 ; 4-byte Folded Spill
	v_min_i32_e32 v3, s9, v1
	v_mul_lo_u32 v4, v3, s4
	v_lshlrev_b32_e32 v22, 5, v3
	v_lshlrev_b32_e32 v2, 2, v2
	s_movk_i32 s11, 0x6200
	buffer_store_dword v4, off, s[20:23], 0 offset:312 ; 4-byte Folded Spill
	v_ashrrev_i32_e32 v4, 31, v3
	v_lshrrev_b32_e32 v4, 30, v4
	v_add_u32_e32 v4, v3, v4
	v_add_u32_e32 v3, 32, v1
	v_and_b32_e32 v4, -4, v4
	v_min_i32_e32 v3, s9, v3
	v_add3_u32 v21, v4, v2, s11
	v_mul_lo_u32 v4, v3, s4
	v_lshlrev_b32_e32 v24, 5, v3
	v_mov_b32_e32 v0, 0x4200
	v_add_co_u32_e32 v35, vcc, s2, v27
	buffer_store_dword v4, off, s[20:23], 0 offset:316 ; 4-byte Folded Spill
	v_ashrrev_i32_e32 v4, 31, v3
	v_lshrrev_b32_e32 v4, 30, v4
	v_add_u32_e32 v4, v3, v4
	v_add_u32_e32 v3, 64, v1
	v_and_b32_e32 v4, -4, v4
	v_min_i32_e32 v3, s9, v3
	v_add3_u32 v23, v4, v2, s11
	v_mul_lo_u32 v4, v3, s4
	v_add_u32_e32 v1, 0x60, v1
	v_min_i32_e32 v1, s9, v1
	v_lshlrev_b32_e32 v26, 5, v3
	buffer_store_dword v4, off, s[20:23], 0 offset:320 ; 4-byte Folded Spill
	v_ashrrev_i32_e32 v4, 31, v3
	v_lshrrev_b32_e32 v4, 30, v4
	v_add_u32_e32 v4, v3, v4
	v_mul_lo_u32 v3, v1, s4
	v_and_b32_e32 v4, -4, v4
	s_add_i32 s9, s10, -1
	v_add3_u32 v25, v4, v2, s11
	buffer_store_dword v3, off, s[20:23], 0 offset:324 ; 4-byte Folded Spill
	v_ashrrev_i32_e32 v3, 31, v1
	v_lshrrev_b32_e32 v3, 30, v3
	v_add_u32_e32 v3, v1, v3
	v_and_b32_e32 v3, -4, v3
	v_add3_u32 v28, v3, v2, s11
	v_and_b32_e32 v3, 31, v56
	v_lshlrev_b32_e32 v29, 5, v1
	v_cvt_f64_i32_e32 v[1:2], s9
	v_lshl_or_b32 v33, v3, 2, v0
	v_cvt_f64_u32_e32 v[3:4], v57
	v_lshrrev_b32_e32 v0, 2, v56
	v_lshl_add_u32 v0, v48, 3, v0
	v_min_f64 v[5:6], v[5:6], v[1:2]
	v_min_f64 v[3:4], v[3:4], v[1:2]
	v_and_b32_e32 v11, 63, v0
	v_or_b32_e32 v12, s15, v11
	v_and_b32_e32 v0, 3, v56
	v_min_i32_e32 v12, s9, v12
	v_min_f64 v[7:8], v[7:8], v[1:2]
	v_mad_u64_u32 v[30:31], s[16:17], v12, s8, v[0:1]
	v_cvt_i32_f64_e32 v3, v[3:4]
	v_lshlrev_b32_e32 v0, 2, v0
	v_lshl_or_b32 v0, v11, 4, v0
	v_add_u32_e32 v0, 0x76a0, v0
	buffer_store_dword v30, off, s[20:23], 0 offset:332 ; 4-byte Folded Spill
	s_nop 0
	buffer_store_dword v31, off, s[20:23], 0 offset:336 ; 4-byte Folded Spill
	buffer_store_dword v0, off, s[20:23], 0 offset:4 ; 4-byte Folded Spill
	v_cvt_i32_f64_e32 v0, v[5:6]
	v_mul_lo_u32 v3, s8, v3
	v_lshlrev_b32_e32 v30, 7, v9
	v_lshlrev_b32_e32 v31, 7, v10
	v_mul_lo_u32 v0, s8, v0
	buffer_store_dword v3, off, s[20:23], 0 offset:8 ; 4-byte Folded Spill
	v_cvt_i32_f64_e32 v3, v[7:8]
	buffer_store_dword v48, off, s[20:23], 0 offset:420 ; 4-byte Folded Spill
	buffer_store_dword v0, off, s[20:23], 0 offset:12 ; 4-byte Folded Spill
	;; [unrolled: 1-line block ×3, first 2 shown]
	v_mul_lo_u32 v0, s8, v3
	buffer_store_dword v0, off, s[20:23], 0 offset:16 ; 4-byte Folded Spill
	v_add_u32_e32 v0, 24, v57
	v_cvt_f64_u32_e32 v[3:4], v0
	v_add_u32_e32 v0, 32, v57
	v_cvt_f64_u32_e32 v[5:6], v0
	v_add_u32_e32 v0, 40, v57
	v_min_f64 v[3:4], v[3:4], v[1:2]
	v_cvt_f64_u32_e32 v[7:8], v0
	v_add_u32_e32 v0, 48, v57
	v_cvt_f64_u32_e32 v[9:10], v0
	v_add_u32_e32 v0, 56, v57
	v_min_f64 v[5:6], v[5:6], v[1:2]
	v_cvt_f64_u32_e32 v[11:12], v0
	v_min_f64 v[7:8], v[7:8], v[1:2]
	v_cvt_i32_f64_e32 v32, v[3:4]
	v_min_f64 v[3:4], v[9:10], v[1:2]
	v_min_f64 v[0:1], v[11:12], v[1:2]
	v_add_u32_e32 v11, 64, v56
	v_mul_lo_u32 v2, s8, v32
	v_cvt_i32_f64_e32 v5, v[5:6]
	v_lshlrev_b32_e32 v12, 1, v11
	v_cvt_i32_f64_e32 v6, v[7:8]
	v_add_u32_e32 v7, 32, v56
	v_mul_lo_u32 v5, s8, v5
	v_cvt_i32_f64_e32 v3, v[3:4]
	v_cvt_i32_f64_e32 v0, v[0:1]
	v_mul_lo_u32 v4, s8, v6
	v_lshrrev_b32_e32 v10, 3, v7
	buffer_store_dword v5, off, s[20:23], 0 offset:24 ; 4-byte Folded Spill
	v_lshlrev_b32_e32 v5, 7, v14
	v_mul_lo_u32 v3, s8, v3
	v_mul_lo_u32 v0, s8, v0
	v_add_u32_e32 v14, 0x60, v56
	buffer_store_dword v10, off, s[20:23], 0 offset:344 ; 4-byte Folded Spill
	v_lshrrev_b32_e32 v10, 3, v11
	buffer_store_dword v10, off, s[20:23], 0 offset:412 ; 4-byte Folded Spill
	v_lshrrev_b32_e32 v10, 3, v14
	buffer_store_dword v4, off, s[20:23], 0 offset:28 ; 4-byte Folded Spill
	v_mul_u32_u24_e32 v4, 33, v56
	buffer_store_dword v10, off, s[20:23], 0 offset:416 ; 4-byte Folded Spill
	v_mov_b32_e32 v10, s3
	v_addc_co_u32_e32 v36, vcc, 0, v10, vcc
	v_lshlrev_b32_e32 v4, 2, v4
	buffer_store_dword v2, off, s[20:23], 0 offset:20 ; 4-byte Folded Spill
	buffer_store_dword v3, off, s[20:23], 0 offset:32 ; 4-byte Folded Spill
	;; [unrolled: 1-line block ×4, first 2 shown]
	s_nop 0
	buffer_store_dword v36, off, s[20:23], 0 offset:44 ; 4-byte Folded Spill
	buffer_store_dword v4, off, s[20:23], 0 offset:348 ; 4-byte Folded Spill
	v_add_u32_e32 v4, 0x76a0, v18
	buffer_store_dword v4, off, s[20:23], 0 offset:48 ; 4-byte Folded Spill
	buffer_store_dword v34, off, s[20:23], 0 offset:340 ; 4-byte Folded Spill
	v_add_u32_e32 v4, 0x4200, v34
	v_lshlrev_b32_e32 v8, 1, v7
	v_lshrrev_b32_e32 v9, 4, v7
	buffer_store_dword v4, off, s[20:23], 0 offset:52 ; 4-byte Folded Spill
	v_lshlrev_b32_e32 v4, 5, v56
	v_and_b32_e32 v7, 0x1fc, v7
	v_add_u32_e32 v7, v4, v7
	buffer_store_dword v7, off, s[20:23], 0 offset:356 ; 4-byte Folded Spill
	v_and_b32_e32 v7, 0x1fc, v11
	v_add_u32_e32 v7, v4, v7
	v_and_b32_e32 v10, 0xfc, v56
	buffer_store_dword v7, off, s[20:23], 0 offset:360 ; 4-byte Folded Spill
	v_and_b32_e32 v7, 0x1fc, v14
	v_add_u32_e32 v10, v4, v10
	v_add_u32_e32 v4, v4, v7
	buffer_store_dword v4, off, s[20:23], 0 offset:364 ; 4-byte Folded Spill
	v_add_u32_e32 v4, v19, v20
	buffer_store_dword v4, off, s[20:23], 0 offset:368 ; 4-byte Folded Spill
	;; [unrolled: 2-line block ×4, first 2 shown]
	v_add_u32_e32 v4, v25, v26
	v_lshlrev_b32_e32 v2, 7, v13
	v_lshlrev_b32_e32 v1, 7, v15
	buffer_store_dword v4, off, s[20:23], 0 offset:380 ; 4-byte Folded Spill
	v_add_u32_e32 v4, v28, v29
	v_lshlrev_b32_e32 v3, 7, v16
	buffer_store_dword v4, off, s[20:23], 0 offset:384 ; 4-byte Folded Spill
	v_add_u32_e32 v4, v33, v30
	v_add_u32_e32 v2, v33, v2
	;; [unrolled: 1-line block ×3, first 2 shown]
	buffer_store_dword v4, off, s[20:23], 0 offset:56 ; 4-byte Folded Spill
	v_add_u32_e32 v4, v33, v31
	buffer_store_dword v2, off, s[20:23], 0 offset:64 ; 4-byte Folded Spill
	v_add_u32_e32 v2, v33, v5
	;; [unrolled: 2-line block ×3, first 2 shown]
	buffer_store_dword v56, off, s[20:23], 0 offset:424 ; 4-byte Folded Spill
	buffer_store_dword v10, off, s[20:23], 0 offset:352 ; 4-byte Folded Spill
	;; [unrolled: 1-line block ×6, first 2 shown]
	buffer_load_dword v10, off, s[20:23], 0 offset:352 ; 4-byte Folded Reload
	v_lshlrev_b32_e32 v0, 7, v17
	v_lshlrev_b32_e32 v6, 1, v56
	v_add_u32_e32 v0, v33, v0
	buffer_store_dword v0, off, s[20:23], 0 offset:80 ; 4-byte Folded Spill
	v_lshlrev_b32_e32 v0, 2, v6
	buffer_store_dword v0, off, s[20:23], 0 offset:388 ; 4-byte Folded Spill
	v_lshlrev_b32_e32 v0, 2, v9
	v_lshrrev_b32_e32 v13, 4, v11
	buffer_store_dword v0, off, s[20:23], 0 offset:392 ; 4-byte Folded Spill
	v_lshlrev_b32_e32 v0, 2, v8
	buffer_store_dword v0, off, s[20:23], 0 offset:396 ; 4-byte Folded Spill
	v_lshlrev_b32_e32 v0, 2, v13
	v_lshrrev_b32_e32 v16, 4, v14
	buffer_store_dword v0, off, s[20:23], 0 offset:400 ; 4-byte Folded Spill
	v_lshlrev_b32_e32 v0, 2, v12
	v_lshlrev_b32_e32 v15, 1, v14
	buffer_store_dword v0, off, s[20:23], 0 offset:404 ; 4-byte Folded Spill
	v_lshlrev_b32_e32 v0, 2, v16
	s_mov_b32 s8, 0x1010101
	buffer_store_dword v0, off, s[20:23], 0 offset:408 ; 4-byte Folded Spill
	v_lshlrev_b32_e32 v0, 2, v15
	v_mov_b32_e32 v34, 0
	v_mov_b32_e32 v33, 0
	;; [unrolled: 1-line block ×6, first 2 shown]
	buffer_store_dword v0, off, s[20:23], 0 ; 4-byte Folded Spill
	buffer_store_dword v105, off, s[20:23], 0 offset:92 ; 4-byte Folded Spill
	s_branch .LBB128_6
.LBB128_5:                              ;   in Loop: Header=BB128_6 Depth=1
	buffer_load_dword v105, off, s[20:23], 0 offset:92 ; 4-byte Folded Reload
	s_add_i32 s7, s7, 2
	s_cmp_ge_i32 s7, s4
	s_cbranch_scc1 .LBB128_16
.LBB128_6:                              ; =>This Loop Header: Depth=1
                                        ;     Child Loop BB128_7 Depth 2
                                        ;     Child Loop BB128_9 Depth 2
                                        ;     Child Loop BB128_12 Depth 2
                                        ;     Child Loop BB128_14 Depth 2
	buffer_load_dword v0, off, s[20:23], 0 offset:100 ; 4-byte Folded Reload
	buffer_load_dword v6, off, s[20:23], 0 offset:96 ; 4-byte Folded Reload
	s_mul_i32 s11, s7, 0x54
	s_mul_hi_u32 s9, s7, 0x54
	s_add_u32 s16, s0, s11
	s_addc_u32 s17, s1, s9
	v_mov_b32_e32 v2, s16
	v_mov_b32_e32 v3, s17
	s_waitcnt vmcnt(2)
	v_mad_u64_u32 v[4:5], s[16:17], v105, s5, v[2:3]
	s_lshl_b32 s9, s7, 3
	s_mov_b32 s11, 0
	s_waitcnt vmcnt(1)
	v_mad_i64_i32 v[0:1], s[16:17], v0, s5, v[4:5]
	s_waitcnt vmcnt(0)
	v_add_co_u32_e32 v0, vcc, v0, v6
	v_addc_co_u32_e32 v1, vcc, 0, v1, vcc
	global_load_dword v0, v[0:1], off offset:16
	s_nop 0
	buffer_load_dword v7, off, s[20:23], 0 offset:104 ; 4-byte Folded Reload
	buffer_load_dword v8, off, s[20:23], 0 offset:108 ; 4-byte Folded Reload
	s_waitcnt vmcnt(1)
	ds_write_b32 v7, v0
	buffer_load_dword v0, off, s[20:23], 0 offset:112 ; 4-byte Folded Reload
	s_waitcnt vmcnt(0)
	v_mad_i64_i32 v[0:1], s[16:17], v0, s5, v[4:5]
	v_add_co_u32_e32 v0, vcc, v0, v6
	v_addc_co_u32_e32 v1, vcc, 0, v1, vcc
	global_load_dword v0, v[0:1], off offset:16
	s_nop 0
	buffer_load_dword v7, off, s[20:23], 0 offset:116 ; 4-byte Folded Reload
	buffer_load_dword v8, off, s[20:23], 0 offset:120 ; 4-byte Folded Reload
	s_waitcnt vmcnt(1)
	ds_write_b32 v7, v0
	buffer_load_dword v0, off, s[20:23], 0 offset:124 ; 4-byte Folded Reload
	s_waitcnt vmcnt(0)
	v_mad_i64_i32 v[0:1], s[16:17], v0, s5, v[4:5]
	;; [unrolled: 11-line block ×15, first 2 shown]
	v_add_co_u32_e32 v0, vcc, v0, v6
	v_addc_co_u32_e32 v1, vcc, 0, v1, vcc
	global_load_dword v0, v[0:1], off offset:16
	s_nop 0
	buffer_load_dword v4, off, s[20:23], 0 offset:284 ; 4-byte Folded Reload
	buffer_load_dword v5, off, s[20:23], 0 offset:288 ; 4-byte Folded Reload
	s_waitcnt vmcnt(1)
	ds_write_b32 v4, v0
	buffer_load_dword v0, off, s[20:23], 0 offset:296 ; 4-byte Folded Reload
	buffer_load_dword v4, off, s[20:23], 0 offset:292 ; 4-byte Folded Reload
	s_waitcnt vmcnt(1)
	v_mad_i64_i32 v[0:1], s[16:17], v0, s5, v[2:3]
	s_waitcnt vmcnt(0)
	v_mad_u64_u32 v[0:1], s[16:17], v4, s5, v[0:1]
	global_load_dword v0, v[0:1], off offset:80
	s_nop 0
	buffer_load_dword v1, off, s[20:23], 0 offset:368 ; 4-byte Folded Reload
	s_waitcnt vmcnt(0)
	ds_write_b32 v1, v0
	buffer_load_dword v0, off, s[20:23], 0 offset:304 ; 4-byte Folded Reload
	s_waitcnt vmcnt(0)
	v_mad_u64_u32 v[0:1], s[16:17], v0, s5, v[2:3]
	buffer_load_dword v2, off, s[20:23], 0 offset:308 ; 4-byte Folded Reload
	s_waitcnt vmcnt(0)
	v_add_co_u32_e32 v0, vcc, v0, v2
	buffer_load_dword v2, off, s[20:23], 0 offset:312 ; 4-byte Folded Reload
	v_addc_co_u32_e32 v1, vcc, 0, v1, vcc
	s_waitcnt vmcnt(0)
	v_mad_i64_i32 v[2:3], s[16:17], v2, s5, v[0:1]
	global_load_dword v2, v[2:3], off
	s_nop 0
	buffer_load_dword v3, off, s[20:23], 0 offset:372 ; 4-byte Folded Reload
	s_waitcnt vmcnt(0)
	ds_write_b32 v3, v2
	buffer_load_dword v2, off, s[20:23], 0 offset:316 ; 4-byte Folded Reload
	s_waitcnt vmcnt(0)
	v_mad_i64_i32 v[2:3], s[16:17], v2, s5, v[0:1]
	global_load_dword v2, v[2:3], off
	s_nop 0
	buffer_load_dword v3, off, s[20:23], 0 offset:376 ; 4-byte Folded Reload
	s_waitcnt vmcnt(0)
	ds_write_b32 v3, v2
	buffer_load_dword v2, off, s[20:23], 0 offset:320 ; 4-byte Folded Reload
	;; [unrolled: 8-line block ×4, first 2 shown]
	buffer_load_dword v1, off, s[20:23], 0 offset:336 ; 4-byte Folded Reload
	s_waitcnt vmcnt(1)
	v_add_u32_e32 v6, s9, v0
	buffer_load_dword v0, off, s[20:23], 0 offset:300 ; 4-byte Folded Reload
	s_waitcnt vmcnt(0)
	v_add_u32_e32 v2, s9, v0
	buffer_load_dword v0, off, s[20:23], 0 offset:8 ; 4-byte Folded Reload
	buffer_load_dword v4, off, s[20:23], 0 offset:40 ; 4-byte Folded Reload
	;; [unrolled: 1-line block ×3, first 2 shown]
	s_waitcnt vmcnt(2)
	v_add_u32_e32 v0, v2, v0
	s_waitcnt vmcnt(0)
	v_mad_i64_i32 v[0:1], s[16:17], v0, 36, v[4:5]
	global_load_dword v0, v[0:1], off offset:4
	s_nop 0
	buffer_load_dword v1, off, s[20:23], 0 offset:328 ; 4-byte Folded Reload
	buffer_load_dword v3, off, s[20:23], 0 offset:340 ; 4-byte Folded Reload
	s_waitcnt vmcnt(0)
	v_add_u32_e32 v1, v1, v3
	ds_write_b32 v1, v0
	buffer_load_dword v0, off, s[20:23], 0 offset:12 ; 4-byte Folded Reload
	s_waitcnt vmcnt(0)
	v_add_u32_e32 v0, v2, v0
	buffer_store_dword v1, off, s[20:23], 0 offset:88 ; 4-byte Folded Spill
	v_mad_i64_i32 v[0:1], s[16:17], v0, 36, v[4:5]
	buffer_store_dword v6, off, s[20:23], 0 offset:84 ; 4-byte Folded Spill
	global_load_dword v0, v[0:1], off offset:4
	s_nop 0
	buffer_load_dword v1, off, s[20:23], 0 offset:56 ; 4-byte Folded Reload
	s_waitcnt vmcnt(0)
	ds_write_b32 v1, v0
	buffer_load_dword v0, off, s[20:23], 0 offset:16 ; 4-byte Folded Reload
	s_waitcnt vmcnt(0)
	v_add_u32_e32 v0, v2, v0
	v_mad_i64_i32 v[0:1], s[16:17], v0, 36, v[4:5]
	global_load_dword v0, v[0:1], off offset:4
	s_nop 0
	buffer_load_dword v1, off, s[20:23], 0 offset:60 ; 4-byte Folded Reload
	s_waitcnt vmcnt(0)
	ds_write_b32 v1, v0
	buffer_load_dword v0, off, s[20:23], 0 offset:20 ; 4-byte Folded Reload
	s_waitcnt vmcnt(0)
	v_add_u32_e32 v0, v2, v0
	v_mad_i64_i32 v[0:1], s[16:17], v0, 36, v[4:5]
	;; [unrolled: 9-line block ×6, first 2 shown]
	global_load_dword v0, v[0:1], off offset:4
	s_nop 0
	buffer_load_dword v1, off, s[20:23], 0 offset:80 ; 4-byte Folded Reload
	s_waitcnt vmcnt(0)
	ds_write_b32 v1, v0
	v_mad_u64_u32 v[0:1], s[16:17], v6, 36, s[2:3]
	global_load_dword v0, v[0:1], off
	s_nop 0
	buffer_load_dword v1, off, s[20:23], 0 offset:4 ; 4-byte Folded Reload
	s_waitcnt vmcnt(1)
	v_cvt_f32_f16_e32 v0, v0
	s_waitcnt vmcnt(0)
	ds_write_b32 v1, v0
	s_waitcnt lgkmcnt(0)
	s_barrier
	buffer_load_dword v107, off, s[20:23], 0 offset:52 ; 4-byte Folded Reload
	buffer_load_dword v106, off, s[20:23], 0 offset:48 ; 4-byte Folded Reload
	buffer_load_dword v57, off, s[20:23], 0 offset:348 ; 4-byte Folded Reload
	buffer_load_dword v56, off, s[20:23], 0 offset:356 ; 4-byte Folded Reload
	buffer_load_dword v27, off, s[20:23], 0 offset:360 ; 4-byte Folded Reload
	buffer_load_dword v124, off, s[20:23], 0 offset:364 ; 4-byte Folded Reload
	buffer_load_dword v125, off, s[20:23], 0 offset:388 ; 4-byte Folded Reload
	buffer_load_dword v126, off, s[20:23], 0 offset:392 ; 4-byte Folded Reload
	buffer_load_dword v127, off, s[20:23], 0 offset:396 ; 4-byte Folded Reload
	buffer_load_dword v48, off, s[20:23], 0 offset:400 ; 4-byte Folded Reload
	buffer_load_dword v78, off, s[20:23], 0 offset:404 ; 4-byte Folded Reload
	buffer_load_dword v81, off, s[20:23], 0 offset:408 ; 4-byte Folded Reload
.LBB128_7:                              ;   Parent Loop BB128_6 Depth=1
                                        ; =>  This Inner Loop Header: Depth=2
	s_and_b32 s17, s11, 0x3ffffff8
	s_waitcnt vmcnt(9)
	v_lshl_add_u32 v28, s17, 2, v57
	ds_read2_b32 v[29:30], v106 offset1:32
	ds_read_b128 v[6:9], v107
	ds_read_b128 v[2:5], v107 offset:16
	ds_read2_b32 v[0:1], v28 offset1:1
	s_lshr_b32 s17, s11, 2
	s_and_b32 s17, s17, 0x3ffffffc
	s_addk_i32 s17, 0x7280
	v_lshlrev_b32_e32 v104, 2, v105
	s_waitcnt lgkmcnt(0)
	v_ashrrev_i32_e32 v0, s11, v0
	v_and_b32_e32 v77, 0x3030303, v0
	v_ashrrev_i32_e32 v0, s11, v1
	v_and_b32_e32 v24, 0x3030303, v0
	ds_read2_b32 v[0:1], v28 offset0:2 offset1:3
	v_add_u32_e32 v12, 0x1080, v28
	s_and_b32 s16, s11, -16
	s_add_i32 s16, s11, s16
	ds_read2_b32 v[12:13], v12 offset1:1
	s_waitcnt lgkmcnt(1)
	v_ashrrev_i32_e32 v0, s11, v0
	v_and_b32_e32 v21, 0x3030303, v0
	v_ashrrev_i32_e32 v0, s11, v1
	v_and_b32_e32 v73, 0x3030303, v0
	ds_read2_b32 v[0:1], v28 offset0:4 offset1:5
	s_waitcnt lgkmcnt(1)
	v_ashrrev_i32_e32 v12, s11, v12
	v_and_b32_e32 v26, 0x3030303, v12
	v_ashrrev_i32_e32 v12, s11, v13
	v_and_b32_e32 v79, 0x3030303, v12
	s_waitcnt lgkmcnt(0)
	v_ashrrev_i32_e32 v0, s11, v0
	v_and_b32_e32 v22, 0x3030303, v0
	v_ashrrev_i32_e32 v0, s11, v1
	v_and_b32_e32 v74, 0x3030303, v0
	ds_read2_b32 v[0:1], v28 offset0:6 offset1:7
	v_add_u32_e32 v12, 0x1088, v28
	ds_read2_b32 v[12:13], v12 offset1:1
	s_waitcnt lgkmcnt(1)
	v_ashrrev_i32_e32 v0, s11, v0
	v_and_b32_e32 v23, 0x3030303, v0
	v_ashrrev_i32_e32 v0, s11, v1
	s_waitcnt vmcnt(5)
	v_add3_u32 v1, s17, v104, v125
	ds_read_b32 v25, v1
	v_and_b32_e32 v75, 0x3030303, v0
	v_add_u32_e32 v0, 0x6200, v10
	v_add_u32_e32 v0, s16, v0
	s_waitcnt lgkmcnt(1)
	v_ashrrev_i32_e32 v12, s11, v12
	v_and_b32_e32 v82, 0x3030303, v12
	v_ashrrev_i32_e32 v12, s11, v13
	v_and_b32_e32 v83, 0x3030303, v12
	v_add_u32_e32 v12, 0x1090, v28
	ds_read2_b32 v[12:13], v12 offset1:1
	v_dot4_i32_i8 v1, v77, v6, 0
	v_dot4_i32_i8 v1, v24, v7, v1
	;; [unrolled: 1-line block ×4, first 2 shown]
	s_waitcnt lgkmcnt(0)
	v_ashrrev_i32_e32 v12, s11, v12
	v_and_b32_e32 v84, 0x3030303, v12
	v_ashrrev_i32_e32 v12, s11, v13
	v_and_b32_e32 v85, 0x3030303, v12
	v_add_u32_e32 v12, 0x1098, v28
	ds_read2_b32 v[12:13], v12 offset1:1
	v_dot4_i32_i8 v1, v22, v2, 0
	v_dot4_i32_i8 v1, v74, v3, v1
	;; [unrolled: 1-line block ×4, first 2 shown]
	s_waitcnt lgkmcnt(0)
	v_ashrrev_i32_e32 v12, s11, v12
	v_and_b32_e32 v87, 0x3030303, v12
	v_ashrrev_i32_e32 v12, s11, v13
	v_and_b32_e32 v88, 0x3030303, v12
	v_add_u32_e32 v12, 0x6600, v56
	v_add_u32_e32 v90, s16, v12
	s_waitcnt vmcnt(3)
	v_add3_u32 v12, s17, v126, v127
	ds_read_b32 v102, v12
	v_dot4_i32_i8 v12, v26, v6, 0
	v_dot4_i32_i8 v12, v79, v7, v12
	v_dot4_i32_i8 v12, v82, v8, v12
	v_dot4_i32_i8 v63, v83, v9, v12
	v_dot4_i32_i8 v12, v84, v2, 0
	v_dot4_i32_i8 v12, v85, v3, v12
	v_dot4_i32_i8 v12, v87, v4, v12
	v_dot4_i32_i8 v14, v88, v5, v12
	v_add_u32_e32 v12, 0x2100, v28
	ds_read2_b32 v[12:13], v12 offset1:1
	s_waitcnt lgkmcnt(0)
	v_ashrrev_i32_e32 v12, s11, v12
	v_and_b32_e32 v70, 0x3030303, v12
	v_ashrrev_i32_e32 v12, s11, v13
	v_and_b32_e32 v69, 0x3030303, v12
	v_add_u32_e32 v12, 0x2108, v28
	ds_read2_b32 v[12:13], v12 offset1:1
	s_waitcnt lgkmcnt(0)
	v_ashrrev_i32_e32 v12, s11, v12
	v_and_b32_e32 v19, 0x3030303, v12
	v_ashrrev_i32_e32 v12, s11, v13
	v_and_b32_e32 v20, 0x3030303, v12
	;; [unrolled: 7-line block ×4, first 2 shown]
	v_add_u32_e32 v12, 0x6a00, v27
	v_add_u32_e32 v114, s16, v12
	s_waitcnt vmcnt(1)
	v_add3_u32 v12, s17, v48, v78
	ds_read_b32 v72, v12
	v_dot4_i32_i8 v12, v70, v6, 0
	v_dot4_i32_i8 v12, v69, v7, v12
	;; [unrolled: 1-line block ×8, first 2 shown]
	v_add_u32_e32 v12, 0x3180, v28
	ds_read2_b32 v[12:13], v12 offset1:1
	s_waitcnt lgkmcnt(0)
	v_ashrrev_i32_e32 v12, s11, v12
	v_and_b32_e32 v18, 0x3030303, v12
	v_ashrrev_i32_e32 v12, s11, v13
	v_and_b32_e32 v17, 0x3030303, v12
	v_add_u32_e32 v12, 0x3188, v28
	ds_read2_b32 v[12:13], v12 offset1:1
	s_waitcnt lgkmcnt(0)
	v_ashrrev_i32_e32 v12, s11, v12
	v_and_b32_e32 v16, 0x3030303, v12
	v_ashrrev_i32_e32 v12, s11, v13
	v_and_b32_e32 v15, 0x3030303, v12
	;; [unrolled: 7-line block ×3, first 2 shown]
	v_add_u32_e32 v12, 0x3198, v28
	v_add_u32_e32 v28, 0x6e00, v124
	;; [unrolled: 1-line block ×3, first 2 shown]
	buffer_load_dword v28, off, s[20:23], 0 ; 4-byte Folded Reload
	ds_read2_b32 v[92:93], v12 offset1:1
	s_waitcnt vmcnt(0)
	v_add3_u32 v28, s17, v81, v28
	ds_read_b32 v60, v28
	ds_read_b128 v[120:123], v107 offset:1024
	ds_read_b128 v[108:111], v107 offset:1040
	s_waitcnt lgkmcnt(3)
	v_ashrrev_i32_e32 v12, s11, v92
	v_and_b32_e32 v13, 0x3030303, v12
	v_ashrrev_i32_e32 v12, s11, v93
	ds_read_u16 v93, v0
	ds_read_u16 v90, v90
	s_waitcnt lgkmcnt(2)
	v_dot4_i32_i8 v92, v22, v108, 0
	v_dot4_i32_i8 v92, v74, v109, v92
	;; [unrolled: 1-line block ×3, first 2 shown]
	s_waitcnt lgkmcnt(1)
	v_bfe_u32 v0, v93, 4, 4
	v_dot4_i32_i8 v98, v75, v111, v92
	v_mul_lo_u32 v92, v0, s8
	v_and_b32_e32 v95, 15, v93
	v_and_b32_e32 v95, 0xffff, v95
	v_mul_lo_u32 v11, v95, v11
	v_dot4_i32_i8 v0, v92, v6, 0
	v_dot4_i32_i8 v0, v92, v7, v0
	;; [unrolled: 1-line block ×4, first 2 shown]
	v_and_b32_sdwa v0, v93, v94 dst_sel:DWORD dst_unused:UNUSED_PAD src0_sel:BYTE_1 src1_sel:DWORD
	v_lshrrev_b32_sdwa v93, v103, v93 dst_sel:DWORD dst_unused:UNUSED_PAD src0_sel:DWORD src1_sel:BYTE_1
	v_mul_lo_u32 v93, v93, s8
	v_dot4_i32_i8 v28, v18, v6, 0
	v_dot4_i32_i8 v28, v17, v7, v28
	v_and_b32_e32 v12, 0x3030303, v12
	v_dot4_i32_i8 v96, v93, v2, v96
	v_dot4_i32_i8 v96, v93, v3, v96
	;; [unrolled: 1-line block ×3, first 2 shown]
	v_and_b32_e32 v0, 0xffff, v0
	v_dot4_i32_i8 v96, v93, v4, v96
	v_dot4_i32_i8 v118, v15, v9, v28
	;; [unrolled: 1-line block ×4, first 2 shown]
	v_mad_u64_u32 v[96:97], s[16:17], v0, v1, v[11:12]
	v_dot4_i32_i8 v1, v92, v120, 0
	v_dot4_i32_i8 v28, v61, v3, v28
	v_dot4_i32_i8 v1, v92, v121, v1
	v_dot4_i32_i8 v28, v13, v4, v28
	v_dot4_i32_i8 v1, v92, v122, v1
	v_dot4_i32_i8 v117, v12, v5, v28
	v_dot4_i32_i8 v28, v77, v120, 0
	v_dot4_i32_i8 v1, v92, v123, v1
	v_dot4_i32_i8 v28, v24, v121, v28
	v_dot4_i32_i8 v1, v93, v108, v1
	v_dot4_i32_i8 v28, v21, v122, v28
	v_dot4_i32_i8 v1, v93, v109, v1
	v_dot4_i32_i8 v28, v73, v123, v28
	v_dot4_i32_i8 v1, v93, v110, v1
	v_dot4_i32_i8 v100, v93, v111, v1
	v_mul_lo_u32 v1, v28, v95
	v_cvt_f32_i32_e32 v11, v96
	v_cvt_f32_i32_e32 v99, v99
	v_cvt_f32_f16_sdwa v96, v25 dst_sel:DWORD dst_unused:UNUSED_PAD src0_sel:WORD_1
	v_mad_u64_u32 v[97:98], s[16:17], v98, v0, v[1:2]
	v_mul_f32_e32 v1, v96, v99
	v_fma_mix_f32 v1, v25, v11, -v1 op_sel_hi:[1,0,0]
	v_cvt_f32_i32_e32 v11, v100
	v_fmac_f32_e32 v50, v29, v1
	v_cvt_f32_i32_e32 v1, v97
	s_waitcnt lgkmcnt(0)
	v_and_b32_sdwa v97, v90, v94 dst_sel:DWORD dst_unused:UNUSED_PAD src0_sel:BYTE_1 src1_sel:DWORD
	v_mul_f32_e32 v11, v96, v11
	v_and_b32_e32 v97, 0xffff, v97
	v_fma_mix_f32 v1, v25, v1, -v11 op_sel_hi:[1,0,0]
	v_fmac_f32_e32 v80, v30, v1
	v_dot4_i32_i8 v1, v26, v120, 0
	v_dot4_i32_i8 v1, v79, v121, v1
	v_dot4_i32_i8 v1, v82, v122, v1
	v_dot4_i32_i8 v11, v83, v123, v1
	v_dot4_i32_i8 v1, v84, v108, 0
	v_dot4_i32_i8 v1, v85, v109, v1
	v_dot4_i32_i8 v1, v87, v110, v1
	v_dot4_i32_i8 v28, v88, v111, v1
	v_bfe_u32 v1, v90, 4, 4
	v_mul_lo_u32 v98, v1, s8
	v_dot4_i32_i8 v1, v98, v6, 0
	v_dot4_i32_i8 v1, v98, v7, v1
	v_dot4_i32_i8 v1, v98, v8, v1
	v_dot4_i32_i8 v101, v98, v9, v1
	v_and_b32_e32 v1, 15, v90
	v_and_b32_e32 v100, 0xffff, v1
	v_mul_lo_u32 v1, v100, v63
	v_lshrrev_b32_sdwa v63, v103, v90 dst_sel:DWORD dst_unused:UNUSED_PAD src0_sel:DWORD src1_sel:BYTE_1
	v_mul_lo_u32 v99, v63, s8
	v_mad_u64_u32 v[115:116], s[16:17], v97, v14, v[1:2]
	v_dot4_i32_i8 v1, v98, v120, 0
	v_dot4_i32_i8 v1, v98, v121, v1
	;; [unrolled: 1-line block ×11, first 2 shown]
	v_mul_lo_u32 v1, v11, v100
	v_dot4_i32_i8 v63, v99, v5, v63
	v_cvt_f32_i32_e32 v63, v63
	v_cvt_f32_f16_sdwa v101, v102 dst_sel:DWORD dst_unused:UNUSED_PAD src0_sel:WORD_1
	v_cvt_f32_i32_e32 v14, v115
	v_mad_u64_u32 v[115:116], s[16:17], v28, v97, v[1:2]
	v_mul_f32_e32 v1, v101, v63
	v_fma_mix_f32 v1, v102, v14, -v1 op_sel_hi:[1,0,0]
	v_cvt_f32_i32_e32 v11, v90
	v_fmac_f32_e32 v91, v29, v1
	v_cvt_f32_i32_e32 v1, v115
	ds_read_u16 v28, v114
	v_mul_f32_e32 v11, v101, v11
	v_fma_mix_f32 v1, v102, v1, -v11 op_sel_hi:[1,0,0]
	v_fmac_f32_e32 v76, v30, v1
	v_dot4_i32_i8 v1, v70, v120, 0
	v_dot4_i32_i8 v1, v69, v121, v1
	;; [unrolled: 1-line block ×8, first 2 shown]
	s_waitcnt lgkmcnt(0)
	v_bfe_u32 v1, v28, 4, 4
	v_mul_lo_u32 v115, v1, s8
	v_and_b32_sdwa v90, v28, v94 dst_sel:DWORD dst_unused:UNUSED_PAD src0_sel:BYTE_1 src1_sel:DWORD
	v_and_b32_e32 v114, 0xffff, v90
	v_dot4_i32_i8 v1, v115, v6, 0
	v_dot4_i32_i8 v1, v115, v7, v1
	;; [unrolled: 1-line block ×4, first 2 shown]
	v_and_b32_e32 v1, 15, v28
	v_and_b32_e32 v90, 0xffff, v1
	v_mul_lo_u32 v1, v90, v113
	v_lshrrev_b32_sdwa v28, v103, v28 dst_sel:DWORD dst_unused:UNUSED_PAD src0_sel:DWORD src1_sel:BYTE_1
	v_mul_lo_u32 v116, v28, s8
	v_mad_u64_u32 v[112:113], s[16:17], v114, v112, v[1:2]
	v_dot4_i32_i8 v1, v115, v120, 0
	v_dot4_i32_i8 v1, v115, v121, v1
	;; [unrolled: 1-line block ×9, first 2 shown]
	v_mul_lo_u32 v1, v11, v90
	v_dot4_i32_i8 v28, v116, v3, v28
	v_dot4_i32_i8 v28, v116, v4, v28
	;; [unrolled: 1-line block ×3, first 2 shown]
	v_cvt_f32_i32_e32 v63, v112
	v_cvt_f32_i32_e32 v28, v28
	v_mad_u64_u32 v[112:113], s[16:17], v14, v114, v[1:2]
	v_cvt_f32_f16_sdwa v1, v72 dst_sel:DWORD dst_unused:UNUSED_PAD src0_sel:WORD_1
	v_cvt_f32_i32_e32 v14, v58
	v_mul_f32_e32 v11, v1, v28
	v_fma_mix_f32 v11, v72, v63, -v11 op_sel_hi:[1,0,0]
	v_fmac_f32_e32 v89, v29, v11
	v_cvt_f32_i32_e32 v11, v112
	v_mul_f32_e32 v14, v1, v14
	v_fma_mix_f32 v11, v72, v11, -v14 op_sel_hi:[1,0,0]
	v_dot4_i32_i8 v14, v62, v108, 0
	v_dot4_i32_i8 v14, v61, v109, v14
	;; [unrolled: 1-line block ×4, first 2 shown]
	ds_read_u16 v14, v119
	v_fmac_f32_e32 v71, v30, v11
	v_dot4_i32_i8 v11, v18, v120, 0
	v_dot4_i32_i8 v11, v17, v121, v11
	;; [unrolled: 1-line block ×3, first 2 shown]
	s_waitcnt lgkmcnt(0)
	v_bfe_u32 v58, v14, 4, 4
	v_mul_lo_u32 v112, v58, s8
	v_dot4_i32_i8 v11, v15, v123, v11
	v_dot4_i32_i8 v6, v112, v6, 0
	;; [unrolled: 1-line block ×4, first 2 shown]
	v_and_b32_sdwa v8, v14, v94 dst_sel:DWORD dst_unused:UNUSED_PAD src0_sel:BYTE_1 src1_sel:DWORD
	v_and_b32_e32 v63, 0xffff, v8
	v_lshrrev_b32_sdwa v8, v103, v14 dst_sel:DWORD dst_unused:UNUSED_PAD src0_sel:DWORD src1_sel:BYTE_1
	v_dot4_i32_i8 v7, v112, v9, v6
	v_and_b32_e32 v6, 15, v14
	v_mul_lo_u32 v14, v8, s8
	v_and_b32_e32 v113, 0xffff, v6
	v_mul_lo_u32 v6, v113, v118
	v_dot4_i32_i8 v2, v14, v2, v7
	v_dot4_i32_i8 v2, v14, v3, v2
	;; [unrolled: 1-line block ×4, first 2 shown]
	v_mad_u64_u32 v[2:3], s[16:17], v63, v117, v[6:7]
	v_cvt_f32_i32_e32 v4, v4
                                        ; kill: def $vgpr3 killed $sgpr0 killed $exec
	v_cvt_f32_i32_e32 v5, v2
	v_dot4_i32_i8 v2, v112, v120, 0
	v_dot4_i32_i8 v2, v112, v121, v2
	;; [unrolled: 1-line block ×8, first 2 shown]
	v_mul_lo_u32 v2, v11, v113
	v_cvt_f32_f16_sdwa v11, v60 dst_sel:DWORD dst_unused:UNUSED_PAD src0_sel:WORD_1
	v_mad_u64_u32 v[2:3], s[16:17], v28, v63, v[2:3]
	v_mul_f32_e32 v3, v11, v4
	v_fma_mix_f32 v3, v60, v5, -v3 op_sel_hi:[1,0,0]
	v_fmac_f32_e32 v86, v29, v3
	v_cvt_f32_i32_e32 v3, v6
	v_cvt_f32_i32_e32 v2, v2
	v_mul_f32_e32 v3, v11, v3
	v_fma_mix_f32 v2, v60, v2, -v3 op_sel_hi:[1,0,0]
	v_fmac_f32_e32 v66, v30, v2
	ds_read2_b32 v[29:30], v106 offset0:64 offset1:96
	ds_read_b128 v[6:9], v107 offset:2048
	ds_read_b128 v[2:5], v107 offset:2064
	s_waitcnt lgkmcnt(1)
	v_dot4_i32_i8 v28, v77, v6, 0
	v_dot4_i32_i8 v28, v24, v7, v28
	;; [unrolled: 1-line block ×6, first 2 shown]
	v_mul_lo_u32 v28, v28, v95
	s_waitcnt lgkmcnt(0)
	v_dot4_i32_i8 v108, v22, v2, 0
	v_dot4_i32_i8 v58, v92, v8, v58
	;; [unrolled: 1-line block ×8, first 2 shown]
	v_mad_u64_u32 v[108:109], s[16:17], v108, v0, v[28:29]
	v_dot4_i32_i8 v58, v93, v4, v58
	v_dot4_i32_i8 v58, v93, v5, v58
	v_cvt_f32_i32_e32 v58, v58
	v_cvt_f32_i32_e32 v28, v108
	v_dot4_i32_i8 v108, v84, v2, 0
	v_dot4_i32_i8 v108, v85, v3, v108
	v_mul_f32_e32 v58, v96, v58
	v_fma_mix_f32 v28, v25, v28, -v58 op_sel_hi:[1,0,0]
	v_fmac_f32_e32 v59, v29, v28
	v_dot4_i32_i8 v28, v26, v6, 0
	v_dot4_i32_i8 v28, v79, v7, v28
	v_dot4_i32_i8 v28, v82, v8, v28
	v_dot4_i32_i8 v58, v98, v6, 0
	v_dot4_i32_i8 v28, v83, v9, v28
	v_dot4_i32_i8 v58, v98, v7, v58
	v_mul_lo_u32 v28, v28, v100
	v_dot4_i32_i8 v58, v98, v8, v58
	v_dot4_i32_i8 v58, v98, v9, v58
	v_dot4_i32_i8 v108, v87, v4, v108
	v_dot4_i32_i8 v58, v99, v2, v58
	v_dot4_i32_i8 v108, v88, v5, v108
	v_dot4_i32_i8 v58, v99, v3, v58
	v_mad_u64_u32 v[108:109], s[16:17], v108, v97, v[28:29]
	v_dot4_i32_i8 v58, v99, v4, v58
	v_dot4_i32_i8 v58, v99, v5, v58
	v_cvt_f32_i32_e32 v58, v58
	v_cvt_f32_i32_e32 v28, v108
	v_dot4_i32_i8 v108, v64, v2, 0
	v_dot4_i32_i8 v108, v65, v3, v108
	v_mul_f32_e32 v58, v101, v58
	v_fma_mix_f32 v28, v102, v28, -v58 op_sel_hi:[1,0,0]
	v_fmac_f32_e32 v55, v29, v28
	v_dot4_i32_i8 v28, v70, v6, 0
	v_dot4_i32_i8 v28, v69, v7, v28
	;; [unrolled: 1-line block ×6, first 2 shown]
	v_mul_lo_u32 v28, v28, v90
	v_dot4_i32_i8 v58, v115, v8, v58
	v_dot4_i32_i8 v58, v115, v9, v58
	;; [unrolled: 1-line block ×6, first 2 shown]
	v_mad_u64_u32 v[108:109], s[16:17], v108, v114, v[28:29]
	v_dot4_i32_i8 v58, v116, v4, v58
	v_dot4_i32_i8 v58, v116, v5, v58
	v_cvt_f32_i32_e32 v58, v58
	v_cvt_f32_i32_e32 v28, v108
	v_mul_f32_e32 v58, v1, v58
	v_fma_mix_f32 v28, v72, v28, -v58 op_sel_hi:[1,0,0]
	v_fmac_f32_e32 v54, v29, v28
	v_dot4_i32_i8 v28, v18, v6, 0
	v_dot4_i32_i8 v6, v112, v6, 0
	;; [unrolled: 1-line block ×8, first 2 shown]
	v_mul_lo_u32 v6, v7, v113
	v_dot4_i32_i8 v7, v62, v2, 0
	v_dot4_i32_i8 v2, v14, v2, v8
	;; [unrolled: 1-line block ×8, first 2 shown]
	v_mad_u64_u32 v[2:3], s[16:17], v3, v63, v[6:7]
	v_cvt_f32_i32_e32 v3, v4
	v_cvt_f32_i32_e32 v2, v2
	v_mul_f32_e32 v3, v11, v3
	v_fma_mix_f32 v2, v60, v2, -v3 op_sel_hi:[1,0,0]
	v_fmac_f32_e32 v53, v29, v2
	ds_read_b128 v[6:9], v107 offset:3072
	ds_read_b128 v[2:5], v107 offset:3088
	s_waitcnt lgkmcnt(1)
	v_dot4_i32_i8 v28, v77, v6, 0
	v_dot4_i32_i8 v29, v92, v6, 0
	;; [unrolled: 1-line block ×8, first 2 shown]
	v_mul_lo_u32 v28, v28, v95
	s_waitcnt lgkmcnt(0)
	v_dot4_i32_i8 v58, v22, v2, 0
	v_dot4_i32_i8 v29, v93, v2, v29
	;; [unrolled: 1-line block ×8, first 2 shown]
                                        ; kill: def $vgpr29 killed $sgpr0 killed $exec
	v_mad_u64_u32 v[28:29], s[16:17], v58, v0, v[28:29]
	v_cvt_f32_i32_e32 v29, v108
	v_dot4_i32_i8 v58, v84, v2, 0
	v_cvt_f32_i32_e32 v28, v28
	v_dot4_i32_i8 v58, v85, v3, v58
	v_mul_f32_e32 v29, v96, v29
	v_dot4_i32_i8 v58, v87, v4, v58
	v_fma_mix_f32 v28, v25, v28, -v29 op_sel_hi:[1,0,0]
	v_fmac_f32_e32 v52, v30, v28
	v_dot4_i32_i8 v28, v26, v6, 0
	v_dot4_i32_i8 v29, v98, v6, 0
	;; [unrolled: 1-line block ×8, first 2 shown]
	v_mul_lo_u32 v28, v28, v100
	v_dot4_i32_i8 v29, v99, v2, v29
	v_dot4_i32_i8 v29, v99, v3, v29
	;; [unrolled: 1-line block ×5, first 2 shown]
                                        ; kill: def $vgpr29 killed $sgpr0 killed $exec
	v_mad_u64_u32 v[28:29], s[16:17], v58, v97, v[28:29]
	v_cvt_f32_i32_e32 v29, v108
	v_dot4_i32_i8 v58, v64, v2, 0
	v_cvt_f32_i32_e32 v28, v28
	v_dot4_i32_i8 v58, v65, v3, v58
	v_mul_f32_e32 v29, v101, v29
	v_dot4_i32_i8 v58, v67, v4, v58
	v_fma_mix_f32 v28, v102, v28, -v29 op_sel_hi:[1,0,0]
	v_fmac_f32_e32 v51, v30, v28
	v_dot4_i32_i8 v28, v70, v6, 0
	v_dot4_i32_i8 v29, v115, v6, 0
	;; [unrolled: 1-line block ×8, first 2 shown]
	v_mul_lo_u32 v28, v28, v90
	v_dot4_i32_i8 v29, v116, v2, v29
	v_dot4_i32_i8 v29, v116, v3, v29
	;; [unrolled: 1-line block ×5, first 2 shown]
                                        ; kill: def $vgpr29 killed $sgpr0 killed $exec
	v_mad_u64_u32 v[28:29], s[16:17], v58, v114, v[28:29]
	v_cvt_f32_i32_e32 v29, v108
	v_cvt_f32_i32_e32 v28, v28
	v_mul_f32_e32 v29, v1, v29
	v_fma_mix_f32 v28, v72, v28, -v29 op_sel_hi:[1,0,0]
	v_fmac_f32_e32 v49, v30, v28
	v_dot4_i32_i8 v28, v18, v6, 0
	v_dot4_i32_i8 v6, v112, v6, 0
	;; [unrolled: 1-line block ×8, first 2 shown]
	v_mul_lo_u32 v6, v7, v113
	v_dot4_i32_i8 v7, v62, v2, 0
	v_dot4_i32_i8 v2, v14, v2, v8
	;; [unrolled: 1-line block ×8, first 2 shown]
	v_mad_u64_u32 v[2:3], s[16:17], v3, v63, v[6:7]
	v_cvt_f32_i32_e32 v3, v4
	v_cvt_f32_i32_e32 v2, v2
	v_mul_f32_e32 v3, v11, v3
	v_fma_mix_f32 v2, v60, v2, -v3 op_sel_hi:[1,0,0]
	v_fmac_f32_e32 v47, v30, v2
	ds_read2_b32 v[29:30], v106 offset0:128 offset1:160
	ds_read_b128 v[6:9], v107 offset:4096
	ds_read_b128 v[2:5], v107 offset:4112
	s_waitcnt lgkmcnt(1)
	v_dot4_i32_i8 v28, v77, v6, 0
	v_dot4_i32_i8 v28, v24, v7, v28
	;; [unrolled: 1-line block ×6, first 2 shown]
	v_mul_lo_u32 v28, v28, v95
	s_waitcnt lgkmcnt(0)
	v_dot4_i32_i8 v108, v22, v2, 0
	v_dot4_i32_i8 v58, v92, v8, v58
	;; [unrolled: 1-line block ×8, first 2 shown]
	v_mad_u64_u32 v[108:109], s[16:17], v108, v0, v[28:29]
	v_dot4_i32_i8 v58, v93, v4, v58
	v_dot4_i32_i8 v58, v93, v5, v58
	v_cvt_f32_i32_e32 v58, v58
	v_cvt_f32_i32_e32 v28, v108
	v_dot4_i32_i8 v108, v84, v2, 0
	v_dot4_i32_i8 v108, v85, v3, v108
	v_mul_f32_e32 v58, v96, v58
	v_fma_mix_f32 v28, v25, v28, -v58 op_sel_hi:[1,0,0]
	v_fmac_f32_e32 v46, v29, v28
	v_dot4_i32_i8 v28, v26, v6, 0
	v_dot4_i32_i8 v28, v79, v7, v28
	;; [unrolled: 1-line block ×6, first 2 shown]
	v_mul_lo_u32 v28, v28, v100
	v_dot4_i32_i8 v58, v98, v8, v58
	v_dot4_i32_i8 v58, v98, v9, v58
	;; [unrolled: 1-line block ×6, first 2 shown]
	v_mad_u64_u32 v[108:109], s[16:17], v108, v97, v[28:29]
	v_dot4_i32_i8 v58, v99, v4, v58
	v_dot4_i32_i8 v58, v99, v5, v58
	v_cvt_f32_i32_e32 v58, v58
	v_cvt_f32_i32_e32 v28, v108
	v_dot4_i32_i8 v108, v64, v2, 0
	v_dot4_i32_i8 v108, v65, v3, v108
	v_mul_f32_e32 v58, v101, v58
	v_fma_mix_f32 v28, v102, v28, -v58 op_sel_hi:[1,0,0]
	v_fmac_f32_e32 v45, v29, v28
	v_dot4_i32_i8 v28, v70, v6, 0
	v_dot4_i32_i8 v28, v69, v7, v28
	;; [unrolled: 1-line block ×6, first 2 shown]
	v_mul_lo_u32 v28, v28, v90
	v_dot4_i32_i8 v58, v115, v8, v58
	v_dot4_i32_i8 v58, v115, v9, v58
	;; [unrolled: 1-line block ×6, first 2 shown]
	v_mad_u64_u32 v[108:109], s[16:17], v108, v114, v[28:29]
	v_dot4_i32_i8 v58, v116, v4, v58
	v_dot4_i32_i8 v58, v116, v5, v58
	v_cvt_f32_i32_e32 v58, v58
	v_cvt_f32_i32_e32 v28, v108
	v_mul_f32_e32 v58, v1, v58
	v_fma_mix_f32 v28, v72, v28, -v58 op_sel_hi:[1,0,0]
	v_fmac_f32_e32 v44, v29, v28
	v_dot4_i32_i8 v28, v18, v6, 0
	v_dot4_i32_i8 v6, v112, v6, 0
	v_dot4_i32_i8 v28, v17, v7, v28
	v_dot4_i32_i8 v6, v112, v7, v6
	v_dot4_i32_i8 v7, v16, v8, v28
	v_dot4_i32_i8 v6, v112, v8, v6
	v_dot4_i32_i8 v7, v15, v9, v7
	v_dot4_i32_i8 v8, v112, v9, v6
	v_mul_lo_u32 v6, v7, v113
	v_dot4_i32_i8 v7, v62, v2, 0
	v_dot4_i32_i8 v2, v14, v2, v8
	;; [unrolled: 1-line block ×8, first 2 shown]
	v_mad_u64_u32 v[2:3], s[16:17], v3, v63, v[6:7]
	v_cvt_f32_i32_e32 v3, v4
	v_cvt_f32_i32_e32 v2, v2
	v_mul_f32_e32 v3, v11, v3
	v_fma_mix_f32 v2, v60, v2, -v3 op_sel_hi:[1,0,0]
	v_fmac_f32_e32 v43, v29, v2
	ds_read_b128 v[6:9], v107 offset:5120
	ds_read_b128 v[2:5], v107 offset:5136
	s_waitcnt lgkmcnt(1)
	v_dot4_i32_i8 v28, v77, v6, 0
	v_dot4_i32_i8 v29, v92, v6, 0
	;; [unrolled: 1-line block ×8, first 2 shown]
	v_mul_lo_u32 v28, v28, v95
	s_waitcnt lgkmcnt(0)
	v_dot4_i32_i8 v58, v22, v2, 0
	v_dot4_i32_i8 v29, v93, v2, v29
	;; [unrolled: 1-line block ×8, first 2 shown]
                                        ; kill: def $vgpr29 killed $sgpr0 killed $exec
	v_mad_u64_u32 v[28:29], s[16:17], v58, v0, v[28:29]
	v_cvt_f32_i32_e32 v29, v108
	v_dot4_i32_i8 v58, v84, v2, 0
	v_cvt_f32_i32_e32 v28, v28
	v_dot4_i32_i8 v58, v85, v3, v58
	v_mul_f32_e32 v29, v96, v29
	v_dot4_i32_i8 v58, v87, v4, v58
	v_fma_mix_f32 v28, v25, v28, -v29 op_sel_hi:[1,0,0]
	v_fmac_f32_e32 v42, v30, v28
	v_dot4_i32_i8 v28, v26, v6, 0
	v_dot4_i32_i8 v29, v98, v6, 0
	v_dot4_i32_i8 v28, v79, v7, v28
	v_dot4_i32_i8 v29, v98, v7, v29
	v_dot4_i32_i8 v28, v82, v8, v28
	v_dot4_i32_i8 v29, v98, v8, v29
	v_dot4_i32_i8 v28, v83, v9, v28
	v_dot4_i32_i8 v29, v98, v9, v29
	v_mul_lo_u32 v28, v28, v100
	v_dot4_i32_i8 v29, v99, v2, v29
	v_dot4_i32_i8 v29, v99, v3, v29
	;; [unrolled: 1-line block ×5, first 2 shown]
                                        ; kill: def $vgpr29 killed $sgpr0 killed $exec
	v_mad_u64_u32 v[28:29], s[16:17], v58, v97, v[28:29]
	v_cvt_f32_i32_e32 v29, v108
	v_dot4_i32_i8 v58, v64, v2, 0
	v_cvt_f32_i32_e32 v28, v28
	v_dot4_i32_i8 v58, v65, v3, v58
	v_mul_f32_e32 v29, v101, v29
	v_dot4_i32_i8 v58, v67, v4, v58
	v_fma_mix_f32 v28, v102, v28, -v29 op_sel_hi:[1,0,0]
	v_fmac_f32_e32 v41, v30, v28
	v_dot4_i32_i8 v28, v70, v6, 0
	v_dot4_i32_i8 v29, v115, v6, 0
	;; [unrolled: 1-line block ×8, first 2 shown]
	v_mul_lo_u32 v28, v28, v90
	v_dot4_i32_i8 v29, v116, v2, v29
	v_dot4_i32_i8 v29, v116, v3, v29
	;; [unrolled: 1-line block ×5, first 2 shown]
                                        ; kill: def $vgpr29 killed $sgpr0 killed $exec
	v_mad_u64_u32 v[28:29], s[16:17], v58, v114, v[28:29]
	v_cvt_f32_i32_e32 v29, v108
	v_cvt_f32_i32_e32 v28, v28
	v_mul_f32_e32 v29, v1, v29
	v_fma_mix_f32 v28, v72, v28, -v29 op_sel_hi:[1,0,0]
	v_fmac_f32_e32 v40, v30, v28
	v_dot4_i32_i8 v28, v18, v6, 0
	v_dot4_i32_i8 v6, v112, v6, 0
	;; [unrolled: 1-line block ×8, first 2 shown]
	v_mul_lo_u32 v6, v7, v113
	v_dot4_i32_i8 v7, v62, v2, 0
	v_dot4_i32_i8 v2, v14, v2, v8
	v_dot4_i32_i8 v7, v61, v3, v7
	v_dot4_i32_i8 v2, v14, v3, v2
	v_dot4_i32_i8 v3, v13, v4, v7
	v_dot4_i32_i8 v2, v14, v4, v2
	v_dot4_i32_i8 v3, v12, v5, v3
	v_dot4_i32_i8 v4, v14, v5, v2
	v_mad_u64_u32 v[2:3], s[16:17], v3, v63, v[6:7]
	v_cvt_f32_i32_e32 v3, v4
	v_cvt_f32_i32_e32 v2, v2
	v_mul_f32_e32 v3, v11, v3
	v_fma_mix_f32 v2, v60, v2, -v3 op_sel_hi:[1,0,0]
	v_fmac_f32_e32 v39, v30, v2
	ds_read2_b32 v[29:30], v106 offset0:192 offset1:224
	ds_read_b128 v[6:9], v107 offset:6144
	ds_read_b128 v[2:5], v107 offset:6160
	v_add_u32_e32 v106, 4, v106
	s_waitcnt lgkmcnt(1)
	v_dot4_i32_i8 v28, v77, v6, 0
	v_dot4_i32_i8 v28, v24, v7, v28
	v_dot4_i32_i8 v28, v21, v8, v28
	v_dot4_i32_i8 v58, v92, v6, 0
	v_dot4_i32_i8 v28, v73, v9, v28
	v_dot4_i32_i8 v58, v92, v7, v58
	v_mul_lo_u32 v28, v28, v95
	s_waitcnt lgkmcnt(0)
	v_dot4_i32_i8 v108, v22, v2, 0
	v_dot4_i32_i8 v58, v92, v8, v58
	;; [unrolled: 1-line block ×8, first 2 shown]
	v_mad_u64_u32 v[108:109], s[16:17], v108, v0, v[28:29]
	v_dot4_i32_i8 v58, v93, v4, v58
	v_dot4_i32_i8 v58, v93, v5, v58
	v_cvt_f32_i32_e32 v58, v58
	v_cvt_f32_i32_e32 v28, v108
	v_dot4_i32_i8 v108, v84, v2, 0
	v_dot4_i32_i8 v108, v85, v3, v108
	v_mul_f32_e32 v58, v96, v58
	v_fma_mix_f32 v28, v25, v28, -v58 op_sel_hi:[1,0,0]
	v_fmac_f32_e32 v38, v29, v28
	v_dot4_i32_i8 v28, v26, v6, 0
	v_dot4_i32_i8 v28, v79, v7, v28
	;; [unrolled: 1-line block ×6, first 2 shown]
	v_mul_lo_u32 v28, v28, v100
	v_dot4_i32_i8 v58, v98, v8, v58
	v_dot4_i32_i8 v58, v98, v9, v58
	;; [unrolled: 1-line block ×6, first 2 shown]
	v_mad_u64_u32 v[108:109], s[16:17], v108, v97, v[28:29]
	v_dot4_i32_i8 v58, v99, v4, v58
	v_dot4_i32_i8 v58, v99, v5, v58
	v_cvt_f32_i32_e32 v58, v58
	v_cvt_f32_i32_e32 v28, v108
	v_dot4_i32_i8 v108, v64, v2, 0
	v_dot4_i32_i8 v108, v65, v3, v108
	v_mul_f32_e32 v58, v101, v58
	v_fma_mix_f32 v28, v102, v28, -v58 op_sel_hi:[1,0,0]
	v_fmac_f32_e32 v37, v29, v28
	v_dot4_i32_i8 v28, v70, v6, 0
	v_dot4_i32_i8 v28, v69, v7, v28
	;; [unrolled: 1-line block ×6, first 2 shown]
	v_mul_lo_u32 v28, v28, v90
	v_dot4_i32_i8 v58, v115, v8, v58
	v_dot4_i32_i8 v58, v115, v9, v58
	;; [unrolled: 1-line block ×6, first 2 shown]
	v_mad_u64_u32 v[108:109], s[16:17], v108, v114, v[28:29]
	v_dot4_i32_i8 v58, v116, v4, v58
	v_dot4_i32_i8 v58, v116, v5, v58
	v_cvt_f32_i32_e32 v58, v58
	v_cvt_f32_i32_e32 v28, v108
	v_mul_f32_e32 v58, v1, v58
	v_fma_mix_f32 v28, v72, v28, -v58 op_sel_hi:[1,0,0]
	v_fmac_f32_e32 v36, v29, v28
	v_dot4_i32_i8 v28, v18, v6, 0
	v_dot4_i32_i8 v6, v112, v6, 0
	;; [unrolled: 1-line block ×8, first 2 shown]
	v_mul_lo_u32 v6, v7, v113
	v_dot4_i32_i8 v7, v62, v2, 0
	v_dot4_i32_i8 v2, v14, v2, v8
	;; [unrolled: 1-line block ×8, first 2 shown]
	v_mad_u64_u32 v[2:3], s[16:17], v3, v63, v[6:7]
	v_cvt_f32_i32_e32 v3, v4
	v_cvt_f32_i32_e32 v2, v2
	v_mul_f32_e32 v3, v11, v3
	v_fma_mix_f32 v2, v60, v2, -v3 op_sel_hi:[1,0,0]
	v_fmac_f32_e32 v35, v29, v2
	ds_read_b128 v[6:9], v107 offset:7168
	ds_read_b128 v[2:5], v107 offset:7184
	v_add_u32_e32 v107, 32, v107
	s_waitcnt lgkmcnt(1)
	v_dot4_i32_i8 v28, v77, v6, 0
	v_dot4_i32_i8 v24, v24, v7, v28
	;; [unrolled: 1-line block ×5, first 2 shown]
	v_mul_lo_u32 v21, v21, v95
	s_waitcnt lgkmcnt(0)
	v_dot4_i32_i8 v22, v22, v2, 0
	v_dot4_i32_i8 v28, v92, v7, v29
	;; [unrolled: 1-line block ×8, first 2 shown]
	v_mad_u64_u32 v[21:22], s[16:17], v22, v0, v[21:22]
	v_dot4_i32_i8 v24, v93, v3, v24
	v_dot4_i32_i8 v23, v93, v4, v24
	;; [unrolled: 1-line block ×3, first 2 shown]
	v_cvt_f32_i32_e32 v0, v21
	v_cvt_f32_i32_e32 v21, v23
	v_dot4_i32_i8 v22, v84, v2, 0
	v_dot4_i32_i8 v22, v85, v3, v22
	v_dot4_i32_i8 v22, v87, v4, v22
	v_mul_f32_e32 v21, v96, v21
	v_fma_mix_f32 v0, v25, v0, -v21 op_sel_hi:[1,0,0]
	v_fmac_f32_e32 v34, v30, v0
	v_dot4_i32_i8 v0, v26, v6, 0
	v_dot4_i32_i8 v21, v98, v6, 0
	;; [unrolled: 1-line block ×8, first 2 shown]
	v_mul_lo_u32 v0, v0, v100
	v_dot4_i32_i8 v21, v99, v2, v21
	v_dot4_i32_i8 v21, v99, v3, v21
	;; [unrolled: 1-line block ×5, first 2 shown]
	v_mad_u64_u32 v[21:22], s[16:17], v22, v97, v[0:1]
	v_cvt_f32_i32_e32 v0, v21
	v_cvt_f32_i32_e32 v21, v23
	v_mul_f32_e32 v21, v101, v21
	v_fma_mix_f32 v0, v102, v0, -v21 op_sel_hi:[1,0,0]
	v_fmac_f32_e32 v33, v30, v0
	v_dot4_i32_i8 v0, v70, v6, 0
	v_dot4_i32_i8 v21, v115, v6, 0
	;; [unrolled: 1-line block ×8, first 2 shown]
	v_mul_lo_u32 v0, v0, v90
	v_dot4_i32_i8 v20, v64, v2, 0
	v_dot4_i32_i8 v19, v116, v2, v19
	;; [unrolled: 1-line block ×8, first 2 shown]
	v_mad_u64_u32 v[19:20], s[16:17], v20, v114, v[0:1]
	v_cvt_f32_i32_e32 v0, v19
	v_cvt_f32_i32_e32 v19, v21
	v_mul_f32_e32 v1, v1, v19
	v_fma_mix_f32 v0, v72, v0, -v1 op_sel_hi:[1,0,0]
	v_fmac_f32_e32 v32, v30, v0
	v_dot4_i32_i8 v0, v18, v6, 0
	v_dot4_i32_i8 v1, v112, v6, 0
	;; [unrolled: 1-line block ×8, first 2 shown]
	v_mul_lo_u32 v6, v6, v113
	v_dot4_i32_i8 v1, v62, v2, 0
	v_dot4_i32_i8 v1, v61, v3, v1
	v_dot4_i32_i8 v1, v13, v4, v1
	v_dot4_i32_i8 v0, v14, v2, v0
	v_dot4_i32_i8 v1, v12, v5, v1
	v_dot4_i32_i8 v0, v14, v3, v0
	v_mad_u64_u32 v[1:2], s[16:17], v1, v63, v[6:7]
	v_dot4_i32_i8 v0, v14, v4, v0
	v_dot4_i32_i8 v0, v14, v5, v0
	v_cvt_f32_i32_e32 v0, v0
	v_cvt_f32_i32_e32 v1, v1
	s_add_i32 s16, s11, 2
	s_cmp_lt_u32 s11, 6
	v_mul_f32_e32 v0, v11, v0
	v_fma_mix_f32 v0, v60, v1, -v0 op_sel_hi:[1,0,0]
	v_fmac_f32_e32 v31, v30, v0
	s_mov_b32 s11, s16
	s_cbranch_scc1 .LBB128_7
; %bb.8:                                ;   in Loop: Header=BB128_6 Depth=1
	s_barrier
	buffer_load_dword v0, off, s[20:23], 0 offset:344 ; 4-byte Folded Reload
	v_mov_b32_e32 v105, v57
	v_mov_b32_e32 v57, v56
	v_mov_b32_e32 v56, v27
	v_mov_b32_e32 v27, v124
	v_mov_b32_e32 v124, v125
	v_mov_b32_e32 v125, v126
	v_mov_b32_e32 v126, v127
	v_mov_b32_e32 v127, v48
	v_mov_b32_e32 v48, v78
	v_mov_b32_e32 v78, v81
	s_mov_b32 s11, 8
	s_waitcnt vmcnt(0)
	v_add_u32_e32 v2, s9, v0
	buffer_load_dword v0, off, s[20:23], 0 offset:8 ; 4-byte Folded Reload
	buffer_load_dword v3, off, s[20:23], 0 offset:40 ; 4-byte Folded Reload
	;; [unrolled: 1-line block ×3, first 2 shown]
	s_waitcnt vmcnt(2)
	v_add_u32_e32 v0, v2, v0
	s_waitcnt vmcnt(0)
	v_mad_i64_i32 v[0:1], s[16:17], v0, 36, v[3:4]
	global_load_dword v0, v[0:1], off offset:4
	s_nop 0
	buffer_load_dword v1, off, s[20:23], 0 offset:88 ; 4-byte Folded Reload
	s_waitcnt vmcnt(0)
	ds_write_b32 v1, v0
	buffer_load_dword v0, off, s[20:23], 0 offset:12 ; 4-byte Folded Reload
	s_waitcnt vmcnt(0)
	v_add_u32_e32 v0, v2, v0
	v_mad_i64_i32 v[0:1], s[16:17], v0, 36, v[3:4]
	global_load_dword v0, v[0:1], off offset:4
	s_nop 0
	buffer_load_dword v1, off, s[20:23], 0 offset:56 ; 4-byte Folded Reload
	s_waitcnt vmcnt(0)
	ds_write_b32 v1, v0
	buffer_load_dword v0, off, s[20:23], 0 offset:16 ; 4-byte Folded Reload
	s_waitcnt vmcnt(0)
	v_add_u32_e32 v0, v2, v0
	;; [unrolled: 9-line block ×8, first 2 shown]
	v_mad_u64_u32 v[0:1], s[16:17], v0, 36, s[2:3]
	global_load_dword v0, v[0:1], off
	s_nop 0
	buffer_load_dword v1, off, s[20:23], 0 offset:4 ; 4-byte Folded Reload
	s_waitcnt vmcnt(1)
	v_cvt_f32_f16_e32 v0, v0
	s_waitcnt vmcnt(0)
	ds_write_b32 v1, v0
	s_waitcnt lgkmcnt(0)
	s_barrier
	buffer_load_dword v107, off, s[20:23], 0 offset:52 ; 4-byte Folded Reload
	buffer_load_dword v106, off, s[20:23], 0 offset:48 ; 4-byte Folded Reload
	buffer_load_dword v81, off, s[20:23], 0 ; 4-byte Folded Reload
.LBB128_9:                              ;   Parent Loop BB128_6 Depth=1
                                        ; =>  This Inner Loop Header: Depth=2
	s_and_b32 s17, s11, 0x3ffffff8
	v_lshl_add_u32 v14, s17, 2, v105
	s_waitcnt vmcnt(1)
	ds_read2_b32 v[29:30], v106 offset1:32
	ds_read_b128 v[6:9], v107
	ds_read_b128 v[2:5], v107 offset:16
	ds_read2_b32 v[0:1], v14 offset1:1
	s_add_i32 s18, s11, -8
	s_lshr_b32 s17, s11, 2
	s_and_b32 s17, s17, 0x3ffffffc
	s_addk_i32 s17, 0x7280
	s_waitcnt lgkmcnt(0)
	v_ashrrev_i32_e32 v0, s18, v0
	v_and_b32_e32 v25, 0x3030303, v0
	v_ashrrev_i32_e32 v0, s18, v1
	v_and_b32_e32 v77, 0x3030303, v0
	ds_read2_b32 v[0:1], v14 offset0:2 offset1:3
	s_and_b32 s16, s11, -16
	s_add_i32 s16, s11, s16
	v_add_u32_e32 v97, s16, v57
	v_add_u32_e32 v90, s16, v56
	s_waitcnt lgkmcnt(0)
	v_ashrrev_i32_e32 v0, s18, v0
	v_and_b32_e32 v21, 0x3030303, v0
	v_ashrrev_i32_e32 v0, s18, v1
	v_and_b32_e32 v22, 0x3030303, v0
	ds_read2_b32 v[0:1], v14 offset0:4 offset1:5
	v_add_u32_e32 v63, s16, v27
	s_waitcnt lgkmcnt(0)
	v_ashrrev_i32_e32 v0, s18, v0
	v_and_b32_e32 v23, 0x3030303, v0
	v_ashrrev_i32_e32 v0, s18, v1
	v_and_b32_e32 v24, 0x3030303, v0
	ds_read2_b32 v[0:1], v14 offset0:6 offset1:7
	s_waitcnt lgkmcnt(0)
	v_ashrrev_i32_e32 v0, s18, v0
	v_and_b32_e32 v73, 0x3030303, v0
	v_ashrrev_i32_e32 v0, s18, v1
	v_add3_u32 v1, s17, v104, v124
	ds_read_b32 v75, v1
	v_dot4_i32_i8 v1, v25, v6, 0
	v_dot4_i32_i8 v1, v77, v7, v1
	;; [unrolled: 1-line block ×6, first 2 shown]
	v_and_b32_e32 v74, 0x3030303, v0
	v_dot4_i32_i8 v1, v73, v4, v1
	v_dot4_i32_i8 v96, v74, v5, v1
	v_add_u32_e32 v1, 0x1080, v14
	ds_read2_b32 v[11:12], v1 offset1:1
	v_add_u32_e32 v0, s16, v10
	s_waitcnt lgkmcnt(0)
	v_ashrrev_i32_e32 v1, s18, v11
	v_and_b32_e32 v79, 0x3030303, v1
	v_ashrrev_i32_e32 v1, s18, v12
	v_and_b32_e32 v82, 0x3030303, v1
	v_add_u32_e32 v1, 0x1088, v14
	ds_read2_b32 v[11:12], v1 offset1:1
	s_waitcnt lgkmcnt(0)
	v_ashrrev_i32_e32 v1, s18, v11
	v_and_b32_e32 v84, 0x3030303, v1
	v_ashrrev_i32_e32 v1, s18, v12
	v_and_b32_e32 v85, 0x3030303, v1
	v_add_u32_e32 v1, 0x1090, v14
	ds_read2_b32 v[11:12], v1 offset1:1
	;; [unrolled: 7-line block ×3, first 2 shown]
	s_waitcnt lgkmcnt(0)
	v_ashrrev_i32_e32 v1, s18, v11
	v_and_b32_e32 v26, 0x3030303, v1
	v_ashrrev_i32_e32 v1, s18, v12
	v_and_b32_e32 v102, 0x3030303, v1
	v_add3_u32 v1, s17, v125, v126
	ds_read_b32 v83, v1
	v_dot4_i32_i8 v1, v79, v6, 0
	v_dot4_i32_i8 v1, v82, v7, v1
	;; [unrolled: 1-line block ×8, first 2 shown]
	v_add_u32_e32 v1, 0x2100, v14
	ds_read2_b32 v[11:12], v1 offset1:1
	s_waitcnt lgkmcnt(0)
	v_ashrrev_i32_e32 v1, s18, v11
	v_and_b32_e32 v72, 0x3030303, v1
	v_ashrrev_i32_e32 v1, s18, v12
	v_and_b32_e32 v20, 0x3030303, v1
	v_add_u32_e32 v1, 0x2108, v14
	ds_read2_b32 v[11:12], v1 offset1:1
	s_waitcnt lgkmcnt(0)
	v_ashrrev_i32_e32 v1, s18, v11
	v_and_b32_e32 v17, 0x3030303, v1
	v_ashrrev_i32_e32 v1, s18, v12
	v_and_b32_e32 v68, 0x3030303, v1
	;; [unrolled: 7-line block ×4, first 2 shown]
	v_add3_u32 v1, s17, v127, v48
	v_add_u32_e32 v11, 0x3180, v14
	ds_read_b32 v67, v1
	ds_read2_b32 v[11:12], v11 offset1:1
	v_dot4_i32_i8 v1, v72, v6, 0
	v_dot4_i32_i8 v1, v20, v7, v1
	;; [unrolled: 1-line block ×4, first 2 shown]
	s_waitcnt lgkmcnt(0)
	v_ashrrev_i32_e32 v11, s18, v11
	v_and_b32_e32 v16, 0x3030303, v11
	v_ashrrev_i32_e32 v11, s18, v12
	v_and_b32_e32 v65, 0x3030303, v11
	v_add_u32_e32 v11, 0x3188, v14
	ds_read2_b32 v[11:12], v11 offset1:1
	v_dot4_i32_i8 v1, v18, v2, 0
	v_dot4_i32_i8 v1, v69, v3, v1
	;; [unrolled: 1-line block ×4, first 2 shown]
	s_waitcnt lgkmcnt(0)
	v_ashrrev_i32_e32 v11, s18, v11
	v_and_b32_e32 v15, 0x3030303, v11
	v_ashrrev_i32_e32 v11, s18, v12
	v_and_b32_e32 v64, 0x3030303, v11
	v_add_u32_e32 v11, 0x3190, v14
	ds_read2_b32 v[11:12], v11 offset1:1
	s_waitcnt lgkmcnt(0)
	v_ashrrev_i32_e32 v11, s18, v11
	v_and_b32_e32 v13, 0x3030303, v11
	v_ashrrev_i32_e32 v11, s18, v12
	v_and_b32_e32 v62, 0x3030303, v11
	v_add_u32_e32 v11, 0x3198, v14
	ds_read2_b32 v[60:61], v11 offset1:1
	s_waitcnt lgkmcnt(0)
	v_ashrrev_i32_e32 v11, s18, v60
	v_and_b32_e32 v12, 0x3030303, v11
	v_ashrrev_i32_e32 v11, s18, v61
	v_and_b32_e32 v61, 0x3030303, v11
	s_waitcnt vmcnt(0)
	v_add3_u32 v11, s17, v78, v81
	ds_read_b32 v60, v11
	ds_read_b128 v[108:111], v107 offset:1024
	ds_read_b128 v[117:120], v107 offset:1040
	ds_read_u16 v100, v0 offset:25088
	v_dot4_i32_i8 v11, v16, v6, 0
	v_dot4_i32_i8 v11, v65, v7, v11
	s_waitcnt lgkmcnt(2)
	v_dot4_i32_i8 v28, v25, v108, 0
	v_dot4_i32_i8 v28, v77, v109, v28
	;; [unrolled: 1-line block ×4, first 2 shown]
	s_waitcnt lgkmcnt(1)
	v_dot4_i32_i8 v28, v23, v117, 0
	s_waitcnt lgkmcnt(0)
	v_bfe_u32 v0, v100, 4, 4
	v_dot4_i32_i8 v28, v24, v118, v28
	v_mul_lo_u32 v92, v0, s8
	v_dot4_i32_i8 v28, v73, v119, v28
	v_dot4_i32_i8 v98, v74, v120, v28
	v_and_b32_e32 v28, 15, v100
	v_and_b32_e32 v95, 0xffff, v28
	v_dot4_i32_i8 v0, v92, v6, 0
	v_mul_lo_u32 v28, v95, v93
	v_lshrrev_b32_sdwa v93, v103, v100 dst_sel:DWORD dst_unused:UNUSED_PAD src0_sel:DWORD src1_sel:BYTE_1
	v_dot4_i32_i8 v0, v92, v7, v0
	v_mul_lo_u32 v93, v93, s8
	v_dot4_i32_i8 v0, v92, v8, v0
	v_dot4_i32_i8 v113, v92, v9, v0
	v_and_b32_sdwa v0, v100, v94 dst_sel:DWORD dst_unused:UNUSED_PAD src0_sel:BYTE_1 src1_sel:DWORD
	v_and_b32_e32 v0, 0xffff, v0
	v_dot4_i32_i8 v100, v93, v2, v113
	v_mad_u64_u32 v[113:114], s[16:17], v0, v96, v[28:29]
	v_dot4_i32_i8 v28, v92, v108, 0
	v_dot4_i32_i8 v28, v92, v109, v28
	;; [unrolled: 1-line block ×10, first 2 shown]
	v_mul_lo_u32 v28, v58, v95
	v_dot4_i32_i8 v100, v93, v5, v100
	v_cvt_f32_i32_e32 v100, v100
	v_cvt_f32_f16_sdwa v96, v75 dst_sel:DWORD dst_unused:UNUSED_PAD src0_sel:WORD_1
	v_cvt_f32_i32_e32 v115, v113
	v_mad_u64_u32 v[113:114], s[16:17], v98, v0, v[28:29]
	v_mul_f32_e32 v28, v96, v100
	v_fma_mix_f32 v28, v75, v115, -v28 op_sel_hi:[1,0,0]
	v_cvt_f32_i32_e32 v58, v116
	v_fmac_f32_e32 v50, v29, v28
	v_cvt_f32_i32_e32 v28, v113
	ds_read_u16 v113, v97 offset:26112
	v_mul_f32_e32 v58, v96, v58
	v_dot4_i32_i8 v11, v15, v8, v11
	v_fma_mix_f32 v28, v75, v28, -v58 op_sel_hi:[1,0,0]
	v_fmac_f32_e32 v80, v30, v28
	v_dot4_i32_i8 v28, v79, v108, 0
	v_dot4_i32_i8 v28, v82, v109, v28
	;; [unrolled: 1-line block ×8, first 2 shown]
	s_waitcnt lgkmcnt(0)
	v_bfe_u32 v28, v113, 4, 4
	v_mul_lo_u32 v98, v28, s8
	v_and_b32_sdwa v97, v113, v94 dst_sel:DWORD dst_unused:UNUSED_PAD src0_sel:BYTE_1 src1_sel:DWORD
	v_and_b32_e32 v97, 0xffff, v97
	v_dot4_i32_i8 v14, v64, v9, v11
	v_dot4_i32_i8 v28, v98, v6, 0
	;; [unrolled: 1-line block ×5, first 2 shown]
	v_and_b32_e32 v28, 15, v113
	v_and_b32_e32 v100, 0xffff, v28
	v_mul_lo_u32 v28, v100, v99
	v_lshrrev_b32_sdwa v99, v103, v113 dst_sel:DWORD dst_unused:UNUSED_PAD src0_sel:DWORD src1_sel:BYTE_1
	v_mul_lo_u32 v99, v99, s8
	v_dot4_i32_i8 v11, v13, v2, 0
	v_dot4_i32_i8 v11, v62, v3, v11
	;; [unrolled: 1-line block ×7, first 2 shown]
	v_mad_u64_u32 v[113:114], s[16:17], v97, v101, v[28:29]
	v_dot4_i32_i8 v28, v98, v108, 0
	v_dot4_i32_i8 v28, v98, v109, v28
	;; [unrolled: 1-line block ×8, first 2 shown]
	v_mul_lo_u32 v28, v58, v100
	v_cvt_f32_i32_e32 v116, v116
	v_cvt_f32_f16_sdwa v101, v83 dst_sel:DWORD dst_unused:UNUSED_PAD src0_sel:WORD_1
	v_cvt_f32_i32_e32 v121, v113
	v_mad_u64_u32 v[113:114], s[16:17], v115, v97, v[28:29]
	v_mul_f32_e32 v28, v101, v116
	v_fma_mix_f32 v28, v83, v121, -v28 op_sel_hi:[1,0,0]
	v_cvt_f32_i32_e32 v58, v122
	v_fmac_f32_e32 v91, v29, v28
	v_cvt_f32_i32_e32 v28, v113
	ds_read_u16 v113, v90 offset:27136
	v_mul_f32_e32 v58, v101, v58
	v_dot4_i32_i8 v11, v61, v5, v11
	v_fma_mix_f32 v28, v83, v28, -v58 op_sel_hi:[1,0,0]
	v_fmac_f32_e32 v76, v30, v28
	v_dot4_i32_i8 v28, v72, v108, 0
	v_dot4_i32_i8 v28, v20, v109, v28
	;; [unrolled: 1-line block ×8, first 2 shown]
	s_waitcnt lgkmcnt(0)
	v_bfe_u32 v28, v113, 4, 4
	v_mul_lo_u32 v115, v28, s8
	v_and_b32_sdwa v90, v113, v94 dst_sel:DWORD dst_unused:UNUSED_PAD src0_sel:BYTE_1 src1_sel:DWORD
	v_and_b32_e32 v114, 0xffff, v90
	v_dot4_i32_i8 v28, v115, v6, 0
	v_dot4_i32_i8 v28, v115, v7, v28
	;; [unrolled: 1-line block ×4, first 2 shown]
	v_and_b32_e32 v28, 15, v113
	v_and_b32_e32 v90, 0xffff, v28
	v_mul_lo_u32 v28, v90, v112
	v_lshrrev_b32_sdwa v112, v103, v113 dst_sel:DWORD dst_unused:UNUSED_PAD src0_sel:DWORD src1_sel:BYTE_1
	v_mul_lo_u32 v116, v112, s8
	v_dot4_i32_i8 v112, v116, v2, v122
	v_dot4_i32_i8 v112, v116, v3, v112
	;; [unrolled: 1-line block ×4, first 2 shown]
	v_mad_u64_u32 v[112:113], s[16:17], v114, v1, v[28:29]
	v_dot4_i32_i8 v1, v115, v108, 0
	v_dot4_i32_i8 v1, v115, v109, v1
	;; [unrolled: 1-line block ×8, first 2 shown]
	v_mul_lo_u32 v1, v58, v90
	v_cvt_f32_i32_e32 v28, v112
	v_cvt_f32_i32_e32 v122, v122
	v_mad_u64_u32 v[112:113], s[16:17], v121, v114, v[1:2]
	v_cvt_f32_f16_sdwa v1, v67 dst_sel:DWORD dst_unused:UNUSED_PAD src0_sel:WORD_1
	ds_read_u16 v121, v63 offset:28160
	v_mul_f32_e32 v58, v1, v122
	v_fma_mix_f32 v28, v67, v28, -v58 op_sel_hi:[1,0,0]
	s_waitcnt lgkmcnt(0)
	v_bfe_u32 v63, v121, 4, 4
	v_fmac_f32_e32 v89, v29, v28
	v_cvt_f32_i32_e32 v28, v112
	v_mul_lo_u32 v112, v63, s8
	v_cvt_f32_i32_e32 v58, v123
	v_dot4_i32_i8 v6, v112, v6, 0
	v_dot4_i32_i8 v6, v112, v7, v6
	;; [unrolled: 1-line block ×4, first 2 shown]
	v_and_b32_e32 v6, 15, v121
	v_and_b32_sdwa v8, v121, v94 dst_sel:DWORD dst_unused:UNUSED_PAD src0_sel:BYTE_1 src1_sel:DWORD
	v_and_b32_e32 v63, 0xffff, v8
	v_and_b32_e32 v113, 0xffff, v6
	v_lshrrev_b32_sdwa v8, v103, v121 dst_sel:DWORD dst_unused:UNUSED_PAD src0_sel:DWORD src1_sel:BYTE_1
	v_mul_lo_u32 v6, v113, v14
	v_mul_lo_u32 v14, v8, s8
	v_mul_f32_e32 v58, v1, v58
	v_fma_mix_f32 v28, v67, v28, -v58 op_sel_hi:[1,0,0]
	v_fmac_f32_e32 v71, v30, v28
	v_dot4_i32_i8 v2, v14, v2, v7
	v_dot4_i32_i8 v2, v14, v3, v2
	;; [unrolled: 1-line block ×4, first 2 shown]
	v_mad_u64_u32 v[2:3], s[16:17], v63, v11, v[6:7]
	v_dot4_i32_i8 v28, v16, v108, 0
	v_dot4_i32_i8 v28, v65, v109, v28
	v_cvt_f32_i32_e32 v5, v2
	v_dot4_i32_i8 v2, v112, v108, 0
	v_dot4_i32_i8 v2, v112, v109, v2
	;; [unrolled: 1-line block ×11, first 2 shown]
	v_mul_lo_u32 v2, v28, v113
	v_dot4_i32_i8 v58, v62, v118, v58
	v_cvt_f32_i32_e32 v4, v4
	v_cvt_f32_f16_sdwa v11, v60 dst_sel:DWORD dst_unused:UNUSED_PAD src0_sel:WORD_1
	v_dot4_i32_i8 v58, v12, v119, v58
	v_dot4_i32_i8 v58, v61, v120, v58
                                        ; kill: def $vgpr3 killed $sgpr0 killed $exec
	v_mad_u64_u32 v[2:3], s[16:17], v58, v63, v[2:3]
	v_mul_f32_e32 v3, v11, v4
	v_fma_mix_f32 v3, v60, v5, -v3 op_sel_hi:[1,0,0]
	v_fmac_f32_e32 v86, v29, v3
	v_cvt_f32_i32_e32 v3, v6
	v_cvt_f32_i32_e32 v2, v2
	v_mul_f32_e32 v3, v11, v3
	v_fma_mix_f32 v2, v60, v2, -v3 op_sel_hi:[1,0,0]
	v_fmac_f32_e32 v66, v30, v2
	ds_read2_b32 v[29:30], v106 offset0:64 offset1:96
	ds_read_b128 v[6:9], v107 offset:2048
	ds_read_b128 v[2:5], v107 offset:2064
	s_waitcnt lgkmcnt(1)
	v_dot4_i32_i8 v28, v25, v6, 0
	v_dot4_i32_i8 v28, v77, v7, v28
	;; [unrolled: 1-line block ×6, first 2 shown]
	v_mul_lo_u32 v28, v28, v95
	s_waitcnt lgkmcnt(0)
	v_dot4_i32_i8 v108, v23, v2, 0
	v_dot4_i32_i8 v58, v92, v8, v58
	;; [unrolled: 1-line block ×8, first 2 shown]
	v_mad_u64_u32 v[108:109], s[16:17], v108, v0, v[28:29]
	v_dot4_i32_i8 v58, v93, v4, v58
	v_dot4_i32_i8 v58, v93, v5, v58
	v_cvt_f32_i32_e32 v58, v58
	v_cvt_f32_i32_e32 v28, v108
	v_dot4_i32_i8 v108, v87, v2, 0
	v_dot4_i32_i8 v108, v88, v3, v108
	v_mul_f32_e32 v58, v96, v58
	v_fma_mix_f32 v28, v75, v28, -v58 op_sel_hi:[1,0,0]
	v_fmac_f32_e32 v59, v29, v28
	v_dot4_i32_i8 v28, v79, v6, 0
	v_dot4_i32_i8 v28, v82, v7, v28
	;; [unrolled: 1-line block ×6, first 2 shown]
	v_mul_lo_u32 v28, v28, v100
	v_dot4_i32_i8 v58, v98, v8, v58
	v_dot4_i32_i8 v58, v98, v9, v58
	v_dot4_i32_i8 v108, v26, v4, v108
	v_dot4_i32_i8 v58, v99, v2, v58
	v_dot4_i32_i8 v108, v102, v5, v108
	v_dot4_i32_i8 v58, v99, v3, v58
	v_mad_u64_u32 v[108:109], s[16:17], v108, v97, v[28:29]
	v_dot4_i32_i8 v58, v99, v4, v58
	v_dot4_i32_i8 v58, v99, v5, v58
	v_cvt_f32_i32_e32 v58, v58
	v_cvt_f32_i32_e32 v28, v108
	v_dot4_i32_i8 v108, v18, v2, 0
	v_dot4_i32_i8 v108, v69, v3, v108
	v_mul_f32_e32 v58, v101, v58
	v_fma_mix_f32 v28, v83, v28, -v58 op_sel_hi:[1,0,0]
	v_fmac_f32_e32 v55, v29, v28
	v_dot4_i32_i8 v28, v72, v6, 0
	v_dot4_i32_i8 v28, v20, v7, v28
	;; [unrolled: 1-line block ×6, first 2 shown]
	v_mul_lo_u32 v28, v28, v90
	v_dot4_i32_i8 v58, v115, v8, v58
	v_dot4_i32_i8 v58, v115, v9, v58
	;; [unrolled: 1-line block ×6, first 2 shown]
	v_mad_u64_u32 v[108:109], s[16:17], v108, v114, v[28:29]
	v_dot4_i32_i8 v58, v116, v4, v58
	v_dot4_i32_i8 v58, v116, v5, v58
	v_cvt_f32_i32_e32 v58, v58
	v_cvt_f32_i32_e32 v28, v108
	v_mul_f32_e32 v58, v1, v58
	v_fma_mix_f32 v28, v67, v28, -v58 op_sel_hi:[1,0,0]
	v_fmac_f32_e32 v54, v29, v28
	v_dot4_i32_i8 v28, v16, v6, 0
	v_dot4_i32_i8 v6, v112, v6, 0
	;; [unrolled: 1-line block ×8, first 2 shown]
	v_mul_lo_u32 v6, v7, v113
	v_dot4_i32_i8 v7, v13, v2, 0
	v_dot4_i32_i8 v2, v14, v2, v8
	;; [unrolled: 1-line block ×8, first 2 shown]
	v_mad_u64_u32 v[2:3], s[16:17], v3, v63, v[6:7]
	v_cvt_f32_i32_e32 v3, v4
	v_cvt_f32_i32_e32 v2, v2
	v_mul_f32_e32 v3, v11, v3
	v_fma_mix_f32 v2, v60, v2, -v3 op_sel_hi:[1,0,0]
	v_fmac_f32_e32 v53, v29, v2
	ds_read_b128 v[6:9], v107 offset:3072
	ds_read_b128 v[2:5], v107 offset:3088
	s_waitcnt lgkmcnt(1)
	v_dot4_i32_i8 v28, v25, v6, 0
	v_dot4_i32_i8 v29, v92, v6, 0
	;; [unrolled: 1-line block ×8, first 2 shown]
	v_mul_lo_u32 v28, v28, v95
	s_waitcnt lgkmcnt(0)
	v_dot4_i32_i8 v58, v23, v2, 0
	v_dot4_i32_i8 v29, v93, v2, v29
	;; [unrolled: 1-line block ×8, first 2 shown]
                                        ; kill: def $vgpr29 killed $sgpr0 killed $exec
	v_mad_u64_u32 v[28:29], s[16:17], v58, v0, v[28:29]
	v_cvt_f32_i32_e32 v29, v108
	v_dot4_i32_i8 v58, v87, v2, 0
	v_cvt_f32_i32_e32 v28, v28
	v_dot4_i32_i8 v58, v88, v3, v58
	v_mul_f32_e32 v29, v96, v29
	v_dot4_i32_i8 v58, v26, v4, v58
	v_fma_mix_f32 v28, v75, v28, -v29 op_sel_hi:[1,0,0]
	v_fmac_f32_e32 v52, v30, v28
	v_dot4_i32_i8 v28, v79, v6, 0
	v_dot4_i32_i8 v29, v98, v6, 0
	;; [unrolled: 1-line block ×8, first 2 shown]
	v_mul_lo_u32 v28, v28, v100
	v_dot4_i32_i8 v29, v99, v2, v29
	v_dot4_i32_i8 v29, v99, v3, v29
	;; [unrolled: 1-line block ×5, first 2 shown]
                                        ; kill: def $vgpr29 killed $sgpr0 killed $exec
	v_mad_u64_u32 v[28:29], s[16:17], v58, v97, v[28:29]
	v_cvt_f32_i32_e32 v29, v108
	v_dot4_i32_i8 v58, v18, v2, 0
	v_cvt_f32_i32_e32 v28, v28
	v_dot4_i32_i8 v58, v69, v3, v58
	v_mul_f32_e32 v29, v101, v29
	v_dot4_i32_i8 v58, v19, v4, v58
	v_fma_mix_f32 v28, v83, v28, -v29 op_sel_hi:[1,0,0]
	v_fmac_f32_e32 v51, v30, v28
	v_dot4_i32_i8 v28, v72, v6, 0
	v_dot4_i32_i8 v29, v115, v6, 0
	;; [unrolled: 1-line block ×8, first 2 shown]
	v_mul_lo_u32 v28, v28, v90
	v_dot4_i32_i8 v29, v116, v2, v29
	v_dot4_i32_i8 v29, v116, v3, v29
	;; [unrolled: 1-line block ×5, first 2 shown]
                                        ; kill: def $vgpr29 killed $sgpr0 killed $exec
	v_mad_u64_u32 v[28:29], s[16:17], v58, v114, v[28:29]
	v_cvt_f32_i32_e32 v29, v108
	v_cvt_f32_i32_e32 v28, v28
	v_mul_f32_e32 v29, v1, v29
	v_fma_mix_f32 v28, v67, v28, -v29 op_sel_hi:[1,0,0]
	v_fmac_f32_e32 v49, v30, v28
	v_dot4_i32_i8 v28, v16, v6, 0
	v_dot4_i32_i8 v6, v112, v6, 0
	;; [unrolled: 1-line block ×8, first 2 shown]
	v_mul_lo_u32 v6, v7, v113
	v_dot4_i32_i8 v7, v13, v2, 0
	v_dot4_i32_i8 v2, v14, v2, v8
	;; [unrolled: 1-line block ×8, first 2 shown]
	v_mad_u64_u32 v[2:3], s[16:17], v3, v63, v[6:7]
	v_cvt_f32_i32_e32 v3, v4
	v_cvt_f32_i32_e32 v2, v2
	v_mul_f32_e32 v3, v11, v3
	v_fma_mix_f32 v2, v60, v2, -v3 op_sel_hi:[1,0,0]
	v_fmac_f32_e32 v47, v30, v2
	ds_read2_b32 v[29:30], v106 offset0:128 offset1:160
	ds_read_b128 v[6:9], v107 offset:4096
	ds_read_b128 v[2:5], v107 offset:4112
	s_waitcnt lgkmcnt(1)
	v_dot4_i32_i8 v28, v25, v6, 0
	v_dot4_i32_i8 v28, v77, v7, v28
	;; [unrolled: 1-line block ×6, first 2 shown]
	v_mul_lo_u32 v28, v28, v95
	s_waitcnt lgkmcnt(0)
	v_dot4_i32_i8 v108, v23, v2, 0
	v_dot4_i32_i8 v58, v92, v8, v58
	;; [unrolled: 1-line block ×8, first 2 shown]
	v_mad_u64_u32 v[108:109], s[16:17], v108, v0, v[28:29]
	v_dot4_i32_i8 v58, v93, v4, v58
	v_dot4_i32_i8 v58, v93, v5, v58
	v_cvt_f32_i32_e32 v58, v58
	v_cvt_f32_i32_e32 v28, v108
	v_dot4_i32_i8 v108, v87, v2, 0
	v_dot4_i32_i8 v108, v88, v3, v108
	v_mul_f32_e32 v58, v96, v58
	v_fma_mix_f32 v28, v75, v28, -v58 op_sel_hi:[1,0,0]
	v_fmac_f32_e32 v46, v29, v28
	v_dot4_i32_i8 v28, v79, v6, 0
	v_dot4_i32_i8 v28, v82, v7, v28
	;; [unrolled: 1-line block ×6, first 2 shown]
	v_mul_lo_u32 v28, v28, v100
	v_dot4_i32_i8 v58, v98, v8, v58
	v_dot4_i32_i8 v58, v98, v9, v58
	;; [unrolled: 1-line block ×6, first 2 shown]
	v_mad_u64_u32 v[108:109], s[16:17], v108, v97, v[28:29]
	v_dot4_i32_i8 v58, v99, v4, v58
	v_dot4_i32_i8 v58, v99, v5, v58
	v_cvt_f32_i32_e32 v58, v58
	v_cvt_f32_i32_e32 v28, v108
	v_dot4_i32_i8 v108, v18, v2, 0
	v_dot4_i32_i8 v108, v69, v3, v108
	v_mul_f32_e32 v58, v101, v58
	v_fma_mix_f32 v28, v83, v28, -v58 op_sel_hi:[1,0,0]
	v_fmac_f32_e32 v45, v29, v28
	v_dot4_i32_i8 v28, v72, v6, 0
	v_dot4_i32_i8 v28, v20, v7, v28
	;; [unrolled: 1-line block ×6, first 2 shown]
	v_mul_lo_u32 v28, v28, v90
	v_dot4_i32_i8 v58, v115, v8, v58
	v_dot4_i32_i8 v58, v115, v9, v58
	;; [unrolled: 1-line block ×6, first 2 shown]
	v_mad_u64_u32 v[108:109], s[16:17], v108, v114, v[28:29]
	v_dot4_i32_i8 v58, v116, v4, v58
	v_dot4_i32_i8 v58, v116, v5, v58
	v_cvt_f32_i32_e32 v58, v58
	v_cvt_f32_i32_e32 v28, v108
	v_mul_f32_e32 v58, v1, v58
	v_fma_mix_f32 v28, v67, v28, -v58 op_sel_hi:[1,0,0]
	v_fmac_f32_e32 v44, v29, v28
	v_dot4_i32_i8 v28, v16, v6, 0
	v_dot4_i32_i8 v6, v112, v6, 0
	;; [unrolled: 1-line block ×8, first 2 shown]
	v_mul_lo_u32 v6, v7, v113
	v_dot4_i32_i8 v7, v13, v2, 0
	v_dot4_i32_i8 v2, v14, v2, v8
	;; [unrolled: 1-line block ×8, first 2 shown]
	v_mad_u64_u32 v[2:3], s[16:17], v3, v63, v[6:7]
	v_cvt_f32_i32_e32 v3, v4
	v_cvt_f32_i32_e32 v2, v2
	v_mul_f32_e32 v3, v11, v3
	v_fma_mix_f32 v2, v60, v2, -v3 op_sel_hi:[1,0,0]
	v_fmac_f32_e32 v43, v29, v2
	ds_read_b128 v[6:9], v107 offset:5120
	ds_read_b128 v[2:5], v107 offset:5136
	s_waitcnt lgkmcnt(1)
	v_dot4_i32_i8 v28, v25, v6, 0
	v_dot4_i32_i8 v29, v92, v6, 0
	v_dot4_i32_i8 v28, v77, v7, v28
	v_dot4_i32_i8 v29, v92, v7, v29
	v_dot4_i32_i8 v28, v21, v8, v28
	v_dot4_i32_i8 v29, v92, v8, v29
	v_dot4_i32_i8 v28, v22, v9, v28
	v_dot4_i32_i8 v29, v92, v9, v29
	v_mul_lo_u32 v28, v28, v95
	s_waitcnt lgkmcnt(0)
	v_dot4_i32_i8 v58, v23, v2, 0
	v_dot4_i32_i8 v29, v93, v2, v29
	;; [unrolled: 1-line block ×8, first 2 shown]
                                        ; kill: def $vgpr29 killed $sgpr0 killed $exec
	v_mad_u64_u32 v[28:29], s[16:17], v58, v0, v[28:29]
	v_cvt_f32_i32_e32 v29, v108
	v_dot4_i32_i8 v58, v87, v2, 0
	v_cvt_f32_i32_e32 v28, v28
	v_dot4_i32_i8 v58, v88, v3, v58
	v_mul_f32_e32 v29, v96, v29
	v_dot4_i32_i8 v58, v26, v4, v58
	v_fma_mix_f32 v28, v75, v28, -v29 op_sel_hi:[1,0,0]
	v_fmac_f32_e32 v42, v30, v28
	v_dot4_i32_i8 v28, v79, v6, 0
	v_dot4_i32_i8 v29, v98, v6, 0
	;; [unrolled: 1-line block ×8, first 2 shown]
	v_mul_lo_u32 v28, v28, v100
	v_dot4_i32_i8 v29, v99, v2, v29
	v_dot4_i32_i8 v29, v99, v3, v29
	;; [unrolled: 1-line block ×5, first 2 shown]
                                        ; kill: def $vgpr29 killed $sgpr0 killed $exec
	v_mad_u64_u32 v[28:29], s[16:17], v58, v97, v[28:29]
	v_cvt_f32_i32_e32 v29, v108
	v_dot4_i32_i8 v58, v18, v2, 0
	v_cvt_f32_i32_e32 v28, v28
	v_dot4_i32_i8 v58, v69, v3, v58
	v_mul_f32_e32 v29, v101, v29
	v_dot4_i32_i8 v58, v19, v4, v58
	v_fma_mix_f32 v28, v83, v28, -v29 op_sel_hi:[1,0,0]
	v_fmac_f32_e32 v41, v30, v28
	v_dot4_i32_i8 v28, v72, v6, 0
	v_dot4_i32_i8 v29, v115, v6, 0
	;; [unrolled: 1-line block ×8, first 2 shown]
	v_mul_lo_u32 v28, v28, v90
	v_dot4_i32_i8 v29, v116, v2, v29
	v_dot4_i32_i8 v29, v116, v3, v29
	v_dot4_i32_i8 v29, v116, v4, v29
	v_dot4_i32_i8 v58, v70, v5, v58
	v_dot4_i32_i8 v108, v116, v5, v29
                                        ; kill: def $vgpr29 killed $sgpr0 killed $exec
	v_mad_u64_u32 v[28:29], s[16:17], v58, v114, v[28:29]
	v_cvt_f32_i32_e32 v29, v108
	v_cvt_f32_i32_e32 v28, v28
	v_mul_f32_e32 v29, v1, v29
	v_fma_mix_f32 v28, v67, v28, -v29 op_sel_hi:[1,0,0]
	v_fmac_f32_e32 v40, v30, v28
	v_dot4_i32_i8 v28, v16, v6, 0
	v_dot4_i32_i8 v6, v112, v6, 0
	;; [unrolled: 1-line block ×8, first 2 shown]
	v_mul_lo_u32 v6, v7, v113
	v_dot4_i32_i8 v7, v13, v2, 0
	v_dot4_i32_i8 v2, v14, v2, v8
	;; [unrolled: 1-line block ×8, first 2 shown]
	v_mad_u64_u32 v[2:3], s[16:17], v3, v63, v[6:7]
	v_cvt_f32_i32_e32 v3, v4
	v_cvt_f32_i32_e32 v2, v2
	v_mul_f32_e32 v3, v11, v3
	v_fma_mix_f32 v2, v60, v2, -v3 op_sel_hi:[1,0,0]
	v_fmac_f32_e32 v39, v30, v2
	ds_read2_b32 v[29:30], v106 offset0:192 offset1:224
	ds_read_b128 v[6:9], v107 offset:6144
	ds_read_b128 v[2:5], v107 offset:6160
	v_add_u32_e32 v106, 4, v106
	s_waitcnt lgkmcnt(1)
	v_dot4_i32_i8 v28, v25, v6, 0
	v_dot4_i32_i8 v28, v77, v7, v28
	;; [unrolled: 1-line block ×6, first 2 shown]
	v_mul_lo_u32 v28, v28, v95
	s_waitcnt lgkmcnt(0)
	v_dot4_i32_i8 v108, v23, v2, 0
	v_dot4_i32_i8 v58, v92, v8, v58
	;; [unrolled: 1-line block ×8, first 2 shown]
	v_mad_u64_u32 v[108:109], s[16:17], v108, v0, v[28:29]
	v_dot4_i32_i8 v58, v93, v4, v58
	v_dot4_i32_i8 v58, v93, v5, v58
	v_cvt_f32_i32_e32 v58, v58
	v_cvt_f32_i32_e32 v28, v108
	v_dot4_i32_i8 v108, v87, v2, 0
	v_dot4_i32_i8 v108, v88, v3, v108
	v_mul_f32_e32 v58, v96, v58
	v_fma_mix_f32 v28, v75, v28, -v58 op_sel_hi:[1,0,0]
	v_fmac_f32_e32 v38, v29, v28
	v_dot4_i32_i8 v28, v79, v6, 0
	v_dot4_i32_i8 v28, v82, v7, v28
	v_dot4_i32_i8 v28, v84, v8, v28
	v_dot4_i32_i8 v58, v98, v6, 0
	v_dot4_i32_i8 v28, v85, v9, v28
	v_dot4_i32_i8 v58, v98, v7, v58
	v_mul_lo_u32 v28, v28, v100
	v_dot4_i32_i8 v58, v98, v8, v58
	v_dot4_i32_i8 v58, v98, v9, v58
	;; [unrolled: 1-line block ×6, first 2 shown]
	v_mad_u64_u32 v[108:109], s[16:17], v108, v97, v[28:29]
	v_dot4_i32_i8 v58, v99, v4, v58
	v_dot4_i32_i8 v58, v99, v5, v58
	v_cvt_f32_i32_e32 v58, v58
	v_cvt_f32_i32_e32 v28, v108
	v_dot4_i32_i8 v108, v18, v2, 0
	v_dot4_i32_i8 v108, v69, v3, v108
	v_mul_f32_e32 v58, v101, v58
	v_fma_mix_f32 v28, v83, v28, -v58 op_sel_hi:[1,0,0]
	v_fmac_f32_e32 v37, v29, v28
	v_dot4_i32_i8 v28, v72, v6, 0
	v_dot4_i32_i8 v28, v20, v7, v28
	;; [unrolled: 1-line block ×6, first 2 shown]
	v_mul_lo_u32 v28, v28, v90
	v_dot4_i32_i8 v58, v115, v8, v58
	v_dot4_i32_i8 v58, v115, v9, v58
	;; [unrolled: 1-line block ×6, first 2 shown]
	v_mad_u64_u32 v[108:109], s[16:17], v108, v114, v[28:29]
	v_dot4_i32_i8 v58, v116, v4, v58
	v_dot4_i32_i8 v58, v116, v5, v58
	v_cvt_f32_i32_e32 v58, v58
	v_cvt_f32_i32_e32 v28, v108
	v_mul_f32_e32 v58, v1, v58
	v_fma_mix_f32 v28, v67, v28, -v58 op_sel_hi:[1,0,0]
	v_fmac_f32_e32 v36, v29, v28
	v_dot4_i32_i8 v28, v16, v6, 0
	v_dot4_i32_i8 v6, v112, v6, 0
	;; [unrolled: 1-line block ×8, first 2 shown]
	v_mul_lo_u32 v6, v7, v113
	v_dot4_i32_i8 v7, v13, v2, 0
	v_dot4_i32_i8 v2, v14, v2, v8
	;; [unrolled: 1-line block ×8, first 2 shown]
	v_mad_u64_u32 v[2:3], s[16:17], v3, v63, v[6:7]
	v_cvt_f32_i32_e32 v3, v4
	v_cvt_f32_i32_e32 v2, v2
	v_mul_f32_e32 v3, v11, v3
	v_fma_mix_f32 v2, v60, v2, -v3 op_sel_hi:[1,0,0]
	v_fmac_f32_e32 v35, v29, v2
	ds_read_b128 v[6:9], v107 offset:7168
	ds_read_b128 v[2:5], v107 offset:7184
	v_add_u32_e32 v107, 32, v107
	s_waitcnt lgkmcnt(1)
	v_dot4_i32_i8 v25, v25, v6, 0
	v_dot4_i32_i8 v28, v92, v6, 0
	;; [unrolled: 1-line block ×8, first 2 shown]
	v_mul_lo_u32 v21, v21, v95
	s_waitcnt lgkmcnt(0)
	v_dot4_i32_i8 v23, v23, v2, 0
	v_dot4_i32_i8 v22, v93, v2, v22
	;; [unrolled: 1-line block ×8, first 2 shown]
                                        ; kill: def $vgpr22 killed $sgpr0 killed $exec
	v_dot4_i32_i8 v18, v18, v2, 0
	v_mad_u64_u32 v[21:22], s[16:17], v23, v0, v[21:22]
	v_dot4_i32_i8 v22, v87, v2, 0
	v_dot4_i32_i8 v22, v88, v3, v22
	v_cvt_f32_i32_e32 v0, v21
	v_cvt_f32_i32_e32 v21, v24
	v_dot4_i32_i8 v22, v26, v4, v22
	v_dot4_i32_i8 v22, v102, v5, v22
	;; [unrolled: 1-line block ×3, first 2 shown]
	v_mul_f32_e32 v21, v96, v21
	v_fma_mix_f32 v0, v75, v0, -v21 op_sel_hi:[1,0,0]
	v_fmac_f32_e32 v34, v30, v0
	v_dot4_i32_i8 v0, v79, v6, 0
	v_dot4_i32_i8 v21, v98, v6, 0
	;; [unrolled: 1-line block ×8, first 2 shown]
	v_mul_lo_u32 v0, v0, v100
	v_dot4_i32_i8 v21, v99, v2, v21
	v_dot4_i32_i8 v21, v99, v3, v21
	;; [unrolled: 1-line block ×4, first 2 shown]
	v_mad_u64_u32 v[21:22], s[16:17], v22, v97, v[0:1]
	v_dot4_i32_i8 v18, v19, v4, v18
	v_dot4_i32_i8 v18, v70, v5, v18
	v_cvt_f32_i32_e32 v0, v21
	v_cvt_f32_i32_e32 v21, v23
	v_mul_f32_e32 v21, v101, v21
	v_fma_mix_f32 v0, v83, v0, -v21 op_sel_hi:[1,0,0]
	v_fmac_f32_e32 v33, v30, v0
	v_dot4_i32_i8 v0, v72, v6, 0
	v_dot4_i32_i8 v21, v115, v6, 0
	;; [unrolled: 1-line block ×8, first 2 shown]
	v_mul_lo_u32 v0, v0, v90
	v_dot4_i32_i8 v17, v116, v2, v17
	v_dot4_i32_i8 v17, v116, v3, v17
	;; [unrolled: 1-line block ×4, first 2 shown]
	v_mad_u64_u32 v[17:18], s[16:17], v18, v114, v[0:1]
	v_cvt_f32_i32_e32 v0, v17
	v_cvt_f32_i32_e32 v17, v19
	v_mul_f32_e32 v1, v1, v17
	v_fma_mix_f32 v0, v67, v0, -v1 op_sel_hi:[1,0,0]
	v_fmac_f32_e32 v32, v30, v0
	v_dot4_i32_i8 v0, v16, v6, 0
	v_dot4_i32_i8 v1, v112, v6, 0
	;; [unrolled: 1-line block ×8, first 2 shown]
	v_mul_lo_u32 v6, v6, v113
	v_dot4_i32_i8 v1, v13, v2, 0
	v_dot4_i32_i8 v1, v62, v3, v1
	;; [unrolled: 1-line block ×6, first 2 shown]
	v_mad_u64_u32 v[1:2], s[16:17], v1, v63, v[6:7]
	v_dot4_i32_i8 v0, v14, v4, v0
	v_dot4_i32_i8 v0, v14, v5, v0
	v_cvt_f32_i32_e32 v0, v0
	v_cvt_f32_i32_e32 v1, v1
	s_add_i32 s16, s11, 2
	s_cmp_lt_u32 s11, 14
	v_mul_f32_e32 v0, v11, v0
	v_fma_mix_f32 v0, v60, v1, -v0 op_sel_hi:[1,0,0]
	v_fmac_f32_e32 v31, v30, v0
	s_mov_b32 s11, s16
	s_cbranch_scc1 .LBB128_9
; %bb.10:                               ;   in Loop: Header=BB128_6 Depth=1
	s_or_b32 s11, s7, 1
	s_cmp_ge_i32 s11, s4
	s_barrier
	s_cbranch_scc1 .LBB128_5
; %bb.11:                               ;   in Loop: Header=BB128_6 Depth=1
	buffer_load_dword v0, off, s[20:23], 0 offset:412 ; 4-byte Folded Reload
	s_mov_b32 s11, 16
	s_waitcnt vmcnt(0)
	v_add_u32_e32 v2, s9, v0
	buffer_load_dword v0, off, s[20:23], 0 offset:8 ; 4-byte Folded Reload
	buffer_load_dword v3, off, s[20:23], 0 offset:40 ; 4-byte Folded Reload
	;; [unrolled: 1-line block ×3, first 2 shown]
	s_waitcnt vmcnt(2)
	v_add_u32_e32 v0, v2, v0
	s_waitcnt vmcnt(0)
	v_mad_i64_i32 v[0:1], s[16:17], v0, 36, v[3:4]
	global_load_dword v0, v[0:1], off offset:4
	s_nop 0
	buffer_load_dword v1, off, s[20:23], 0 offset:88 ; 4-byte Folded Reload
	s_waitcnt vmcnt(0)
	ds_write_b32 v1, v0
	buffer_load_dword v0, off, s[20:23], 0 offset:12 ; 4-byte Folded Reload
	s_waitcnt vmcnt(0)
	v_add_u32_e32 v0, v2, v0
	v_mad_i64_i32 v[0:1], s[16:17], v0, 36, v[3:4]
	global_load_dword v0, v[0:1], off offset:4
	s_nop 0
	buffer_load_dword v1, off, s[20:23], 0 offset:56 ; 4-byte Folded Reload
	s_waitcnt vmcnt(0)
	ds_write_b32 v1, v0
	buffer_load_dword v0, off, s[20:23], 0 offset:16 ; 4-byte Folded Reload
	s_waitcnt vmcnt(0)
	v_add_u32_e32 v0, v2, v0
	;; [unrolled: 9-line block ×8, first 2 shown]
	v_mad_u64_u32 v[0:1], s[16:17], v0, 36, s[2:3]
	global_load_dword v0, v[0:1], off
	s_nop 0
	buffer_load_dword v1, off, s[20:23], 0 offset:4 ; 4-byte Folded Reload
	s_waitcnt vmcnt(1)
	v_cvt_f32_f16_e32 v0, v0
	s_waitcnt vmcnt(0)
	ds_write_b32 v1, v0
	s_waitcnt lgkmcnt(0)
	s_barrier
	buffer_load_dword v107, off, s[20:23], 0 offset:52 ; 4-byte Folded Reload
	buffer_load_dword v106, off, s[20:23], 0 offset:48 ; 4-byte Folded Reload
.LBB128_12:                             ;   Parent Loop BB128_6 Depth=1
                                        ; =>  This Inner Loop Header: Depth=2
	s_and_b32 s17, s11, 0x3ffffff8
	v_lshl_add_u32 v14, s17, 2, v105
	s_waitcnt vmcnt(0)
	ds_read2_b32 v[29:30], v106 offset1:32
	ds_read_b128 v[6:9], v107
	ds_read_b128 v[2:5], v107 offset:16
	ds_read2_b32 v[0:1], v14 offset1:1
	s_add_i32 s18, s11, -16
	s_lshr_b32 s17, s11, 2
	s_and_b32 s17, s17, 0x3ffffffc
	s_addk_i32 s17, 0x7280
	s_waitcnt lgkmcnt(0)
	v_ashrrev_i32_e32 v0, s18, v0
	v_and_b32_e32 v25, 0x3030303, v0
	v_ashrrev_i32_e32 v0, s18, v1
	v_and_b32_e32 v77, 0x3030303, v0
	ds_read2_b32 v[0:1], v14 offset0:2 offset1:3
	s_and_b32 s16, s11, -16
	s_add_i32 s16, s11, s16
	v_add_u32_e32 v97, s16, v57
	v_add_u32_e32 v90, s16, v56
	s_waitcnt lgkmcnt(0)
	v_ashrrev_i32_e32 v0, s18, v0
	v_and_b32_e32 v21, 0x3030303, v0
	v_ashrrev_i32_e32 v0, s18, v1
	v_and_b32_e32 v22, 0x3030303, v0
	ds_read2_b32 v[0:1], v14 offset0:4 offset1:5
	v_add_u32_e32 v63, s16, v27
	s_waitcnt lgkmcnt(0)
	v_ashrrev_i32_e32 v0, s18, v0
	v_and_b32_e32 v23, 0x3030303, v0
	v_ashrrev_i32_e32 v0, s18, v1
	v_and_b32_e32 v24, 0x3030303, v0
	ds_read2_b32 v[0:1], v14 offset0:6 offset1:7
	s_waitcnt lgkmcnt(0)
	v_ashrrev_i32_e32 v0, s18, v0
	v_and_b32_e32 v73, 0x3030303, v0
	v_ashrrev_i32_e32 v0, s18, v1
	v_add3_u32 v1, s17, v104, v124
	ds_read_b32 v75, v1
	v_dot4_i32_i8 v1, v25, v6, 0
	v_dot4_i32_i8 v1, v77, v7, v1
	;; [unrolled: 1-line block ×6, first 2 shown]
	v_and_b32_e32 v74, 0x3030303, v0
	v_dot4_i32_i8 v1, v73, v4, v1
	v_dot4_i32_i8 v96, v74, v5, v1
	v_add_u32_e32 v1, 0x1080, v14
	ds_read2_b32 v[11:12], v1 offset1:1
	v_add_u32_e32 v0, s16, v10
	s_waitcnt lgkmcnt(0)
	v_ashrrev_i32_e32 v1, s18, v11
	v_and_b32_e32 v79, 0x3030303, v1
	v_ashrrev_i32_e32 v1, s18, v12
	v_and_b32_e32 v82, 0x3030303, v1
	v_add_u32_e32 v1, 0x1088, v14
	ds_read2_b32 v[11:12], v1 offset1:1
	s_waitcnt lgkmcnt(0)
	v_ashrrev_i32_e32 v1, s18, v11
	v_and_b32_e32 v84, 0x3030303, v1
	v_ashrrev_i32_e32 v1, s18, v12
	v_and_b32_e32 v85, 0x3030303, v1
	v_add_u32_e32 v1, 0x1090, v14
	ds_read2_b32 v[11:12], v1 offset1:1
	;; [unrolled: 7-line block ×3, first 2 shown]
	s_waitcnt lgkmcnt(0)
	v_ashrrev_i32_e32 v1, s18, v11
	v_and_b32_e32 v26, 0x3030303, v1
	v_ashrrev_i32_e32 v1, s18, v12
	v_and_b32_e32 v102, 0x3030303, v1
	v_add3_u32 v1, s17, v125, v126
	ds_read_b32 v83, v1
	v_dot4_i32_i8 v1, v79, v6, 0
	v_dot4_i32_i8 v1, v82, v7, v1
	;; [unrolled: 1-line block ×8, first 2 shown]
	v_add_u32_e32 v1, 0x2100, v14
	ds_read2_b32 v[11:12], v1 offset1:1
	s_waitcnt lgkmcnt(0)
	v_ashrrev_i32_e32 v1, s18, v11
	v_and_b32_e32 v72, 0x3030303, v1
	v_ashrrev_i32_e32 v1, s18, v12
	v_and_b32_e32 v20, 0x3030303, v1
	v_add_u32_e32 v1, 0x2108, v14
	ds_read2_b32 v[11:12], v1 offset1:1
	s_waitcnt lgkmcnt(0)
	v_ashrrev_i32_e32 v1, s18, v11
	v_and_b32_e32 v17, 0x3030303, v1
	v_ashrrev_i32_e32 v1, s18, v12
	v_and_b32_e32 v68, 0x3030303, v1
	v_add_u32_e32 v1, 0x2110, v14
	ds_read2_b32 v[11:12], v1 offset1:1
	s_waitcnt lgkmcnt(0)
	v_ashrrev_i32_e32 v1, s18, v11
	v_and_b32_e32 v18, 0x3030303, v1
	v_ashrrev_i32_e32 v1, s18, v12
	v_and_b32_e32 v69, 0x3030303, v1
	v_add_u32_e32 v1, 0x2118, v14
	ds_read2_b32 v[11:12], v1 offset1:1
	s_waitcnt lgkmcnt(0)
	v_ashrrev_i32_e32 v1, s18, v11
	v_and_b32_e32 v19, 0x3030303, v1
	v_ashrrev_i32_e32 v1, s18, v12
	v_and_b32_e32 v70, 0x3030303, v1
	v_add3_u32 v1, s17, v127, v48
	v_add_u32_e32 v11, 0x3180, v14
	ds_read_b32 v67, v1
	ds_read2_b32 v[11:12], v11 offset1:1
	v_dot4_i32_i8 v1, v72, v6, 0
	v_dot4_i32_i8 v1, v20, v7, v1
	;; [unrolled: 1-line block ×4, first 2 shown]
	s_waitcnt lgkmcnt(0)
	v_ashrrev_i32_e32 v11, s18, v11
	v_and_b32_e32 v16, 0x3030303, v11
	v_ashrrev_i32_e32 v11, s18, v12
	v_and_b32_e32 v65, 0x3030303, v11
	v_add_u32_e32 v11, 0x3188, v14
	ds_read2_b32 v[11:12], v11 offset1:1
	v_dot4_i32_i8 v1, v18, v2, 0
	v_dot4_i32_i8 v1, v69, v3, v1
	;; [unrolled: 1-line block ×4, first 2 shown]
	s_waitcnt lgkmcnt(0)
	v_ashrrev_i32_e32 v11, s18, v11
	v_and_b32_e32 v15, 0x3030303, v11
	v_ashrrev_i32_e32 v11, s18, v12
	v_and_b32_e32 v64, 0x3030303, v11
	v_add_u32_e32 v11, 0x3190, v14
	ds_read2_b32 v[11:12], v11 offset1:1
	s_waitcnt lgkmcnt(0)
	v_ashrrev_i32_e32 v11, s18, v11
	v_and_b32_e32 v13, 0x3030303, v11
	v_ashrrev_i32_e32 v11, s18, v12
	v_and_b32_e32 v62, 0x3030303, v11
	v_add_u32_e32 v11, 0x3198, v14
	ds_read2_b32 v[60:61], v11 offset1:1
	s_waitcnt lgkmcnt(0)
	v_ashrrev_i32_e32 v11, s18, v60
	v_and_b32_e32 v12, 0x3030303, v11
	v_ashrrev_i32_e32 v11, s18, v61
	v_and_b32_e32 v61, 0x3030303, v11
	v_add3_u32 v11, s17, v78, v81
	ds_read_b32 v60, v11
	ds_read_b128 v[108:111], v107 offset:1024
	ds_read_b128 v[117:120], v107 offset:1040
	ds_read_u16 v100, v0 offset:25072
	v_dot4_i32_i8 v11, v16, v6, 0
	v_dot4_i32_i8 v11, v65, v7, v11
	s_waitcnt lgkmcnt(2)
	v_dot4_i32_i8 v28, v25, v108, 0
	v_dot4_i32_i8 v28, v77, v109, v28
	;; [unrolled: 1-line block ×4, first 2 shown]
	s_waitcnt lgkmcnt(1)
	v_dot4_i32_i8 v28, v23, v117, 0
	s_waitcnt lgkmcnt(0)
	v_bfe_u32 v0, v100, 4, 4
	v_dot4_i32_i8 v28, v24, v118, v28
	v_mul_lo_u32 v92, v0, s8
	v_dot4_i32_i8 v28, v73, v119, v28
	v_dot4_i32_i8 v98, v74, v120, v28
	v_and_b32_e32 v28, 15, v100
	v_and_b32_e32 v95, 0xffff, v28
	v_dot4_i32_i8 v0, v92, v6, 0
	v_mul_lo_u32 v28, v95, v93
	v_lshrrev_b32_sdwa v93, v103, v100 dst_sel:DWORD dst_unused:UNUSED_PAD src0_sel:DWORD src1_sel:BYTE_1
	v_dot4_i32_i8 v0, v92, v7, v0
	v_mul_lo_u32 v93, v93, s8
	v_dot4_i32_i8 v0, v92, v8, v0
	v_dot4_i32_i8 v113, v92, v9, v0
	v_and_b32_sdwa v0, v100, v94 dst_sel:DWORD dst_unused:UNUSED_PAD src0_sel:BYTE_1 src1_sel:DWORD
	v_and_b32_e32 v0, 0xffff, v0
	v_dot4_i32_i8 v100, v93, v2, v113
	v_mad_u64_u32 v[113:114], s[16:17], v0, v96, v[28:29]
	v_dot4_i32_i8 v28, v92, v108, 0
	v_dot4_i32_i8 v28, v92, v109, v28
	;; [unrolled: 1-line block ×10, first 2 shown]
	v_mul_lo_u32 v28, v58, v95
	v_dot4_i32_i8 v100, v93, v5, v100
	v_cvt_f32_i32_e32 v100, v100
	v_cvt_f32_f16_sdwa v96, v75 dst_sel:DWORD dst_unused:UNUSED_PAD src0_sel:WORD_1
	v_cvt_f32_i32_e32 v115, v113
	v_mad_u64_u32 v[113:114], s[16:17], v98, v0, v[28:29]
	v_mul_f32_e32 v28, v96, v100
	v_fma_mix_f32 v28, v75, v115, -v28 op_sel_hi:[1,0,0]
	v_cvt_f32_i32_e32 v58, v116
	v_fmac_f32_e32 v50, v29, v28
	v_cvt_f32_i32_e32 v28, v113
	ds_read_u16 v113, v97 offset:26096
	v_mul_f32_e32 v58, v96, v58
	v_dot4_i32_i8 v11, v15, v8, v11
	v_fma_mix_f32 v28, v75, v28, -v58 op_sel_hi:[1,0,0]
	v_fmac_f32_e32 v80, v30, v28
	v_dot4_i32_i8 v28, v79, v108, 0
	v_dot4_i32_i8 v28, v82, v109, v28
	;; [unrolled: 1-line block ×8, first 2 shown]
	s_waitcnt lgkmcnt(0)
	v_bfe_u32 v28, v113, 4, 4
	v_mul_lo_u32 v98, v28, s8
	v_and_b32_sdwa v97, v113, v94 dst_sel:DWORD dst_unused:UNUSED_PAD src0_sel:BYTE_1 src1_sel:DWORD
	v_and_b32_e32 v97, 0xffff, v97
	v_dot4_i32_i8 v14, v64, v9, v11
	v_dot4_i32_i8 v28, v98, v6, 0
	v_dot4_i32_i8 v28, v98, v7, v28
	v_dot4_i32_i8 v28, v98, v8, v28
	v_dot4_i32_i8 v114, v98, v9, v28
	v_and_b32_e32 v28, 15, v113
	v_and_b32_e32 v100, 0xffff, v28
	v_mul_lo_u32 v28, v100, v99
	v_lshrrev_b32_sdwa v99, v103, v113 dst_sel:DWORD dst_unused:UNUSED_PAD src0_sel:DWORD src1_sel:BYTE_1
	v_mul_lo_u32 v99, v99, s8
	v_dot4_i32_i8 v11, v13, v2, 0
	v_dot4_i32_i8 v11, v62, v3, v11
	;; [unrolled: 1-line block ×7, first 2 shown]
	v_mad_u64_u32 v[113:114], s[16:17], v97, v101, v[28:29]
	v_dot4_i32_i8 v28, v98, v108, 0
	v_dot4_i32_i8 v28, v98, v109, v28
	;; [unrolled: 1-line block ×8, first 2 shown]
	v_mul_lo_u32 v28, v58, v100
	v_cvt_f32_i32_e32 v116, v116
	v_cvt_f32_f16_sdwa v101, v83 dst_sel:DWORD dst_unused:UNUSED_PAD src0_sel:WORD_1
	v_cvt_f32_i32_e32 v121, v113
	v_mad_u64_u32 v[113:114], s[16:17], v115, v97, v[28:29]
	v_mul_f32_e32 v28, v101, v116
	v_fma_mix_f32 v28, v83, v121, -v28 op_sel_hi:[1,0,0]
	v_cvt_f32_i32_e32 v58, v122
	v_fmac_f32_e32 v91, v29, v28
	v_cvt_f32_i32_e32 v28, v113
	ds_read_u16 v113, v90 offset:27120
	v_mul_f32_e32 v58, v101, v58
	v_dot4_i32_i8 v11, v61, v5, v11
	v_fma_mix_f32 v28, v83, v28, -v58 op_sel_hi:[1,0,0]
	v_fmac_f32_e32 v76, v30, v28
	v_dot4_i32_i8 v28, v72, v108, 0
	v_dot4_i32_i8 v28, v20, v109, v28
	;; [unrolled: 1-line block ×8, first 2 shown]
	s_waitcnt lgkmcnt(0)
	v_bfe_u32 v28, v113, 4, 4
	v_mul_lo_u32 v115, v28, s8
	v_and_b32_sdwa v90, v113, v94 dst_sel:DWORD dst_unused:UNUSED_PAD src0_sel:BYTE_1 src1_sel:DWORD
	v_and_b32_e32 v114, 0xffff, v90
	v_dot4_i32_i8 v28, v115, v6, 0
	v_dot4_i32_i8 v28, v115, v7, v28
	;; [unrolled: 1-line block ×4, first 2 shown]
	v_and_b32_e32 v28, 15, v113
	v_and_b32_e32 v90, 0xffff, v28
	v_mul_lo_u32 v28, v90, v112
	v_lshrrev_b32_sdwa v112, v103, v113 dst_sel:DWORD dst_unused:UNUSED_PAD src0_sel:DWORD src1_sel:BYTE_1
	v_mul_lo_u32 v116, v112, s8
	v_dot4_i32_i8 v112, v116, v2, v122
	v_dot4_i32_i8 v112, v116, v3, v112
	;; [unrolled: 1-line block ×4, first 2 shown]
	v_mad_u64_u32 v[112:113], s[16:17], v114, v1, v[28:29]
	v_dot4_i32_i8 v1, v115, v108, 0
	v_dot4_i32_i8 v1, v115, v109, v1
	;; [unrolled: 1-line block ×8, first 2 shown]
	v_mul_lo_u32 v1, v58, v90
	v_cvt_f32_i32_e32 v28, v112
	v_cvt_f32_i32_e32 v122, v122
	v_mad_u64_u32 v[112:113], s[16:17], v121, v114, v[1:2]
	v_cvt_f32_f16_sdwa v1, v67 dst_sel:DWORD dst_unused:UNUSED_PAD src0_sel:WORD_1
	ds_read_u16 v121, v63 offset:28144
	v_mul_f32_e32 v58, v1, v122
	v_fma_mix_f32 v28, v67, v28, -v58 op_sel_hi:[1,0,0]
	s_waitcnt lgkmcnt(0)
	v_bfe_u32 v63, v121, 4, 4
	v_fmac_f32_e32 v89, v29, v28
	v_cvt_f32_i32_e32 v28, v112
	v_mul_lo_u32 v112, v63, s8
	v_cvt_f32_i32_e32 v58, v123
	v_dot4_i32_i8 v6, v112, v6, 0
	v_dot4_i32_i8 v6, v112, v7, v6
	;; [unrolled: 1-line block ×4, first 2 shown]
	v_and_b32_e32 v6, 15, v121
	v_and_b32_sdwa v8, v121, v94 dst_sel:DWORD dst_unused:UNUSED_PAD src0_sel:BYTE_1 src1_sel:DWORD
	v_and_b32_e32 v63, 0xffff, v8
	v_and_b32_e32 v113, 0xffff, v6
	v_lshrrev_b32_sdwa v8, v103, v121 dst_sel:DWORD dst_unused:UNUSED_PAD src0_sel:DWORD src1_sel:BYTE_1
	v_mul_lo_u32 v6, v113, v14
	v_mul_lo_u32 v14, v8, s8
	v_mul_f32_e32 v58, v1, v58
	v_fma_mix_f32 v28, v67, v28, -v58 op_sel_hi:[1,0,0]
	v_fmac_f32_e32 v71, v30, v28
	v_dot4_i32_i8 v2, v14, v2, v7
	v_dot4_i32_i8 v2, v14, v3, v2
	;; [unrolled: 1-line block ×4, first 2 shown]
	v_mad_u64_u32 v[2:3], s[16:17], v63, v11, v[6:7]
	v_dot4_i32_i8 v28, v16, v108, 0
	v_dot4_i32_i8 v28, v65, v109, v28
	v_cvt_f32_i32_e32 v5, v2
	v_dot4_i32_i8 v2, v112, v108, 0
	v_dot4_i32_i8 v2, v112, v109, v2
	;; [unrolled: 1-line block ×11, first 2 shown]
	v_mul_lo_u32 v2, v28, v113
	v_dot4_i32_i8 v58, v62, v118, v58
	v_cvt_f32_i32_e32 v4, v4
	v_cvt_f32_f16_sdwa v11, v60 dst_sel:DWORD dst_unused:UNUSED_PAD src0_sel:WORD_1
	v_dot4_i32_i8 v58, v12, v119, v58
	v_dot4_i32_i8 v58, v61, v120, v58
                                        ; kill: def $vgpr3 killed $sgpr0 killed $exec
	v_mad_u64_u32 v[2:3], s[16:17], v58, v63, v[2:3]
	v_mul_f32_e32 v3, v11, v4
	v_fma_mix_f32 v3, v60, v5, -v3 op_sel_hi:[1,0,0]
	v_fmac_f32_e32 v86, v29, v3
	v_cvt_f32_i32_e32 v3, v6
	v_cvt_f32_i32_e32 v2, v2
	v_mul_f32_e32 v3, v11, v3
	v_fma_mix_f32 v2, v60, v2, -v3 op_sel_hi:[1,0,0]
	v_fmac_f32_e32 v66, v30, v2
	ds_read2_b32 v[29:30], v106 offset0:64 offset1:96
	ds_read_b128 v[6:9], v107 offset:2048
	ds_read_b128 v[2:5], v107 offset:2064
	s_waitcnt lgkmcnt(1)
	v_dot4_i32_i8 v28, v25, v6, 0
	v_dot4_i32_i8 v28, v77, v7, v28
	v_dot4_i32_i8 v28, v21, v8, v28
	v_dot4_i32_i8 v58, v92, v6, 0
	v_dot4_i32_i8 v28, v22, v9, v28
	v_dot4_i32_i8 v58, v92, v7, v58
	v_mul_lo_u32 v28, v28, v95
	s_waitcnt lgkmcnt(0)
	v_dot4_i32_i8 v108, v23, v2, 0
	v_dot4_i32_i8 v58, v92, v8, v58
	v_dot4_i32_i8 v108, v24, v3, v108
	v_dot4_i32_i8 v58, v92, v9, v58
	v_dot4_i32_i8 v108, v73, v4, v108
	v_dot4_i32_i8 v58, v93, v2, v58
	v_dot4_i32_i8 v108, v74, v5, v108
	v_dot4_i32_i8 v58, v93, v3, v58
	v_mad_u64_u32 v[108:109], s[16:17], v108, v0, v[28:29]
	v_dot4_i32_i8 v58, v93, v4, v58
	v_dot4_i32_i8 v58, v93, v5, v58
	v_cvt_f32_i32_e32 v58, v58
	v_cvt_f32_i32_e32 v28, v108
	v_dot4_i32_i8 v108, v87, v2, 0
	v_dot4_i32_i8 v108, v88, v3, v108
	v_mul_f32_e32 v58, v96, v58
	v_fma_mix_f32 v28, v75, v28, -v58 op_sel_hi:[1,0,0]
	v_fmac_f32_e32 v59, v29, v28
	v_dot4_i32_i8 v28, v79, v6, 0
	v_dot4_i32_i8 v28, v82, v7, v28
	;; [unrolled: 1-line block ×6, first 2 shown]
	v_mul_lo_u32 v28, v28, v100
	v_dot4_i32_i8 v58, v98, v8, v58
	v_dot4_i32_i8 v58, v98, v9, v58
	;; [unrolled: 1-line block ×6, first 2 shown]
	v_mad_u64_u32 v[108:109], s[16:17], v108, v97, v[28:29]
	v_dot4_i32_i8 v58, v99, v4, v58
	v_dot4_i32_i8 v58, v99, v5, v58
	v_cvt_f32_i32_e32 v58, v58
	v_cvt_f32_i32_e32 v28, v108
	v_dot4_i32_i8 v108, v18, v2, 0
	v_dot4_i32_i8 v108, v69, v3, v108
	v_mul_f32_e32 v58, v101, v58
	v_fma_mix_f32 v28, v83, v28, -v58 op_sel_hi:[1,0,0]
	v_fmac_f32_e32 v55, v29, v28
	v_dot4_i32_i8 v28, v72, v6, 0
	v_dot4_i32_i8 v28, v20, v7, v28
	;; [unrolled: 1-line block ×6, first 2 shown]
	v_mul_lo_u32 v28, v28, v90
	v_dot4_i32_i8 v58, v115, v8, v58
	v_dot4_i32_i8 v58, v115, v9, v58
	v_dot4_i32_i8 v108, v19, v4, v108
	v_dot4_i32_i8 v58, v116, v2, v58
	v_dot4_i32_i8 v108, v70, v5, v108
	v_dot4_i32_i8 v58, v116, v3, v58
	v_mad_u64_u32 v[108:109], s[16:17], v108, v114, v[28:29]
	v_dot4_i32_i8 v58, v116, v4, v58
	v_dot4_i32_i8 v58, v116, v5, v58
	v_cvt_f32_i32_e32 v58, v58
	v_cvt_f32_i32_e32 v28, v108
	v_mul_f32_e32 v58, v1, v58
	v_fma_mix_f32 v28, v67, v28, -v58 op_sel_hi:[1,0,0]
	v_fmac_f32_e32 v54, v29, v28
	v_dot4_i32_i8 v28, v16, v6, 0
	v_dot4_i32_i8 v6, v112, v6, 0
	;; [unrolled: 1-line block ×8, first 2 shown]
	v_mul_lo_u32 v6, v7, v113
	v_dot4_i32_i8 v7, v13, v2, 0
	v_dot4_i32_i8 v2, v14, v2, v8
	;; [unrolled: 1-line block ×8, first 2 shown]
	v_mad_u64_u32 v[2:3], s[16:17], v3, v63, v[6:7]
	v_cvt_f32_i32_e32 v3, v4
	v_cvt_f32_i32_e32 v2, v2
	v_mul_f32_e32 v3, v11, v3
	v_fma_mix_f32 v2, v60, v2, -v3 op_sel_hi:[1,0,0]
	v_fmac_f32_e32 v53, v29, v2
	ds_read_b128 v[6:9], v107 offset:3072
	ds_read_b128 v[2:5], v107 offset:3088
	s_waitcnt lgkmcnt(1)
	v_dot4_i32_i8 v28, v25, v6, 0
	v_dot4_i32_i8 v29, v92, v6, 0
	;; [unrolled: 1-line block ×8, first 2 shown]
	v_mul_lo_u32 v28, v28, v95
	s_waitcnt lgkmcnt(0)
	v_dot4_i32_i8 v58, v23, v2, 0
	v_dot4_i32_i8 v29, v93, v2, v29
	;; [unrolled: 1-line block ×8, first 2 shown]
                                        ; kill: def $vgpr29 killed $sgpr0 killed $exec
	v_mad_u64_u32 v[28:29], s[16:17], v58, v0, v[28:29]
	v_cvt_f32_i32_e32 v29, v108
	v_dot4_i32_i8 v58, v87, v2, 0
	v_cvt_f32_i32_e32 v28, v28
	v_dot4_i32_i8 v58, v88, v3, v58
	v_mul_f32_e32 v29, v96, v29
	v_dot4_i32_i8 v58, v26, v4, v58
	v_fma_mix_f32 v28, v75, v28, -v29 op_sel_hi:[1,0,0]
	v_fmac_f32_e32 v52, v30, v28
	v_dot4_i32_i8 v28, v79, v6, 0
	v_dot4_i32_i8 v29, v98, v6, 0
	;; [unrolled: 1-line block ×8, first 2 shown]
	v_mul_lo_u32 v28, v28, v100
	v_dot4_i32_i8 v29, v99, v2, v29
	v_dot4_i32_i8 v29, v99, v3, v29
	;; [unrolled: 1-line block ×5, first 2 shown]
                                        ; kill: def $vgpr29 killed $sgpr0 killed $exec
	v_mad_u64_u32 v[28:29], s[16:17], v58, v97, v[28:29]
	v_cvt_f32_i32_e32 v29, v108
	v_dot4_i32_i8 v58, v18, v2, 0
	v_cvt_f32_i32_e32 v28, v28
	v_dot4_i32_i8 v58, v69, v3, v58
	v_mul_f32_e32 v29, v101, v29
	v_dot4_i32_i8 v58, v19, v4, v58
	v_fma_mix_f32 v28, v83, v28, -v29 op_sel_hi:[1,0,0]
	v_fmac_f32_e32 v51, v30, v28
	v_dot4_i32_i8 v28, v72, v6, 0
	v_dot4_i32_i8 v29, v115, v6, 0
	;; [unrolled: 1-line block ×8, first 2 shown]
	v_mul_lo_u32 v28, v28, v90
	v_dot4_i32_i8 v29, v116, v2, v29
	v_dot4_i32_i8 v29, v116, v3, v29
	;; [unrolled: 1-line block ×5, first 2 shown]
                                        ; kill: def $vgpr29 killed $sgpr0 killed $exec
	v_mad_u64_u32 v[28:29], s[16:17], v58, v114, v[28:29]
	v_cvt_f32_i32_e32 v29, v108
	v_cvt_f32_i32_e32 v28, v28
	v_mul_f32_e32 v29, v1, v29
	v_fma_mix_f32 v28, v67, v28, -v29 op_sel_hi:[1,0,0]
	v_fmac_f32_e32 v49, v30, v28
	v_dot4_i32_i8 v28, v16, v6, 0
	v_dot4_i32_i8 v6, v112, v6, 0
	v_dot4_i32_i8 v28, v65, v7, v28
	v_dot4_i32_i8 v6, v112, v7, v6
	v_dot4_i32_i8 v7, v15, v8, v28
	v_dot4_i32_i8 v6, v112, v8, v6
	v_dot4_i32_i8 v7, v64, v9, v7
	v_dot4_i32_i8 v8, v112, v9, v6
	v_mul_lo_u32 v6, v7, v113
	v_dot4_i32_i8 v7, v13, v2, 0
	v_dot4_i32_i8 v2, v14, v2, v8
	;; [unrolled: 1-line block ×8, first 2 shown]
	v_mad_u64_u32 v[2:3], s[16:17], v3, v63, v[6:7]
	v_cvt_f32_i32_e32 v3, v4
	v_cvt_f32_i32_e32 v2, v2
	v_mul_f32_e32 v3, v11, v3
	v_fma_mix_f32 v2, v60, v2, -v3 op_sel_hi:[1,0,0]
	v_fmac_f32_e32 v47, v30, v2
	ds_read2_b32 v[29:30], v106 offset0:128 offset1:160
	ds_read_b128 v[6:9], v107 offset:4096
	ds_read_b128 v[2:5], v107 offset:4112
	s_waitcnt lgkmcnt(1)
	v_dot4_i32_i8 v28, v25, v6, 0
	v_dot4_i32_i8 v28, v77, v7, v28
	;; [unrolled: 1-line block ×6, first 2 shown]
	v_mul_lo_u32 v28, v28, v95
	s_waitcnt lgkmcnt(0)
	v_dot4_i32_i8 v108, v23, v2, 0
	v_dot4_i32_i8 v58, v92, v8, v58
	v_dot4_i32_i8 v108, v24, v3, v108
	v_dot4_i32_i8 v58, v92, v9, v58
	v_dot4_i32_i8 v108, v73, v4, v108
	v_dot4_i32_i8 v58, v93, v2, v58
	v_dot4_i32_i8 v108, v74, v5, v108
	v_dot4_i32_i8 v58, v93, v3, v58
	v_mad_u64_u32 v[108:109], s[16:17], v108, v0, v[28:29]
	v_dot4_i32_i8 v58, v93, v4, v58
	v_dot4_i32_i8 v58, v93, v5, v58
	v_cvt_f32_i32_e32 v58, v58
	v_cvt_f32_i32_e32 v28, v108
	v_dot4_i32_i8 v108, v87, v2, 0
	v_dot4_i32_i8 v108, v88, v3, v108
	v_mul_f32_e32 v58, v96, v58
	v_fma_mix_f32 v28, v75, v28, -v58 op_sel_hi:[1,0,0]
	v_fmac_f32_e32 v46, v29, v28
	v_dot4_i32_i8 v28, v79, v6, 0
	v_dot4_i32_i8 v28, v82, v7, v28
	;; [unrolled: 1-line block ×6, first 2 shown]
	v_mul_lo_u32 v28, v28, v100
	v_dot4_i32_i8 v58, v98, v8, v58
	v_dot4_i32_i8 v58, v98, v9, v58
	;; [unrolled: 1-line block ×6, first 2 shown]
	v_mad_u64_u32 v[108:109], s[16:17], v108, v97, v[28:29]
	v_dot4_i32_i8 v58, v99, v4, v58
	v_dot4_i32_i8 v58, v99, v5, v58
	v_cvt_f32_i32_e32 v58, v58
	v_cvt_f32_i32_e32 v28, v108
	v_dot4_i32_i8 v108, v18, v2, 0
	v_dot4_i32_i8 v108, v69, v3, v108
	v_mul_f32_e32 v58, v101, v58
	v_fma_mix_f32 v28, v83, v28, -v58 op_sel_hi:[1,0,0]
	v_fmac_f32_e32 v45, v29, v28
	v_dot4_i32_i8 v28, v72, v6, 0
	v_dot4_i32_i8 v28, v20, v7, v28
	;; [unrolled: 1-line block ×6, first 2 shown]
	v_mul_lo_u32 v28, v28, v90
	v_dot4_i32_i8 v58, v115, v8, v58
	v_dot4_i32_i8 v58, v115, v9, v58
	;; [unrolled: 1-line block ×6, first 2 shown]
	v_mad_u64_u32 v[108:109], s[16:17], v108, v114, v[28:29]
	v_dot4_i32_i8 v58, v116, v4, v58
	v_dot4_i32_i8 v58, v116, v5, v58
	v_cvt_f32_i32_e32 v58, v58
	v_cvt_f32_i32_e32 v28, v108
	v_mul_f32_e32 v58, v1, v58
	v_fma_mix_f32 v28, v67, v28, -v58 op_sel_hi:[1,0,0]
	v_fmac_f32_e32 v44, v29, v28
	v_dot4_i32_i8 v28, v16, v6, 0
	v_dot4_i32_i8 v6, v112, v6, 0
	;; [unrolled: 1-line block ×8, first 2 shown]
	v_mul_lo_u32 v6, v7, v113
	v_dot4_i32_i8 v7, v13, v2, 0
	v_dot4_i32_i8 v2, v14, v2, v8
	;; [unrolled: 1-line block ×8, first 2 shown]
	v_mad_u64_u32 v[2:3], s[16:17], v3, v63, v[6:7]
	v_cvt_f32_i32_e32 v3, v4
	v_cvt_f32_i32_e32 v2, v2
	v_mul_f32_e32 v3, v11, v3
	v_fma_mix_f32 v2, v60, v2, -v3 op_sel_hi:[1,0,0]
	v_fmac_f32_e32 v43, v29, v2
	ds_read_b128 v[6:9], v107 offset:5120
	ds_read_b128 v[2:5], v107 offset:5136
	s_waitcnt lgkmcnt(1)
	v_dot4_i32_i8 v28, v25, v6, 0
	v_dot4_i32_i8 v29, v92, v6, 0
	;; [unrolled: 1-line block ×8, first 2 shown]
	v_mul_lo_u32 v28, v28, v95
	s_waitcnt lgkmcnt(0)
	v_dot4_i32_i8 v58, v23, v2, 0
	v_dot4_i32_i8 v29, v93, v2, v29
	v_dot4_i32_i8 v58, v24, v3, v58
	v_dot4_i32_i8 v29, v93, v3, v29
	v_dot4_i32_i8 v58, v73, v4, v58
	v_dot4_i32_i8 v29, v93, v4, v29
	v_dot4_i32_i8 v58, v74, v5, v58
	v_dot4_i32_i8 v108, v93, v5, v29
                                        ; kill: def $vgpr29 killed $sgpr0 killed $exec
	v_mad_u64_u32 v[28:29], s[16:17], v58, v0, v[28:29]
	v_cvt_f32_i32_e32 v29, v108
	v_dot4_i32_i8 v58, v87, v2, 0
	v_cvt_f32_i32_e32 v28, v28
	v_dot4_i32_i8 v58, v88, v3, v58
	v_mul_f32_e32 v29, v96, v29
	v_dot4_i32_i8 v58, v26, v4, v58
	v_fma_mix_f32 v28, v75, v28, -v29 op_sel_hi:[1,0,0]
	v_fmac_f32_e32 v42, v30, v28
	v_dot4_i32_i8 v28, v79, v6, 0
	v_dot4_i32_i8 v29, v98, v6, 0
	;; [unrolled: 1-line block ×8, first 2 shown]
	v_mul_lo_u32 v28, v28, v100
	v_dot4_i32_i8 v29, v99, v2, v29
	v_dot4_i32_i8 v29, v99, v3, v29
	;; [unrolled: 1-line block ×5, first 2 shown]
                                        ; kill: def $vgpr29 killed $sgpr0 killed $exec
	v_mad_u64_u32 v[28:29], s[16:17], v58, v97, v[28:29]
	v_cvt_f32_i32_e32 v29, v108
	v_dot4_i32_i8 v58, v18, v2, 0
	v_cvt_f32_i32_e32 v28, v28
	v_dot4_i32_i8 v58, v69, v3, v58
	v_mul_f32_e32 v29, v101, v29
	v_dot4_i32_i8 v58, v19, v4, v58
	v_fma_mix_f32 v28, v83, v28, -v29 op_sel_hi:[1,0,0]
	v_fmac_f32_e32 v41, v30, v28
	v_dot4_i32_i8 v28, v72, v6, 0
	v_dot4_i32_i8 v29, v115, v6, 0
	;; [unrolled: 1-line block ×8, first 2 shown]
	v_mul_lo_u32 v28, v28, v90
	v_dot4_i32_i8 v29, v116, v2, v29
	v_dot4_i32_i8 v29, v116, v3, v29
	;; [unrolled: 1-line block ×5, first 2 shown]
                                        ; kill: def $vgpr29 killed $sgpr0 killed $exec
	v_mad_u64_u32 v[28:29], s[16:17], v58, v114, v[28:29]
	v_cvt_f32_i32_e32 v29, v108
	v_cvt_f32_i32_e32 v28, v28
	v_mul_f32_e32 v29, v1, v29
	v_fma_mix_f32 v28, v67, v28, -v29 op_sel_hi:[1,0,0]
	v_fmac_f32_e32 v40, v30, v28
	v_dot4_i32_i8 v28, v16, v6, 0
	v_dot4_i32_i8 v6, v112, v6, 0
	;; [unrolled: 1-line block ×8, first 2 shown]
	v_mul_lo_u32 v6, v7, v113
	v_dot4_i32_i8 v7, v13, v2, 0
	v_dot4_i32_i8 v2, v14, v2, v8
	;; [unrolled: 1-line block ×8, first 2 shown]
	v_mad_u64_u32 v[2:3], s[16:17], v3, v63, v[6:7]
	v_cvt_f32_i32_e32 v3, v4
	v_cvt_f32_i32_e32 v2, v2
	v_mul_f32_e32 v3, v11, v3
	v_fma_mix_f32 v2, v60, v2, -v3 op_sel_hi:[1,0,0]
	v_fmac_f32_e32 v39, v30, v2
	ds_read2_b32 v[29:30], v106 offset0:192 offset1:224
	ds_read_b128 v[6:9], v107 offset:6144
	ds_read_b128 v[2:5], v107 offset:6160
	v_add_u32_e32 v106, 4, v106
	s_waitcnt lgkmcnt(1)
	v_dot4_i32_i8 v28, v25, v6, 0
	v_dot4_i32_i8 v28, v77, v7, v28
	;; [unrolled: 1-line block ×6, first 2 shown]
	v_mul_lo_u32 v28, v28, v95
	s_waitcnt lgkmcnt(0)
	v_dot4_i32_i8 v108, v23, v2, 0
	v_dot4_i32_i8 v58, v92, v8, v58
	;; [unrolled: 1-line block ×8, first 2 shown]
	v_mad_u64_u32 v[108:109], s[16:17], v108, v0, v[28:29]
	v_dot4_i32_i8 v58, v93, v4, v58
	v_dot4_i32_i8 v58, v93, v5, v58
	v_cvt_f32_i32_e32 v58, v58
	v_cvt_f32_i32_e32 v28, v108
	v_dot4_i32_i8 v108, v87, v2, 0
	v_dot4_i32_i8 v108, v88, v3, v108
	v_mul_f32_e32 v58, v96, v58
	v_fma_mix_f32 v28, v75, v28, -v58 op_sel_hi:[1,0,0]
	v_fmac_f32_e32 v38, v29, v28
	v_dot4_i32_i8 v28, v79, v6, 0
	v_dot4_i32_i8 v28, v82, v7, v28
	;; [unrolled: 1-line block ×6, first 2 shown]
	v_mul_lo_u32 v28, v28, v100
	v_dot4_i32_i8 v58, v98, v8, v58
	v_dot4_i32_i8 v58, v98, v9, v58
	;; [unrolled: 1-line block ×6, first 2 shown]
	v_mad_u64_u32 v[108:109], s[16:17], v108, v97, v[28:29]
	v_dot4_i32_i8 v58, v99, v4, v58
	v_dot4_i32_i8 v58, v99, v5, v58
	v_cvt_f32_i32_e32 v58, v58
	v_cvt_f32_i32_e32 v28, v108
	v_dot4_i32_i8 v108, v18, v2, 0
	v_dot4_i32_i8 v108, v69, v3, v108
	v_mul_f32_e32 v58, v101, v58
	v_fma_mix_f32 v28, v83, v28, -v58 op_sel_hi:[1,0,0]
	v_fmac_f32_e32 v37, v29, v28
	v_dot4_i32_i8 v28, v72, v6, 0
	v_dot4_i32_i8 v28, v20, v7, v28
	;; [unrolled: 1-line block ×6, first 2 shown]
	v_mul_lo_u32 v28, v28, v90
	v_dot4_i32_i8 v58, v115, v8, v58
	v_dot4_i32_i8 v58, v115, v9, v58
	v_dot4_i32_i8 v108, v19, v4, v108
	v_dot4_i32_i8 v58, v116, v2, v58
	v_dot4_i32_i8 v108, v70, v5, v108
	v_dot4_i32_i8 v58, v116, v3, v58
	v_mad_u64_u32 v[108:109], s[16:17], v108, v114, v[28:29]
	v_dot4_i32_i8 v58, v116, v4, v58
	v_dot4_i32_i8 v58, v116, v5, v58
	v_cvt_f32_i32_e32 v58, v58
	v_cvt_f32_i32_e32 v28, v108
	v_mul_f32_e32 v58, v1, v58
	v_fma_mix_f32 v28, v67, v28, -v58 op_sel_hi:[1,0,0]
	v_fmac_f32_e32 v36, v29, v28
	v_dot4_i32_i8 v28, v16, v6, 0
	v_dot4_i32_i8 v6, v112, v6, 0
	;; [unrolled: 1-line block ×8, first 2 shown]
	v_mul_lo_u32 v6, v7, v113
	v_dot4_i32_i8 v7, v13, v2, 0
	v_dot4_i32_i8 v2, v14, v2, v8
	v_dot4_i32_i8 v7, v62, v3, v7
	v_dot4_i32_i8 v2, v14, v3, v2
	v_dot4_i32_i8 v3, v12, v4, v7
	v_dot4_i32_i8 v2, v14, v4, v2
	v_dot4_i32_i8 v3, v61, v5, v3
	v_dot4_i32_i8 v4, v14, v5, v2
	v_mad_u64_u32 v[2:3], s[16:17], v3, v63, v[6:7]
	v_cvt_f32_i32_e32 v3, v4
	v_cvt_f32_i32_e32 v2, v2
	v_mul_f32_e32 v3, v11, v3
	v_fma_mix_f32 v2, v60, v2, -v3 op_sel_hi:[1,0,0]
	v_fmac_f32_e32 v35, v29, v2
	ds_read_b128 v[6:9], v107 offset:7168
	ds_read_b128 v[2:5], v107 offset:7184
	v_add_u32_e32 v107, 32, v107
	s_waitcnt lgkmcnt(1)
	v_dot4_i32_i8 v25, v25, v6, 0
	v_dot4_i32_i8 v28, v92, v6, 0
	;; [unrolled: 1-line block ×8, first 2 shown]
	v_mul_lo_u32 v21, v21, v95
	s_waitcnt lgkmcnt(0)
	v_dot4_i32_i8 v23, v23, v2, 0
	v_dot4_i32_i8 v22, v93, v2, v22
	;; [unrolled: 1-line block ×8, first 2 shown]
                                        ; kill: def $vgpr22 killed $sgpr0 killed $exec
	v_dot4_i32_i8 v18, v18, v2, 0
	v_mad_u64_u32 v[21:22], s[16:17], v23, v0, v[21:22]
	v_dot4_i32_i8 v22, v87, v2, 0
	v_dot4_i32_i8 v22, v88, v3, v22
	v_cvt_f32_i32_e32 v0, v21
	v_cvt_f32_i32_e32 v21, v24
	v_dot4_i32_i8 v22, v26, v4, v22
	v_dot4_i32_i8 v22, v102, v5, v22
	v_dot4_i32_i8 v18, v69, v3, v18
	v_mul_f32_e32 v21, v96, v21
	v_fma_mix_f32 v0, v75, v0, -v21 op_sel_hi:[1,0,0]
	v_fmac_f32_e32 v34, v30, v0
	v_dot4_i32_i8 v0, v79, v6, 0
	v_dot4_i32_i8 v21, v98, v6, 0
	;; [unrolled: 1-line block ×8, first 2 shown]
	v_mul_lo_u32 v0, v0, v100
	v_dot4_i32_i8 v21, v99, v2, v21
	v_dot4_i32_i8 v21, v99, v3, v21
	;; [unrolled: 1-line block ×4, first 2 shown]
	v_mad_u64_u32 v[21:22], s[16:17], v22, v97, v[0:1]
	v_dot4_i32_i8 v18, v19, v4, v18
	v_dot4_i32_i8 v18, v70, v5, v18
	v_cvt_f32_i32_e32 v0, v21
	v_cvt_f32_i32_e32 v21, v23
	v_mul_f32_e32 v21, v101, v21
	v_fma_mix_f32 v0, v83, v0, -v21 op_sel_hi:[1,0,0]
	v_fmac_f32_e32 v33, v30, v0
	v_dot4_i32_i8 v0, v72, v6, 0
	v_dot4_i32_i8 v21, v115, v6, 0
	;; [unrolled: 1-line block ×8, first 2 shown]
	v_mul_lo_u32 v0, v0, v90
	v_dot4_i32_i8 v17, v116, v2, v17
	v_dot4_i32_i8 v17, v116, v3, v17
	;; [unrolled: 1-line block ×4, first 2 shown]
	v_mad_u64_u32 v[17:18], s[16:17], v18, v114, v[0:1]
	v_cvt_f32_i32_e32 v0, v17
	v_cvt_f32_i32_e32 v17, v19
	v_mul_f32_e32 v1, v1, v17
	v_fma_mix_f32 v0, v67, v0, -v1 op_sel_hi:[1,0,0]
	v_fmac_f32_e32 v32, v30, v0
	v_dot4_i32_i8 v0, v16, v6, 0
	v_dot4_i32_i8 v1, v112, v6, 0
	;; [unrolled: 1-line block ×8, first 2 shown]
	v_mul_lo_u32 v6, v6, v113
	v_dot4_i32_i8 v1, v13, v2, 0
	v_dot4_i32_i8 v1, v62, v3, v1
	;; [unrolled: 1-line block ×6, first 2 shown]
	v_mad_u64_u32 v[1:2], s[16:17], v1, v63, v[6:7]
	v_dot4_i32_i8 v0, v14, v4, v0
	v_dot4_i32_i8 v0, v14, v5, v0
	v_cvt_f32_i32_e32 v0, v0
	v_cvt_f32_i32_e32 v1, v1
	s_add_i32 s16, s11, 2
	s_cmp_lt_u32 s11, 22
	v_mul_f32_e32 v0, v11, v0
	v_fma_mix_f32 v0, v60, v1, -v0 op_sel_hi:[1,0,0]
	v_fmac_f32_e32 v31, v30, v0
	s_mov_b32 s11, s16
	s_cbranch_scc1 .LBB128_12
; %bb.13:                               ;   in Loop: Header=BB128_6 Depth=1
	s_barrier
	buffer_load_dword v0, off, s[20:23], 0 offset:416 ; 4-byte Folded Reload
	s_waitcnt vmcnt(0)
	v_add_u32_e32 v2, s9, v0
	buffer_load_dword v0, off, s[20:23], 0 offset:8 ; 4-byte Folded Reload
	buffer_load_dword v3, off, s[20:23], 0 offset:40 ; 4-byte Folded Reload
	;; [unrolled: 1-line block ×3, first 2 shown]
	s_mov_b32 s9, 24
	s_waitcnt vmcnt(2)
	v_add_u32_e32 v0, v2, v0
	s_waitcnt vmcnt(0)
	v_mad_i64_i32 v[0:1], s[16:17], v0, 36, v[3:4]
	global_load_dword v0, v[0:1], off offset:4
	s_nop 0
	buffer_load_dword v1, off, s[20:23], 0 offset:88 ; 4-byte Folded Reload
	s_waitcnt vmcnt(0)
	ds_write_b32 v1, v0
	buffer_load_dword v0, off, s[20:23], 0 offset:12 ; 4-byte Folded Reload
	s_waitcnt vmcnt(0)
	v_add_u32_e32 v0, v2, v0
	v_mad_i64_i32 v[0:1], s[16:17], v0, 36, v[3:4]
	global_load_dword v0, v[0:1], off offset:4
	s_nop 0
	buffer_load_dword v1, off, s[20:23], 0 offset:56 ; 4-byte Folded Reload
	s_waitcnt vmcnt(0)
	ds_write_b32 v1, v0
	buffer_load_dword v0, off, s[20:23], 0 offset:16 ; 4-byte Folded Reload
	s_waitcnt vmcnt(0)
	v_add_u32_e32 v0, v2, v0
	;; [unrolled: 9-line block ×8, first 2 shown]
	v_mad_u64_u32 v[0:1], s[16:17], v0, 36, s[2:3]
	global_load_dword v0, v[0:1], off
	s_nop 0
	buffer_load_dword v1, off, s[20:23], 0 offset:4 ; 4-byte Folded Reload
	s_waitcnt vmcnt(1)
	v_cvt_f32_f16_e32 v0, v0
	s_waitcnt vmcnt(0)
	ds_write_b32 v1, v0
	s_waitcnt lgkmcnt(0)
	s_barrier
	buffer_load_dword v0, off, s[20:23], 0 offset:52 ; 4-byte Folded Reload
	buffer_load_dword v58, off, s[20:23], 0 offset:48 ; 4-byte Folded Reload
.LBB128_14:                             ;   Parent Loop BB128_6 Depth=1
                                        ; =>  This Inner Loop Header: Depth=2
	s_and_b32 s16, s9, 0x3ffffff8
	v_lshl_add_u32 v14, s16, 2, v105
	s_waitcnt vmcnt(0)
	ds_read2_b32 v[29:30], v58 offset1:32
	ds_read_b128 v[6:9], v0
	ds_read_b128 v[2:5], v0 offset:16
	ds_read2_b32 v[11:12], v14 offset1:1
	s_sub_i32 s17, s9, 24
	s_lshr_b32 s16, s9, 2
	s_and_b32 s16, s16, 0x3ffffffc
	s_addk_i32 s16, 0x7280
	s_waitcnt lgkmcnt(0)
	v_ashrrev_i32_e32 v1, s17, v11
	v_and_b32_e32 v25, 0x3030303, v1
	v_ashrrev_i32_e32 v1, s17, v12
	ds_read2_b32 v[11:12], v14 offset0:2 offset1:3
	v_and_b32_e32 v77, 0x3030303, v1
	s_and_b32 s11, s9, -16
	s_add_i32 s11, s9, s11
	v_add_u32_e32 v92, s11, v10
	s_waitcnt lgkmcnt(0)
	v_ashrrev_i32_e32 v1, s17, v11
	v_and_b32_e32 v21, 0x3030303, v1
	v_ashrrev_i32_e32 v1, s17, v12
	ds_read2_b32 v[11:12], v14 offset0:4 offset1:5
	v_and_b32_e32 v22, 0x3030303, v1
	v_add_u32_e32 v97, s11, v57
	v_add_u32_e32 v90, s11, v56
	;; [unrolled: 1-line block ×3, first 2 shown]
	s_waitcnt lgkmcnt(0)
	v_ashrrev_i32_e32 v1, s17, v11
	v_and_b32_e32 v23, 0x3030303, v1
	v_ashrrev_i32_e32 v1, s17, v12
	ds_read2_b32 v[11:12], v14 offset0:6 offset1:7
	v_and_b32_e32 v24, 0x3030303, v1
	s_add_i32 s11, s9, 2
	s_cmp_lt_u32 s9, 30
	s_mov_b32 s9, s11
	s_waitcnt lgkmcnt(0)
	v_ashrrev_i32_e32 v1, s17, v11
	v_and_b32_e32 v73, 0x3030303, v1
	v_ashrrev_i32_e32 v1, s17, v12
	v_and_b32_e32 v74, 0x3030303, v1
	v_add3_u32 v1, s16, v104, v124
	ds_read_b32 v75, v1
	v_dot4_i32_i8 v1, v25, v6, 0
	v_dot4_i32_i8 v1, v77, v7, v1
	;; [unrolled: 1-line block ×8, first 2 shown]
	v_add_u32_e32 v1, 0x1080, v14
	ds_read2_b32 v[11:12], v1 offset1:1
	s_waitcnt lgkmcnt(0)
	v_ashrrev_i32_e32 v1, s17, v11
	v_and_b32_e32 v79, 0x3030303, v1
	v_ashrrev_i32_e32 v1, s17, v12
	v_and_b32_e32 v82, 0x3030303, v1
	v_add_u32_e32 v1, 0x1088, v14
	ds_read2_b32 v[11:12], v1 offset1:1
	s_waitcnt lgkmcnt(0)
	v_ashrrev_i32_e32 v1, s17, v11
	v_and_b32_e32 v84, 0x3030303, v1
	v_ashrrev_i32_e32 v1, s17, v12
	v_and_b32_e32 v85, 0x3030303, v1
	;; [unrolled: 7-line block ×4, first 2 shown]
	v_add3_u32 v1, s16, v125, v126
	ds_read_b32 v83, v1
	v_dot4_i32_i8 v1, v79, v6, 0
	v_dot4_i32_i8 v1, v82, v7, v1
	;; [unrolled: 1-line block ×8, first 2 shown]
	v_add_u32_e32 v1, 0x2100, v14
	ds_read2_b32 v[11:12], v1 offset1:1
	s_waitcnt lgkmcnt(0)
	v_ashrrev_i32_e32 v1, s17, v11
	v_and_b32_e32 v72, 0x3030303, v1
	v_ashrrev_i32_e32 v1, s17, v12
	v_and_b32_e32 v20, 0x3030303, v1
	v_add_u32_e32 v1, 0x2108, v14
	ds_read2_b32 v[11:12], v1 offset1:1
	s_waitcnt lgkmcnt(0)
	v_ashrrev_i32_e32 v1, s17, v11
	v_and_b32_e32 v17, 0x3030303, v1
	v_ashrrev_i32_e32 v1, s17, v12
	v_and_b32_e32 v68, 0x3030303, v1
	;; [unrolled: 7-line block ×4, first 2 shown]
	v_add3_u32 v1, s16, v127, v48
	v_add_u32_e32 v11, 0x3180, v14
	ds_read_b32 v67, v1
	ds_read2_b32 v[11:12], v11 offset1:1
	v_dot4_i32_i8 v1, v72, v6, 0
	v_dot4_i32_i8 v1, v20, v7, v1
	;; [unrolled: 1-line block ×4, first 2 shown]
	s_waitcnt lgkmcnt(0)
	v_ashrrev_i32_e32 v11, s17, v11
	v_and_b32_e32 v16, 0x3030303, v11
	v_ashrrev_i32_e32 v11, s17, v12
	v_and_b32_e32 v65, 0x3030303, v11
	v_add_u32_e32 v11, 0x3188, v14
	ds_read2_b32 v[11:12], v11 offset1:1
	v_dot4_i32_i8 v1, v18, v2, 0
	v_dot4_i32_i8 v1, v69, v3, v1
	;; [unrolled: 1-line block ×4, first 2 shown]
	s_waitcnt lgkmcnt(0)
	v_ashrrev_i32_e32 v11, s17, v11
	v_and_b32_e32 v15, 0x3030303, v11
	v_ashrrev_i32_e32 v11, s17, v12
	v_and_b32_e32 v64, 0x3030303, v11
	v_add_u32_e32 v11, 0x3190, v14
	ds_read2_b32 v[11:12], v11 offset1:1
	s_waitcnt lgkmcnt(0)
	v_ashrrev_i32_e32 v11, s17, v11
	v_and_b32_e32 v13, 0x3030303, v11
	v_ashrrev_i32_e32 v11, s17, v12
	v_and_b32_e32 v62, 0x3030303, v11
	v_add_u32_e32 v11, 0x3198, v14
	ds_read2_b32 v[60:61], v11 offset1:1
	s_waitcnt lgkmcnt(0)
	v_ashrrev_i32_e32 v11, s17, v60
	v_and_b32_e32 v12, 0x3030303, v11
	v_ashrrev_i32_e32 v11, s17, v61
	v_and_b32_e32 v61, 0x3030303, v11
	v_add3_u32 v11, s16, v78, v81
	ds_read_b32 v60, v11
	ds_read_b128 v[108:111], v0 offset:1024
	ds_read_b128 v[116:119], v0 offset:1040
	ds_read_u16 v107, v92 offset:25072
	v_dot4_i32_i8 v11, v16, v6, 0
	v_dot4_i32_i8 v11, v65, v7, v11
	s_waitcnt lgkmcnt(2)
	v_dot4_i32_i8 v28, v25, v108, 0
	v_dot4_i32_i8 v28, v77, v109, v28
	;; [unrolled: 1-line block ×4, first 2 shown]
	s_waitcnt lgkmcnt(1)
	v_dot4_i32_i8 v28, v23, v116, 0
	v_dot4_i32_i8 v28, v24, v117, v28
	;; [unrolled: 1-line block ×4, first 2 shown]
	s_waitcnt lgkmcnt(0)
	v_bfe_u32 v28, v107, 4, 4
	v_mul_lo_u32 v92, v28, s8
	v_and_b32_sdwa v95, v107, v94 dst_sel:DWORD dst_unused:UNUSED_PAD src0_sel:BYTE_1 src1_sel:DWORD
	v_and_b32_e32 v115, 0xffff, v95
	v_dot4_i32_i8 v11, v15, v8, v11
	v_dot4_i32_i8 v28, v92, v6, 0
	;; [unrolled: 1-line block ×5, first 2 shown]
	v_and_b32_e32 v28, 15, v107
	v_and_b32_e32 v95, 0xffff, v28
	v_mul_lo_u32 v28, v95, v93
	v_lshrrev_b32_sdwa v93, v103, v107 dst_sel:DWORD dst_unused:UNUSED_PAD src0_sel:DWORD src1_sel:BYTE_1
	v_mul_lo_u32 v93, v93, s8
	v_dot4_i32_i8 v14, v64, v9, v11
	v_dot4_i32_i8 v11, v13, v2, 0
	;; [unrolled: 1-line block ×4, first 2 shown]
	v_mad_u64_u32 v[112:113], s[16:17], v115, v96, v[28:29]
	v_dot4_i32_i8 v28, v92, v108, 0
	v_dot4_i32_i8 v28, v92, v109, v28
	;; [unrolled: 1-line block ×10, first 2 shown]
	v_mul_lo_u32 v28, v98, v95
	v_dot4_i32_i8 v107, v93, v5, v107
	v_cvt_f32_i32_e32 v107, v107
	v_cvt_f32_f16_sdwa v96, v75 dst_sel:DWORD dst_unused:UNUSED_PAD src0_sel:WORD_1
	v_cvt_f32_i32_e32 v114, v112
	v_mad_u64_u32 v[112:113], s[16:17], v100, v115, v[28:29]
	v_mul_f32_e32 v28, v96, v107
	v_fma_mix_f32 v28, v75, v114, -v28 op_sel_hi:[1,0,0]
	v_cvt_f32_i32_e32 v98, v120
	v_fmac_f32_e32 v50, v29, v28
	v_cvt_f32_i32_e32 v28, v112
	ds_read_u16 v112, v97 offset:26096
	v_mul_f32_e32 v98, v96, v98
	v_dot4_i32_i8 v11, v12, v4, v11
	v_fma_mix_f32 v28, v75, v28, -v98 op_sel_hi:[1,0,0]
	v_fmac_f32_e32 v80, v30, v28
	v_dot4_i32_i8 v28, v79, v108, 0
	v_dot4_i32_i8 v28, v82, v109, v28
	;; [unrolled: 1-line block ×8, first 2 shown]
	s_waitcnt lgkmcnt(0)
	v_bfe_u32 v28, v112, 4, 4
	v_mul_lo_u32 v98, v28, s8
	v_and_b32_sdwa v97, v112, v94 dst_sel:DWORD dst_unused:UNUSED_PAD src0_sel:BYTE_1 src1_sel:DWORD
	v_and_b32_e32 v97, 0xffff, v97
	v_dot4_i32_i8 v11, v61, v5, v11
	v_dot4_i32_i8 v28, v98, v6, 0
	;; [unrolled: 1-line block ×5, first 2 shown]
	v_and_b32_e32 v28, 15, v112
	v_and_b32_e32 v100, 0xffff, v28
	v_mul_lo_u32 v28, v100, v99
	v_lshrrev_b32_sdwa v99, v103, v112 dst_sel:DWORD dst_unused:UNUSED_PAD src0_sel:DWORD src1_sel:BYTE_1
	v_mul_lo_u32 v99, v99, s8
	v_dot4_i32_i8 v112, v99, v2, v113
	v_dot4_i32_i8 v112, v99, v3, v112
	;; [unrolled: 1-line block ×4, first 2 shown]
	v_mad_u64_u32 v[112:113], s[16:17], v97, v101, v[28:29]
	v_dot4_i32_i8 v28, v98, v108, 0
	v_dot4_i32_i8 v28, v98, v109, v28
	;; [unrolled: 1-line block ×8, first 2 shown]
	v_mul_lo_u32 v28, v107, v100
	v_cvt_f32_i32_e32 v120, v120
	v_cvt_f32_f16_sdwa v101, v83 dst_sel:DWORD dst_unused:UNUSED_PAD src0_sel:WORD_1
	v_cvt_f32_i32_e32 v121, v112
	v_mad_u64_u32 v[112:113], s[16:17], v114, v97, v[28:29]
	v_mul_f32_e32 v28, v101, v120
	v_fma_mix_f32 v28, v83, v121, -v28 op_sel_hi:[1,0,0]
	v_cvt_f32_i32_e32 v107, v122
	v_fmac_f32_e32 v91, v29, v28
	v_cvt_f32_i32_e32 v28, v112
	v_mul_f32_e32 v107, v101, v107
	v_fma_mix_f32 v28, v83, v28, -v107 op_sel_hi:[1,0,0]
	v_fmac_f32_e32 v76, v30, v28
	v_dot4_i32_i8 v28, v72, v108, 0
	v_dot4_i32_i8 v28, v20, v109, v28
	ds_read_u16 v107, v90 offset:27120
	v_dot4_i32_i8 v28, v17, v110, v28
	v_dot4_i32_i8 v120, v68, v111, v28
	v_dot4_i32_i8 v28, v18, v116, 0
	v_dot4_i32_i8 v28, v69, v117, v28
	v_dot4_i32_i8 v28, v19, v118, v28
	v_dot4_i32_i8 v121, v70, v119, v28
	s_waitcnt lgkmcnt(0)
	v_bfe_u32 v28, v107, 4, 4
	v_mul_lo_u32 v113, v28, s8
	v_and_b32_sdwa v90, v107, v94 dst_sel:DWORD dst_unused:UNUSED_PAD src0_sel:BYTE_1 src1_sel:DWORD
	v_and_b32_e32 v112, 0xffff, v90
	v_dot4_i32_i8 v28, v113, v6, 0
	v_dot4_i32_i8 v28, v113, v7, v28
	;; [unrolled: 1-line block ×4, first 2 shown]
	v_and_b32_e32 v28, 15, v107
	v_and_b32_e32 v90, 0xffff, v28
	v_mul_lo_u32 v28, v90, v106
	v_lshrrev_b32_sdwa v106, v103, v107 dst_sel:DWORD dst_unused:UNUSED_PAD src0_sel:DWORD src1_sel:BYTE_1
	v_mul_lo_u32 v114, v106, s8
	v_dot4_i32_i8 v106, v114, v2, v122
	v_dot4_i32_i8 v106, v114, v3, v106
	;; [unrolled: 1-line block ×4, first 2 shown]
	v_mad_u64_u32 v[106:107], s[16:17], v112, v1, v[28:29]
	v_dot4_i32_i8 v1, v113, v108, 0
	v_dot4_i32_i8 v1, v113, v109, v1
	;; [unrolled: 1-line block ×8, first 2 shown]
	v_mul_lo_u32 v1, v120, v90
	v_cvt_f32_i32_e32 v28, v106
	v_cvt_f32_i32_e32 v122, v122
	v_mad_u64_u32 v[106:107], s[16:17], v121, v112, v[1:2]
	v_cvt_f32_f16_sdwa v1, v67 dst_sel:DWORD dst_unused:UNUSED_PAD src0_sel:WORD_1
	ds_read_u16 v121, v63 offset:28144
	v_mul_f32_e32 v107, v1, v122
	v_fma_mix_f32 v28, v67, v28, -v107 op_sel_hi:[1,0,0]
	v_fmac_f32_e32 v89, v29, v28
	v_cvt_f32_i32_e32 v28, v106
	v_cvt_f32_i32_e32 v106, v123
	s_waitcnt lgkmcnt(0)
	v_bfe_u32 v63, v121, 4, 4
	v_mul_f32_e32 v106, v1, v106
	v_fma_mix_f32 v28, v67, v28, -v106 op_sel_hi:[1,0,0]
	v_dot4_i32_i8 v106, v13, v116, 0
	v_dot4_i32_i8 v106, v62, v117, v106
	v_dot4_i32_i8 v106, v12, v118, v106
	v_dot4_i32_i8 v120, v61, v119, v106
	v_mul_lo_u32 v106, v63, s8
	v_fmac_f32_e32 v71, v30, v28
	v_dot4_i32_i8 v28, v16, v108, 0
	v_dot4_i32_i8 v28, v65, v109, v28
	;; [unrolled: 1-line block ×6, first 2 shown]
	v_and_b32_e32 v6, 15, v121
	v_and_b32_sdwa v8, v121, v94 dst_sel:DWORD dst_unused:UNUSED_PAD src0_sel:BYTE_1 src1_sel:DWORD
	v_and_b32_e32 v63, 0xffff, v8
	v_and_b32_e32 v107, 0xffff, v6
	v_lshrrev_b32_sdwa v8, v103, v121 dst_sel:DWORD dst_unused:UNUSED_PAD src0_sel:DWORD src1_sel:BYTE_1
	v_mul_lo_u32 v6, v107, v14
	v_mul_lo_u32 v14, v8, s8
	v_dot4_i32_i8 v28, v15, v110, v28
	v_dot4_i32_i8 v28, v64, v111, v28
	;; [unrolled: 1-line block ×6, first 2 shown]
	v_mad_u64_u32 v[2:3], s[16:17], v63, v11, v[6:7]
	v_cvt_f32_i32_e32 v4, v4
	v_cvt_f32_f16_sdwa v11, v60 dst_sel:DWORD dst_unused:UNUSED_PAD src0_sel:WORD_1
	v_cvt_f32_i32_e32 v5, v2
	v_dot4_i32_i8 v2, v106, v108, 0
	v_dot4_i32_i8 v2, v106, v109, v2
	;; [unrolled: 1-line block ×8, first 2 shown]
	v_mul_lo_u32 v2, v28, v107
                                        ; kill: def $vgpr3 killed $sgpr0 killed $exec
	v_mad_u64_u32 v[2:3], s[16:17], v120, v63, v[2:3]
	v_mul_f32_e32 v3, v11, v4
	v_fma_mix_f32 v3, v60, v5, -v3 op_sel_hi:[1,0,0]
	v_fmac_f32_e32 v86, v29, v3
	v_cvt_f32_i32_e32 v3, v6
	v_cvt_f32_i32_e32 v2, v2
	v_mul_f32_e32 v3, v11, v3
	v_fma_mix_f32 v2, v60, v2, -v3 op_sel_hi:[1,0,0]
	v_fmac_f32_e32 v66, v30, v2
	ds_read2_b32 v[29:30], v58 offset0:64 offset1:96
	ds_read_b128 v[6:9], v0 offset:2048
	ds_read_b128 v[2:5], v0 offset:2064
	s_waitcnt lgkmcnt(1)
	v_dot4_i32_i8 v28, v25, v6, 0
	v_dot4_i32_i8 v108, v92, v6, 0
	;; [unrolled: 1-line block ×8, first 2 shown]
	v_mul_lo_u32 v28, v28, v95
	s_waitcnt lgkmcnt(0)
	v_dot4_i32_i8 v109, v23, v2, 0
	v_dot4_i32_i8 v108, v93, v2, v108
	;; [unrolled: 1-line block ×8, first 2 shown]
	v_mad_u64_u32 v[108:109], s[16:17], v109, v115, v[28:29]
	v_dot4_i32_i8 v109, v87, v2, 0
	v_dot4_i32_i8 v109, v88, v3, v109
	v_cvt_f32_i32_e32 v28, v108
	v_cvt_f32_i32_e32 v108, v110
	v_dot4_i32_i8 v109, v26, v4, v109
	v_dot4_i32_i8 v109, v102, v5, v109
	v_mul_f32_e32 v108, v96, v108
	v_fma_mix_f32 v28, v75, v28, -v108 op_sel_hi:[1,0,0]
	v_fmac_f32_e32 v59, v29, v28
	v_dot4_i32_i8 v28, v79, v6, 0
	v_dot4_i32_i8 v108, v98, v6, 0
	;; [unrolled: 1-line block ×8, first 2 shown]
	v_mul_lo_u32 v28, v28, v100
	v_dot4_i32_i8 v108, v99, v2, v108
	v_dot4_i32_i8 v108, v99, v3, v108
	;; [unrolled: 1-line block ×4, first 2 shown]
	v_mad_u64_u32 v[108:109], s[16:17], v109, v97, v[28:29]
	v_dot4_i32_i8 v109, v18, v2, 0
	v_dot4_i32_i8 v109, v69, v3, v109
	v_cvt_f32_i32_e32 v28, v108
	v_cvt_f32_i32_e32 v108, v110
	v_dot4_i32_i8 v109, v19, v4, v109
	v_dot4_i32_i8 v109, v70, v5, v109
	v_mul_f32_e32 v108, v101, v108
	v_fma_mix_f32 v28, v83, v28, -v108 op_sel_hi:[1,0,0]
	v_fmac_f32_e32 v55, v29, v28
	v_dot4_i32_i8 v28, v72, v6, 0
	v_dot4_i32_i8 v108, v113, v6, 0
	;; [unrolled: 1-line block ×8, first 2 shown]
	v_mul_lo_u32 v28, v28, v90
	v_dot4_i32_i8 v108, v114, v2, v108
	v_dot4_i32_i8 v108, v114, v3, v108
	;; [unrolled: 1-line block ×4, first 2 shown]
	v_mad_u64_u32 v[108:109], s[16:17], v109, v112, v[28:29]
	v_cvt_f32_i32_e32 v28, v108
	v_cvt_f32_i32_e32 v108, v110
	v_mul_f32_e32 v108, v1, v108
	v_fma_mix_f32 v28, v67, v28, -v108 op_sel_hi:[1,0,0]
	v_fmac_f32_e32 v54, v29, v28
	v_dot4_i32_i8 v28, v16, v6, 0
	v_dot4_i32_i8 v6, v106, v6, 0
	;; [unrolled: 1-line block ×8, first 2 shown]
	v_mul_lo_u32 v6, v7, v107
	v_dot4_i32_i8 v7, v13, v2, 0
	v_dot4_i32_i8 v2, v14, v2, v8
	;; [unrolled: 1-line block ×8, first 2 shown]
	v_mad_u64_u32 v[2:3], s[16:17], v3, v63, v[6:7]
	v_cvt_f32_i32_e32 v3, v4
	v_cvt_f32_i32_e32 v2, v2
	v_mul_f32_e32 v3, v11, v3
	v_fma_mix_f32 v2, v60, v2, -v3 op_sel_hi:[1,0,0]
	v_fmac_f32_e32 v53, v29, v2
	ds_read_b128 v[6:9], v0 offset:3072
	ds_read_b128 v[2:5], v0 offset:3088
	s_waitcnt lgkmcnt(1)
	v_dot4_i32_i8 v28, v25, v6, 0
	v_dot4_i32_i8 v29, v92, v6, 0
	;; [unrolled: 1-line block ×8, first 2 shown]
	v_mul_lo_u32 v28, v28, v95
	s_waitcnt lgkmcnt(0)
	v_dot4_i32_i8 v108, v23, v2, 0
	v_dot4_i32_i8 v29, v93, v2, v29
	;; [unrolled: 1-line block ×8, first 2 shown]
                                        ; kill: def $vgpr29 killed $sgpr0 killed $exec
	v_mad_u64_u32 v[28:29], s[16:17], v108, v115, v[28:29]
	v_cvt_f32_i32_e32 v29, v109
	v_dot4_i32_i8 v108, v87, v2, 0
	v_cvt_f32_i32_e32 v28, v28
	v_dot4_i32_i8 v108, v88, v3, v108
	v_mul_f32_e32 v29, v96, v29
	v_dot4_i32_i8 v108, v26, v4, v108
	v_fma_mix_f32 v28, v75, v28, -v29 op_sel_hi:[1,0,0]
	v_fmac_f32_e32 v52, v30, v28
	v_dot4_i32_i8 v28, v79, v6, 0
	v_dot4_i32_i8 v29, v98, v6, 0
	;; [unrolled: 1-line block ×8, first 2 shown]
	v_mul_lo_u32 v28, v28, v100
	v_dot4_i32_i8 v29, v99, v2, v29
	v_dot4_i32_i8 v29, v99, v3, v29
	;; [unrolled: 1-line block ×5, first 2 shown]
                                        ; kill: def $vgpr29 killed $sgpr0 killed $exec
	v_mad_u64_u32 v[28:29], s[16:17], v108, v97, v[28:29]
	v_cvt_f32_i32_e32 v29, v109
	v_dot4_i32_i8 v108, v18, v2, 0
	v_cvt_f32_i32_e32 v28, v28
	v_dot4_i32_i8 v108, v69, v3, v108
	v_mul_f32_e32 v29, v101, v29
	v_dot4_i32_i8 v108, v19, v4, v108
	v_fma_mix_f32 v28, v83, v28, -v29 op_sel_hi:[1,0,0]
	v_fmac_f32_e32 v51, v30, v28
	v_dot4_i32_i8 v28, v72, v6, 0
	v_dot4_i32_i8 v29, v113, v6, 0
	;; [unrolled: 1-line block ×8, first 2 shown]
	v_mul_lo_u32 v28, v28, v90
	v_dot4_i32_i8 v29, v114, v2, v29
	v_dot4_i32_i8 v29, v114, v3, v29
	;; [unrolled: 1-line block ×5, first 2 shown]
                                        ; kill: def $vgpr29 killed $sgpr0 killed $exec
	v_mad_u64_u32 v[28:29], s[16:17], v108, v112, v[28:29]
	v_cvt_f32_i32_e32 v29, v109
	v_cvt_f32_i32_e32 v28, v28
	v_mul_f32_e32 v29, v1, v29
	v_fma_mix_f32 v28, v67, v28, -v29 op_sel_hi:[1,0,0]
	v_fmac_f32_e32 v49, v30, v28
	v_dot4_i32_i8 v28, v16, v6, 0
	v_dot4_i32_i8 v6, v106, v6, 0
	;; [unrolled: 1-line block ×8, first 2 shown]
	v_mul_lo_u32 v6, v7, v107
	v_dot4_i32_i8 v7, v13, v2, 0
	v_dot4_i32_i8 v2, v14, v2, v8
	;; [unrolled: 1-line block ×8, first 2 shown]
	v_mad_u64_u32 v[2:3], s[16:17], v3, v63, v[6:7]
	v_cvt_f32_i32_e32 v3, v4
	v_cvt_f32_i32_e32 v2, v2
	v_mul_f32_e32 v3, v11, v3
	v_fma_mix_f32 v2, v60, v2, -v3 op_sel_hi:[1,0,0]
	v_fmac_f32_e32 v47, v30, v2
	ds_read2_b32 v[29:30], v58 offset0:128 offset1:160
	ds_read_b128 v[6:9], v0 offset:4096
	ds_read_b128 v[2:5], v0 offset:4112
	s_waitcnt lgkmcnt(1)
	v_dot4_i32_i8 v28, v25, v6, 0
	v_dot4_i32_i8 v108, v92, v6, 0
	;; [unrolled: 1-line block ×8, first 2 shown]
	v_mul_lo_u32 v28, v28, v95
	s_waitcnt lgkmcnt(0)
	v_dot4_i32_i8 v109, v23, v2, 0
	v_dot4_i32_i8 v108, v93, v2, v108
	;; [unrolled: 1-line block ×8, first 2 shown]
	v_mad_u64_u32 v[108:109], s[16:17], v109, v115, v[28:29]
	v_dot4_i32_i8 v109, v87, v2, 0
	v_dot4_i32_i8 v109, v88, v3, v109
	v_cvt_f32_i32_e32 v28, v108
	v_cvt_f32_i32_e32 v108, v110
	v_dot4_i32_i8 v109, v26, v4, v109
	v_dot4_i32_i8 v109, v102, v5, v109
	v_mul_f32_e32 v108, v96, v108
	v_fma_mix_f32 v28, v75, v28, -v108 op_sel_hi:[1,0,0]
	v_fmac_f32_e32 v46, v29, v28
	v_dot4_i32_i8 v28, v79, v6, 0
	v_dot4_i32_i8 v108, v98, v6, 0
	;; [unrolled: 1-line block ×8, first 2 shown]
	v_mul_lo_u32 v28, v28, v100
	v_dot4_i32_i8 v108, v99, v2, v108
	v_dot4_i32_i8 v108, v99, v3, v108
	;; [unrolled: 1-line block ×4, first 2 shown]
	v_mad_u64_u32 v[108:109], s[16:17], v109, v97, v[28:29]
	v_dot4_i32_i8 v109, v18, v2, 0
	v_dot4_i32_i8 v109, v69, v3, v109
	v_cvt_f32_i32_e32 v28, v108
	v_cvt_f32_i32_e32 v108, v110
	v_dot4_i32_i8 v109, v19, v4, v109
	v_dot4_i32_i8 v109, v70, v5, v109
	v_mul_f32_e32 v108, v101, v108
	v_fma_mix_f32 v28, v83, v28, -v108 op_sel_hi:[1,0,0]
	v_fmac_f32_e32 v45, v29, v28
	v_dot4_i32_i8 v28, v72, v6, 0
	v_dot4_i32_i8 v108, v113, v6, 0
	;; [unrolled: 1-line block ×8, first 2 shown]
	v_mul_lo_u32 v28, v28, v90
	v_dot4_i32_i8 v108, v114, v2, v108
	v_dot4_i32_i8 v108, v114, v3, v108
	;; [unrolled: 1-line block ×4, first 2 shown]
	v_mad_u64_u32 v[108:109], s[16:17], v109, v112, v[28:29]
	v_cvt_f32_i32_e32 v28, v108
	v_cvt_f32_i32_e32 v108, v110
	v_mul_f32_e32 v108, v1, v108
	v_fma_mix_f32 v28, v67, v28, -v108 op_sel_hi:[1,0,0]
	v_fmac_f32_e32 v44, v29, v28
	v_dot4_i32_i8 v28, v16, v6, 0
	v_dot4_i32_i8 v6, v106, v6, 0
	;; [unrolled: 1-line block ×8, first 2 shown]
	v_mul_lo_u32 v6, v7, v107
	v_dot4_i32_i8 v7, v13, v2, 0
	v_dot4_i32_i8 v2, v14, v2, v8
	;; [unrolled: 1-line block ×8, first 2 shown]
	v_mad_u64_u32 v[2:3], s[16:17], v3, v63, v[6:7]
	v_cvt_f32_i32_e32 v3, v4
	v_cvt_f32_i32_e32 v2, v2
	v_mul_f32_e32 v3, v11, v3
	v_fma_mix_f32 v2, v60, v2, -v3 op_sel_hi:[1,0,0]
	v_fmac_f32_e32 v43, v29, v2
	ds_read_b128 v[6:9], v0 offset:5120
	ds_read_b128 v[2:5], v0 offset:5136
	s_waitcnt lgkmcnt(1)
	v_dot4_i32_i8 v28, v25, v6, 0
	v_dot4_i32_i8 v29, v92, v6, 0
	;; [unrolled: 1-line block ×8, first 2 shown]
	v_mul_lo_u32 v28, v28, v95
	s_waitcnt lgkmcnt(0)
	v_dot4_i32_i8 v108, v23, v2, 0
	v_dot4_i32_i8 v29, v93, v2, v29
	;; [unrolled: 1-line block ×8, first 2 shown]
                                        ; kill: def $vgpr29 killed $sgpr0 killed $exec
	v_mad_u64_u32 v[28:29], s[16:17], v108, v115, v[28:29]
	v_cvt_f32_i32_e32 v29, v109
	v_dot4_i32_i8 v108, v87, v2, 0
	v_cvt_f32_i32_e32 v28, v28
	v_dot4_i32_i8 v108, v88, v3, v108
	v_mul_f32_e32 v29, v96, v29
	v_dot4_i32_i8 v108, v26, v4, v108
	v_fma_mix_f32 v28, v75, v28, -v29 op_sel_hi:[1,0,0]
	v_fmac_f32_e32 v42, v30, v28
	v_dot4_i32_i8 v28, v79, v6, 0
	v_dot4_i32_i8 v29, v98, v6, 0
	v_dot4_i32_i8 v28, v82, v7, v28
	v_dot4_i32_i8 v29, v98, v7, v29
	v_dot4_i32_i8 v28, v84, v8, v28
	v_dot4_i32_i8 v29, v98, v8, v29
	v_dot4_i32_i8 v28, v85, v9, v28
	v_dot4_i32_i8 v29, v98, v9, v29
	v_mul_lo_u32 v28, v28, v100
	v_dot4_i32_i8 v29, v99, v2, v29
	v_dot4_i32_i8 v29, v99, v3, v29
	v_dot4_i32_i8 v29, v99, v4, v29
	v_dot4_i32_i8 v108, v102, v5, v108
	v_dot4_i32_i8 v109, v99, v5, v29
                                        ; kill: def $vgpr29 killed $sgpr0 killed $exec
	v_mad_u64_u32 v[28:29], s[16:17], v108, v97, v[28:29]
	v_cvt_f32_i32_e32 v29, v109
	v_dot4_i32_i8 v108, v18, v2, 0
	v_cvt_f32_i32_e32 v28, v28
	v_dot4_i32_i8 v108, v69, v3, v108
	v_mul_f32_e32 v29, v101, v29
	v_dot4_i32_i8 v108, v19, v4, v108
	v_fma_mix_f32 v28, v83, v28, -v29 op_sel_hi:[1,0,0]
	v_fmac_f32_e32 v41, v30, v28
	v_dot4_i32_i8 v28, v72, v6, 0
	v_dot4_i32_i8 v29, v113, v6, 0
	;; [unrolled: 1-line block ×8, first 2 shown]
	v_mul_lo_u32 v28, v28, v90
	v_dot4_i32_i8 v29, v114, v2, v29
	v_dot4_i32_i8 v29, v114, v3, v29
	;; [unrolled: 1-line block ×5, first 2 shown]
                                        ; kill: def $vgpr29 killed $sgpr0 killed $exec
	v_mad_u64_u32 v[28:29], s[16:17], v108, v112, v[28:29]
	v_cvt_f32_i32_e32 v29, v109
	v_cvt_f32_i32_e32 v28, v28
	v_mul_f32_e32 v29, v1, v29
	v_fma_mix_f32 v28, v67, v28, -v29 op_sel_hi:[1,0,0]
	v_fmac_f32_e32 v40, v30, v28
	v_dot4_i32_i8 v28, v16, v6, 0
	v_dot4_i32_i8 v6, v106, v6, 0
	;; [unrolled: 1-line block ×8, first 2 shown]
	v_mul_lo_u32 v6, v7, v107
	v_dot4_i32_i8 v7, v13, v2, 0
	v_dot4_i32_i8 v2, v14, v2, v8
	;; [unrolled: 1-line block ×8, first 2 shown]
	v_mad_u64_u32 v[2:3], s[16:17], v3, v63, v[6:7]
	v_cvt_f32_i32_e32 v3, v4
	v_cvt_f32_i32_e32 v2, v2
	v_mul_f32_e32 v3, v11, v3
	v_fma_mix_f32 v2, v60, v2, -v3 op_sel_hi:[1,0,0]
	v_fmac_f32_e32 v39, v30, v2
	ds_read2_b32 v[29:30], v58 offset0:192 offset1:224
	ds_read_b128 v[6:9], v0 offset:6144
	ds_read_b128 v[2:5], v0 offset:6160
	v_add_u32_e32 v58, 4, v58
	s_waitcnt lgkmcnt(1)
	v_dot4_i32_i8 v28, v25, v6, 0
	v_dot4_i32_i8 v108, v92, v6, 0
	;; [unrolled: 1-line block ×8, first 2 shown]
	v_mul_lo_u32 v28, v28, v95
	s_waitcnt lgkmcnt(0)
	v_dot4_i32_i8 v109, v23, v2, 0
	v_dot4_i32_i8 v108, v93, v2, v108
	;; [unrolled: 1-line block ×8, first 2 shown]
	v_mad_u64_u32 v[108:109], s[16:17], v109, v115, v[28:29]
	v_dot4_i32_i8 v109, v87, v2, 0
	v_dot4_i32_i8 v109, v88, v3, v109
	v_cvt_f32_i32_e32 v28, v108
	v_cvt_f32_i32_e32 v108, v110
	v_dot4_i32_i8 v109, v26, v4, v109
	v_dot4_i32_i8 v109, v102, v5, v109
	v_mul_f32_e32 v108, v96, v108
	v_fma_mix_f32 v28, v75, v28, -v108 op_sel_hi:[1,0,0]
	v_fmac_f32_e32 v38, v29, v28
	v_dot4_i32_i8 v28, v79, v6, 0
	v_dot4_i32_i8 v108, v98, v6, 0
	v_dot4_i32_i8 v28, v82, v7, v28
	v_dot4_i32_i8 v108, v98, v7, v108
	v_dot4_i32_i8 v28, v84, v8, v28
	v_dot4_i32_i8 v108, v98, v8, v108
	v_dot4_i32_i8 v28, v85, v9, v28
	v_dot4_i32_i8 v108, v98, v9, v108
	v_mul_lo_u32 v28, v28, v100
	v_dot4_i32_i8 v108, v99, v2, v108
	v_dot4_i32_i8 v108, v99, v3, v108
	;; [unrolled: 1-line block ×4, first 2 shown]
	v_mad_u64_u32 v[108:109], s[16:17], v109, v97, v[28:29]
	v_dot4_i32_i8 v109, v18, v2, 0
	v_dot4_i32_i8 v109, v69, v3, v109
	v_cvt_f32_i32_e32 v28, v108
	v_cvt_f32_i32_e32 v108, v110
	v_dot4_i32_i8 v109, v19, v4, v109
	v_dot4_i32_i8 v109, v70, v5, v109
	v_mul_f32_e32 v108, v101, v108
	v_fma_mix_f32 v28, v83, v28, -v108 op_sel_hi:[1,0,0]
	v_fmac_f32_e32 v37, v29, v28
	v_dot4_i32_i8 v28, v72, v6, 0
	v_dot4_i32_i8 v108, v113, v6, 0
	;; [unrolled: 1-line block ×8, first 2 shown]
	v_mul_lo_u32 v28, v28, v90
	v_dot4_i32_i8 v108, v114, v2, v108
	v_dot4_i32_i8 v108, v114, v3, v108
	;; [unrolled: 1-line block ×4, first 2 shown]
	v_mad_u64_u32 v[108:109], s[16:17], v109, v112, v[28:29]
	v_cvt_f32_i32_e32 v28, v108
	v_cvt_f32_i32_e32 v108, v110
	v_mul_f32_e32 v108, v1, v108
	v_fma_mix_f32 v28, v67, v28, -v108 op_sel_hi:[1,0,0]
	v_fmac_f32_e32 v36, v29, v28
	v_dot4_i32_i8 v28, v16, v6, 0
	v_dot4_i32_i8 v6, v106, v6, 0
	;; [unrolled: 1-line block ×8, first 2 shown]
	v_mul_lo_u32 v6, v7, v107
	v_dot4_i32_i8 v7, v13, v2, 0
	v_dot4_i32_i8 v2, v14, v2, v8
	;; [unrolled: 1-line block ×8, first 2 shown]
	v_mad_u64_u32 v[2:3], s[16:17], v3, v63, v[6:7]
	v_cvt_f32_i32_e32 v3, v4
	v_cvt_f32_i32_e32 v2, v2
	v_mul_f32_e32 v3, v11, v3
	v_fma_mix_f32 v2, v60, v2, -v3 op_sel_hi:[1,0,0]
	v_fmac_f32_e32 v35, v29, v2
	ds_read_b128 v[6:9], v0 offset:7168
	ds_read_b128 v[2:5], v0 offset:7184
	v_add_u32_e32 v0, 32, v0
	s_waitcnt lgkmcnt(1)
	v_dot4_i32_i8 v25, v25, v6, 0
	v_dot4_i32_i8 v28, v92, v6, 0
	;; [unrolled: 1-line block ×8, first 2 shown]
	v_mul_lo_u32 v21, v21, v95
	s_waitcnt lgkmcnt(0)
	v_dot4_i32_i8 v23, v23, v2, 0
	v_dot4_i32_i8 v22, v93, v2, v22
	;; [unrolled: 1-line block ×8, first 2 shown]
                                        ; kill: def $vgpr22 killed $sgpr0 killed $exec
	v_dot4_i32_i8 v18, v18, v2, 0
	v_mad_u64_u32 v[21:22], s[16:17], v23, v115, v[21:22]
	v_cvt_f32_i32_e32 v22, v24
	v_dot4_i32_i8 v23, v87, v2, 0
	v_cvt_f32_i32_e32 v21, v21
	v_dot4_i32_i8 v23, v88, v3, v23
	v_mul_f32_e32 v22, v96, v22
	v_dot4_i32_i8 v23, v26, v4, v23
	v_fma_mix_f32 v21, v75, v21, -v22 op_sel_hi:[1,0,0]
	v_fmac_f32_e32 v34, v30, v21
	v_dot4_i32_i8 v21, v79, v6, 0
	v_dot4_i32_i8 v22, v98, v6, 0
	;; [unrolled: 1-line block ×8, first 2 shown]
	v_mul_lo_u32 v21, v21, v100
	v_dot4_i32_i8 v22, v99, v2, v22
	v_dot4_i32_i8 v22, v99, v3, v22
	v_dot4_i32_i8 v22, v99, v4, v22
	v_dot4_i32_i8 v23, v102, v5, v23
	v_dot4_i32_i8 v24, v99, v5, v22
                                        ; kill: def $vgpr22 killed $sgpr0 killed $exec
	v_dot4_i32_i8 v18, v69, v3, v18
	v_mad_u64_u32 v[21:22], s[16:17], v23, v97, v[21:22]
	v_cvt_f32_i32_e32 v22, v24
	v_dot4_i32_i8 v18, v19, v4, v18
	v_cvt_f32_i32_e32 v21, v21
	v_dot4_i32_i8 v18, v70, v5, v18
	v_mul_f32_e32 v22, v101, v22
	v_fma_mix_f32 v21, v83, v21, -v22 op_sel_hi:[1,0,0]
	v_fmac_f32_e32 v33, v30, v21
	v_dot4_i32_i8 v21, v72, v6, 0
	v_dot4_i32_i8 v20, v20, v7, v21
	;; [unrolled: 1-line block ×6, first 2 shown]
	v_mul_lo_u32 v17, v17, v90
	v_dot4_i32_i8 v20, v113, v8, v21
	v_dot4_i32_i8 v20, v113, v9, v20
	;; [unrolled: 1-line block ×4, first 2 shown]
	v_mad_u64_u32 v[17:18], s[16:17], v18, v112, v[17:18]
	v_dot4_i32_i8 v19, v114, v4, v20
	v_dot4_i32_i8 v19, v114, v5, v19
	v_cvt_f32_i32_e32 v18, v19
	v_cvt_f32_i32_e32 v17, v17
	v_mul_f32_e32 v1, v1, v18
	v_fma_mix_f32 v1, v67, v17, -v1 op_sel_hi:[1,0,0]
	v_fmac_f32_e32 v32, v30, v1
	v_dot4_i32_i8 v1, v16, v6, 0
	v_dot4_i32_i8 v6, v106, v6, 0
	;; [unrolled: 1-line block ×8, first 2 shown]
	v_mul_lo_u32 v6, v7, v107
	v_dot4_i32_i8 v7, v13, v2, 0
	v_dot4_i32_i8 v1, v14, v2, v1
	;; [unrolled: 1-line block ×6, first 2 shown]
	v_mad_u64_u32 v[2:3], s[16:17], v2, v63, v[6:7]
	v_dot4_i32_i8 v1, v14, v4, v1
	v_dot4_i32_i8 v1, v14, v5, v1
	v_cvt_f32_i32_e32 v1, v1
	v_cvt_f32_i32_e32 v2, v2
	v_mul_f32_e32 v1, v11, v1
	v_fma_mix_f32 v1, v60, v2, -v1 op_sel_hi:[1,0,0]
	v_fmac_f32_e32 v31, v30, v1
	s_cbranch_scc1 .LBB128_14
; %bb.15:                               ;   in Loop: Header=BB128_6 Depth=1
	s_barrier
	s_branch .LBB128_5
.LBB128_16:
	buffer_load_dword v0, off, s[20:23], 0 offset:428 ; 4-byte Folded Reload
	buffer_load_dword v48, off, s[20:23], 0 offset:420 ; 4-byte Folded Reload
	buffer_load_dword v56, off, s[20:23], 0 offset:424 ; 4-byte Folded Reload
.LBB128_17:
	s_waitcnt vmcnt(2)
	v_cmp_gt_u32_e32 vcc, s10, v0
	s_and_saveexec_b64 s[0:1], vcc
	s_cbranch_execz .LBB128_68
; %bb.18:
	v_mul_lo_u32 v4, v0, s14
	s_waitcnt vmcnt(0)
	v_add_u32_e32 v0, s6, v56
	v_cmp_gt_u32_e32 vcc, s14, v0
	s_and_saveexec_b64 s[2:3], vcc
	s_cbranch_execz .LBB128_20
; %bb.19:
	v_add_u32_e32 v1, v0, v4
	v_mov_b32_e32 v2, 0
	v_lshlrev_b64 v[1:2], 2, v[1:2]
	s_waitcnt lgkmcnt(0)
	v_mov_b32_e32 v3, s13
	v_add_co_u32_e64 v1, s[0:1], s12, v1
	v_addc_co_u32_e64 v2, s[0:1], v3, v2, s[0:1]
	global_store_dword v[1:2], v50, off
.LBB128_20:
	s_or_b64 exec, exec, s[2:3]
	v_add_u32_e32 v1, 32, v0
	v_cmp_gt_u32_e64 s[0:1], s14, v1
	s_and_saveexec_b64 s[4:5], s[0:1]
	s_cbranch_execz .LBB128_22
; %bb.21:
	v_add_u32_e32 v2, v1, v4
	v_mov_b32_e32 v3, 0
	v_lshlrev_b64 v[2:3], 2, v[2:3]
	s_waitcnt lgkmcnt(0)
	v_mov_b32_e32 v5, s13
	v_add_co_u32_e64 v2, s[2:3], s12, v2
	v_addc_co_u32_e64 v3, s[2:3], v5, v3, s[2:3]
	global_store_dword v[2:3], v91, off
.LBB128_22:
	s_or_b64 exec, exec, s[4:5]
	v_add_u32_e32 v2, 64, v0
	v_cmp_gt_u32_e64 s[2:3], s14, v2
	s_and_saveexec_b64 s[6:7], s[2:3]
	;; [unrolled: 15-line block ×3, first 2 shown]
	s_cbranch_execz .LBB128_26
; %bb.25:
	v_add_u32_e32 v4, v3, v4
	v_mov_b32_e32 v5, 0
	v_lshlrev_b64 v[4:5], 2, v[4:5]
	s_waitcnt lgkmcnt(0)
	v_mov_b32_e32 v6, s13
	v_add_co_u32_e64 v4, s[6:7], s12, v4
	v_addc_co_u32_e64 v5, s[6:7], v6, v5, s[6:7]
	global_store_dword v[4:5], v86, off
.LBB128_26:
	s_or_b64 exec, exec, s[8:9]
	v_add3_u32 v4, v48, s15, 8
	v_cmp_gt_u32_e64 s[6:7], s10, v4
	s_and_b64 exec, exec, s[6:7]
	s_cbranch_execz .LBB128_68
; %bb.27:
	v_mul_lo_u32 v4, v4, s14
	s_and_saveexec_b64 s[8:9], vcc
	s_cbranch_execnz .LBB128_69
; %bb.28:
	s_or_b64 exec, exec, s[8:9]
	s_and_saveexec_b64 s[8:9], s[0:1]
	s_cbranch_execnz .LBB128_70
.LBB128_29:
	s_or_b64 exec, exec, s[8:9]
	s_and_saveexec_b64 s[8:9], s[2:3]
	s_cbranch_execnz .LBB128_71
.LBB128_30:
	s_or_b64 exec, exec, s[8:9]
	s_and_saveexec_b64 s[8:9], s[4:5]
	s_cbranch_execz .LBB128_32
.LBB128_31:
	v_add_u32_e32 v4, v4, v3
	v_mov_b32_e32 v5, 0
	v_lshlrev_b64 v[4:5], 2, v[4:5]
	s_waitcnt lgkmcnt(0)
	v_mov_b32_e32 v6, s13
	v_add_co_u32_e64 v4, s[6:7], s12, v4
	v_addc_co_u32_e64 v5, s[6:7], v6, v5, s[6:7]
	global_store_dword v[4:5], v66, off
.LBB128_32:
	s_or_b64 exec, exec, s[8:9]
	v_add3_u32 v4, v48, s15, 16
	v_cmp_gt_u32_e64 s[6:7], s10, v4
	s_and_b64 exec, exec, s[6:7]
	s_cbranch_execz .LBB128_68
; %bb.33:
	v_mul_lo_u32 v4, v4, s14
	s_and_saveexec_b64 s[8:9], vcc
	s_cbranch_execnz .LBB128_72
; %bb.34:
	s_or_b64 exec, exec, s[8:9]
	s_and_saveexec_b64 s[8:9], s[0:1]
	s_cbranch_execnz .LBB128_73
.LBB128_35:
	s_or_b64 exec, exec, s[8:9]
	s_and_saveexec_b64 s[8:9], s[2:3]
	s_cbranch_execnz .LBB128_74
.LBB128_36:
	s_or_b64 exec, exec, s[8:9]
	s_and_saveexec_b64 s[8:9], s[4:5]
	s_cbranch_execz .LBB128_38
.LBB128_37:
	v_add_u32_e32 v4, v4, v3
	v_mov_b32_e32 v5, 0
	v_lshlrev_b64 v[4:5], 2, v[4:5]
	s_waitcnt lgkmcnt(0)
	v_mov_b32_e32 v6, s13
	v_add_co_u32_e64 v4, s[6:7], s12, v4
	v_addc_co_u32_e64 v5, s[6:7], v6, v5, s[6:7]
	global_store_dword v[4:5], v53, off
.LBB128_38:
	s_or_b64 exec, exec, s[8:9]
	v_add3_u32 v4, v48, s15, 24
	v_cmp_gt_u32_e64 s[6:7], s10, v4
	s_and_b64 exec, exec, s[6:7]
	s_cbranch_execz .LBB128_68
; %bb.39:
	v_mul_lo_u32 v4, v4, s14
	s_and_saveexec_b64 s[8:9], vcc
	s_cbranch_execnz .LBB128_75
; %bb.40:
	s_or_b64 exec, exec, s[8:9]
	s_and_saveexec_b64 s[8:9], s[0:1]
	s_cbranch_execnz .LBB128_76
.LBB128_41:
	s_or_b64 exec, exec, s[8:9]
	s_and_saveexec_b64 s[8:9], s[2:3]
	s_cbranch_execnz .LBB128_77
.LBB128_42:
	s_or_b64 exec, exec, s[8:9]
	s_and_saveexec_b64 s[8:9], s[4:5]
	s_cbranch_execz .LBB128_44
.LBB128_43:
	v_add_u32_e32 v4, v4, v3
	v_mov_b32_e32 v5, 0
	v_lshlrev_b64 v[4:5], 2, v[4:5]
	s_waitcnt lgkmcnt(0)
	v_mov_b32_e32 v6, s13
	v_add_co_u32_e64 v4, s[6:7], s12, v4
	v_addc_co_u32_e64 v5, s[6:7], v6, v5, s[6:7]
	global_store_dword v[4:5], v47, off
.LBB128_44:
	s_or_b64 exec, exec, s[8:9]
	v_add3_u32 v4, v48, s15, 32
	v_cmp_gt_u32_e64 s[6:7], s10, v4
	s_and_b64 exec, exec, s[6:7]
	s_cbranch_execz .LBB128_68
; %bb.45:
	v_mul_lo_u32 v4, v4, s14
	s_and_saveexec_b64 s[8:9], vcc
	s_cbranch_execnz .LBB128_78
; %bb.46:
	s_or_b64 exec, exec, s[8:9]
	s_and_saveexec_b64 s[8:9], s[0:1]
	s_cbranch_execnz .LBB128_79
.LBB128_47:
	s_or_b64 exec, exec, s[8:9]
	s_and_saveexec_b64 s[8:9], s[2:3]
	s_cbranch_execnz .LBB128_80
.LBB128_48:
	s_or_b64 exec, exec, s[8:9]
	s_and_saveexec_b64 s[8:9], s[4:5]
	s_cbranch_execz .LBB128_50
.LBB128_49:
	v_add_u32_e32 v4, v4, v3
	v_mov_b32_e32 v5, 0
	v_lshlrev_b64 v[4:5], 2, v[4:5]
	s_waitcnt lgkmcnt(0)
	v_mov_b32_e32 v6, s13
	v_add_co_u32_e64 v4, s[6:7], s12, v4
	v_addc_co_u32_e64 v5, s[6:7], v6, v5, s[6:7]
	global_store_dword v[4:5], v43, off
.LBB128_50:
	s_or_b64 exec, exec, s[8:9]
	v_add3_u32 v4, v48, s15, 40
	v_cmp_gt_u32_e64 s[6:7], s10, v4
	s_and_b64 exec, exec, s[6:7]
	s_cbranch_execz .LBB128_68
; %bb.51:
	v_mul_lo_u32 v4, v4, s14
	s_and_saveexec_b64 s[8:9], vcc
	s_cbranch_execnz .LBB128_81
; %bb.52:
	s_or_b64 exec, exec, s[8:9]
	s_and_saveexec_b64 s[8:9], s[0:1]
	s_cbranch_execnz .LBB128_82
.LBB128_53:
	s_or_b64 exec, exec, s[8:9]
	s_and_saveexec_b64 s[8:9], s[2:3]
	s_cbranch_execnz .LBB128_83
.LBB128_54:
	s_or_b64 exec, exec, s[8:9]
	s_and_saveexec_b64 s[8:9], s[4:5]
	s_cbranch_execz .LBB128_56
.LBB128_55:
	v_add_u32_e32 v4, v4, v3
	v_mov_b32_e32 v5, 0
	v_lshlrev_b64 v[4:5], 2, v[4:5]
	s_waitcnt lgkmcnt(0)
	v_mov_b32_e32 v6, s13
	v_add_co_u32_e64 v4, s[6:7], s12, v4
	v_addc_co_u32_e64 v5, s[6:7], v6, v5, s[6:7]
	global_store_dword v[4:5], v39, off
.LBB128_56:
	s_or_b64 exec, exec, s[8:9]
	v_add3_u32 v4, v48, s15, 48
	v_cmp_gt_u32_e64 s[6:7], s10, v4
	s_and_b64 exec, exec, s[6:7]
	s_cbranch_execz .LBB128_68
; %bb.57:
	v_mul_lo_u32 v4, v4, s14
	s_and_saveexec_b64 s[8:9], vcc
	s_cbranch_execnz .LBB128_84
; %bb.58:
	s_or_b64 exec, exec, s[8:9]
	s_and_saveexec_b64 s[8:9], s[0:1]
	s_cbranch_execnz .LBB128_85
.LBB128_59:
	s_or_b64 exec, exec, s[8:9]
	s_and_saveexec_b64 s[8:9], s[2:3]
	s_cbranch_execnz .LBB128_86
.LBB128_60:
	s_or_b64 exec, exec, s[8:9]
	s_and_saveexec_b64 s[8:9], s[4:5]
	s_cbranch_execz .LBB128_62
.LBB128_61:
	v_add_u32_e32 v4, v4, v3
	v_mov_b32_e32 v5, 0
	v_lshlrev_b64 v[4:5], 2, v[4:5]
	s_waitcnt lgkmcnt(0)
	v_mov_b32_e32 v6, s13
	v_add_co_u32_e64 v4, s[6:7], s12, v4
	v_addc_co_u32_e64 v5, s[6:7], v6, v5, s[6:7]
	global_store_dword v[4:5], v35, off
.LBB128_62:
	s_or_b64 exec, exec, s[8:9]
	v_add3_u32 v4, v48, s15, 56
	v_cmp_gt_u32_e64 s[6:7], s10, v4
	s_and_b64 exec, exec, s[6:7]
	s_cbranch_execz .LBB128_68
; %bb.63:
	v_mul_lo_u32 v4, v4, s14
	s_and_saveexec_b64 s[6:7], vcc
	s_cbranch_execnz .LBB128_87
; %bb.64:
	s_or_b64 exec, exec, s[6:7]
	s_and_saveexec_b64 s[6:7], s[0:1]
	s_cbranch_execnz .LBB128_88
.LBB128_65:
	s_or_b64 exec, exec, s[6:7]
	s_and_saveexec_b64 s[0:1], s[2:3]
	s_cbranch_execnz .LBB128_89
.LBB128_66:
	s_or_b64 exec, exec, s[0:1]
	s_and_b64 exec, exec, s[4:5]
	s_cbranch_execz .LBB128_68
.LBB128_67:
	v_add_u32_e32 v0, v4, v3
	v_mov_b32_e32 v1, 0
	v_lshlrev_b64 v[0:1], 2, v[0:1]
	s_waitcnt lgkmcnt(0)
	v_mov_b32_e32 v2, s13
	v_add_co_u32_e32 v0, vcc, s12, v0
	v_addc_co_u32_e32 v1, vcc, v2, v1, vcc
	global_store_dword v[0:1], v31, off
.LBB128_68:
	s_endpgm
.LBB128_69:
	v_add_u32_e32 v5, v4, v0
	v_mov_b32_e32 v6, 0
	v_lshlrev_b64 v[5:6], 2, v[5:6]
	s_waitcnt lgkmcnt(0)
	v_mov_b32_e32 v7, s13
	v_add_co_u32_e64 v5, s[6:7], s12, v5
	v_addc_co_u32_e64 v6, s[6:7], v7, v6, s[6:7]
	global_store_dword v[5:6], v80, off
	s_or_b64 exec, exec, s[8:9]
	s_and_saveexec_b64 s[8:9], s[0:1]
	s_cbranch_execz .LBB128_29
.LBB128_70:
	v_add_u32_e32 v5, v4, v1
	v_mov_b32_e32 v6, 0
	v_lshlrev_b64 v[5:6], 2, v[5:6]
	s_waitcnt lgkmcnt(0)
	v_mov_b32_e32 v7, s13
	v_add_co_u32_e64 v5, s[6:7], s12, v5
	v_addc_co_u32_e64 v6, s[6:7], v7, v6, s[6:7]
	global_store_dword v[5:6], v76, off
	s_or_b64 exec, exec, s[8:9]
	s_and_saveexec_b64 s[8:9], s[2:3]
	s_cbranch_execz .LBB128_30
.LBB128_71:
	v_add_u32_e32 v5, v4, v2
	v_mov_b32_e32 v6, 0
	v_lshlrev_b64 v[5:6], 2, v[5:6]
	s_waitcnt lgkmcnt(0)
	v_mov_b32_e32 v7, s13
	v_add_co_u32_e64 v5, s[6:7], s12, v5
	v_addc_co_u32_e64 v6, s[6:7], v7, v6, s[6:7]
	global_store_dword v[5:6], v71, off
	s_or_b64 exec, exec, s[8:9]
	s_and_saveexec_b64 s[8:9], s[4:5]
	s_cbranch_execnz .LBB128_31
	s_branch .LBB128_32
.LBB128_72:
	v_add_u32_e32 v5, v4, v0
	v_mov_b32_e32 v6, 0
	v_lshlrev_b64 v[5:6], 2, v[5:6]
	s_waitcnt lgkmcnt(0)
	v_mov_b32_e32 v7, s13
	v_add_co_u32_e64 v5, s[6:7], s12, v5
	v_addc_co_u32_e64 v6, s[6:7], v7, v6, s[6:7]
	global_store_dword v[5:6], v59, off
	s_or_b64 exec, exec, s[8:9]
	s_and_saveexec_b64 s[8:9], s[0:1]
	s_cbranch_execz .LBB128_35
.LBB128_73:
	v_add_u32_e32 v5, v4, v1
	v_mov_b32_e32 v6, 0
	v_lshlrev_b64 v[5:6], 2, v[5:6]
	s_waitcnt lgkmcnt(0)
	v_mov_b32_e32 v7, s13
	v_add_co_u32_e64 v5, s[6:7], s12, v5
	v_addc_co_u32_e64 v6, s[6:7], v7, v6, s[6:7]
	global_store_dword v[5:6], v55, off
	s_or_b64 exec, exec, s[8:9]
	s_and_saveexec_b64 s[8:9], s[2:3]
	s_cbranch_execz .LBB128_36
.LBB128_74:
	v_add_u32_e32 v5, v4, v2
	v_mov_b32_e32 v6, 0
	v_lshlrev_b64 v[5:6], 2, v[5:6]
	s_waitcnt lgkmcnt(0)
	v_mov_b32_e32 v7, s13
	v_add_co_u32_e64 v5, s[6:7], s12, v5
	v_addc_co_u32_e64 v6, s[6:7], v7, v6, s[6:7]
	global_store_dword v[5:6], v54, off
	s_or_b64 exec, exec, s[8:9]
	s_and_saveexec_b64 s[8:9], s[4:5]
	s_cbranch_execnz .LBB128_37
	s_branch .LBB128_38
.LBB128_75:
	v_add_u32_e32 v5, v4, v0
	v_mov_b32_e32 v6, 0
	v_lshlrev_b64 v[5:6], 2, v[5:6]
	s_waitcnt lgkmcnt(0)
	v_mov_b32_e32 v7, s13
	v_add_co_u32_e64 v5, s[6:7], s12, v5
	v_addc_co_u32_e64 v6, s[6:7], v7, v6, s[6:7]
	global_store_dword v[5:6], v52, off
	s_or_b64 exec, exec, s[8:9]
	s_and_saveexec_b64 s[8:9], s[0:1]
	s_cbranch_execz .LBB128_41
.LBB128_76:
	v_add_u32_e32 v5, v4, v1
	v_mov_b32_e32 v6, 0
	v_lshlrev_b64 v[5:6], 2, v[5:6]
	s_waitcnt lgkmcnt(0)
	v_mov_b32_e32 v7, s13
	v_add_co_u32_e64 v5, s[6:7], s12, v5
	v_addc_co_u32_e64 v6, s[6:7], v7, v6, s[6:7]
	global_store_dword v[5:6], v51, off
	s_or_b64 exec, exec, s[8:9]
	s_and_saveexec_b64 s[8:9], s[2:3]
	s_cbranch_execz .LBB128_42
.LBB128_77:
	v_add_u32_e32 v5, v4, v2
	v_mov_b32_e32 v6, 0
	v_lshlrev_b64 v[5:6], 2, v[5:6]
	s_waitcnt lgkmcnt(0)
	v_mov_b32_e32 v7, s13
	v_add_co_u32_e64 v5, s[6:7], s12, v5
	v_addc_co_u32_e64 v6, s[6:7], v7, v6, s[6:7]
	global_store_dword v[5:6], v49, off
	s_or_b64 exec, exec, s[8:9]
	s_and_saveexec_b64 s[8:9], s[4:5]
	s_cbranch_execnz .LBB128_43
	s_branch .LBB128_44
.LBB128_78:
	v_add_u32_e32 v5, v4, v0
	v_mov_b32_e32 v6, 0
	v_lshlrev_b64 v[5:6], 2, v[5:6]
	s_waitcnt lgkmcnt(0)
	v_mov_b32_e32 v7, s13
	v_add_co_u32_e64 v5, s[6:7], s12, v5
	v_addc_co_u32_e64 v6, s[6:7], v7, v6, s[6:7]
	global_store_dword v[5:6], v46, off
	s_or_b64 exec, exec, s[8:9]
	s_and_saveexec_b64 s[8:9], s[0:1]
	s_cbranch_execz .LBB128_47
.LBB128_79:
	v_add_u32_e32 v5, v4, v1
	v_mov_b32_e32 v6, 0
	v_lshlrev_b64 v[5:6], 2, v[5:6]
	s_waitcnt lgkmcnt(0)
	v_mov_b32_e32 v7, s13
	v_add_co_u32_e64 v5, s[6:7], s12, v5
	v_addc_co_u32_e64 v6, s[6:7], v7, v6, s[6:7]
	global_store_dword v[5:6], v45, off
	s_or_b64 exec, exec, s[8:9]
	s_and_saveexec_b64 s[8:9], s[2:3]
	s_cbranch_execz .LBB128_48
.LBB128_80:
	v_add_u32_e32 v5, v4, v2
	v_mov_b32_e32 v6, 0
	v_lshlrev_b64 v[5:6], 2, v[5:6]
	s_waitcnt lgkmcnt(0)
	v_mov_b32_e32 v7, s13
	v_add_co_u32_e64 v5, s[6:7], s12, v5
	v_addc_co_u32_e64 v6, s[6:7], v7, v6, s[6:7]
	global_store_dword v[5:6], v44, off
	s_or_b64 exec, exec, s[8:9]
	s_and_saveexec_b64 s[8:9], s[4:5]
	s_cbranch_execnz .LBB128_49
	s_branch .LBB128_50
.LBB128_81:
	v_add_u32_e32 v5, v4, v0
	v_mov_b32_e32 v6, 0
	v_lshlrev_b64 v[5:6], 2, v[5:6]
	s_waitcnt lgkmcnt(0)
	v_mov_b32_e32 v7, s13
	v_add_co_u32_e64 v5, s[6:7], s12, v5
	v_addc_co_u32_e64 v6, s[6:7], v7, v6, s[6:7]
	global_store_dword v[5:6], v42, off
	s_or_b64 exec, exec, s[8:9]
	s_and_saveexec_b64 s[8:9], s[0:1]
	s_cbranch_execz .LBB128_53
.LBB128_82:
	v_add_u32_e32 v5, v4, v1
	v_mov_b32_e32 v6, 0
	v_lshlrev_b64 v[5:6], 2, v[5:6]
	s_waitcnt lgkmcnt(0)
	v_mov_b32_e32 v7, s13
	v_add_co_u32_e64 v5, s[6:7], s12, v5
	v_addc_co_u32_e64 v6, s[6:7], v7, v6, s[6:7]
	global_store_dword v[5:6], v41, off
	s_or_b64 exec, exec, s[8:9]
	s_and_saveexec_b64 s[8:9], s[2:3]
	s_cbranch_execz .LBB128_54
.LBB128_83:
	v_add_u32_e32 v5, v4, v2
	v_mov_b32_e32 v6, 0
	v_lshlrev_b64 v[5:6], 2, v[5:6]
	s_waitcnt lgkmcnt(0)
	v_mov_b32_e32 v7, s13
	v_add_co_u32_e64 v5, s[6:7], s12, v5
	v_addc_co_u32_e64 v6, s[6:7], v7, v6, s[6:7]
	global_store_dword v[5:6], v40, off
	s_or_b64 exec, exec, s[8:9]
	s_and_saveexec_b64 s[8:9], s[4:5]
	s_cbranch_execnz .LBB128_55
	s_branch .LBB128_56
.LBB128_84:
	v_add_u32_e32 v5, v4, v0
	v_mov_b32_e32 v6, 0
	v_lshlrev_b64 v[5:6], 2, v[5:6]
	s_waitcnt lgkmcnt(0)
	v_mov_b32_e32 v7, s13
	v_add_co_u32_e64 v5, s[6:7], s12, v5
	v_addc_co_u32_e64 v6, s[6:7], v7, v6, s[6:7]
	global_store_dword v[5:6], v38, off
	s_or_b64 exec, exec, s[8:9]
	s_and_saveexec_b64 s[8:9], s[0:1]
	s_cbranch_execz .LBB128_59
.LBB128_85:
	v_add_u32_e32 v5, v4, v1
	v_mov_b32_e32 v6, 0
	v_lshlrev_b64 v[5:6], 2, v[5:6]
	s_waitcnt lgkmcnt(0)
	v_mov_b32_e32 v7, s13
	v_add_co_u32_e64 v5, s[6:7], s12, v5
	v_addc_co_u32_e64 v6, s[6:7], v7, v6, s[6:7]
	global_store_dword v[5:6], v37, off
	s_or_b64 exec, exec, s[8:9]
	s_and_saveexec_b64 s[8:9], s[2:3]
	s_cbranch_execz .LBB128_60
.LBB128_86:
	v_add_u32_e32 v5, v4, v2
	v_mov_b32_e32 v6, 0
	v_lshlrev_b64 v[5:6], 2, v[5:6]
	s_waitcnt lgkmcnt(0)
	v_mov_b32_e32 v7, s13
	v_add_co_u32_e64 v5, s[6:7], s12, v5
	v_addc_co_u32_e64 v6, s[6:7], v7, v6, s[6:7]
	global_store_dword v[5:6], v36, off
	s_or_b64 exec, exec, s[8:9]
	s_and_saveexec_b64 s[8:9], s[4:5]
	s_cbranch_execnz .LBB128_61
	s_branch .LBB128_62
.LBB128_87:
	v_add_u32_e32 v5, v4, v0
	v_mov_b32_e32 v6, 0
	v_lshlrev_b64 v[5:6], 2, v[5:6]
	s_waitcnt lgkmcnt(0)
	v_mov_b32_e32 v0, s13
	v_add_co_u32_e32 v5, vcc, s12, v5
	v_addc_co_u32_e32 v6, vcc, v0, v6, vcc
	global_store_dword v[5:6], v34, off
	s_or_b64 exec, exec, s[6:7]
	s_and_saveexec_b64 s[6:7], s[0:1]
	s_cbranch_execz .LBB128_65
.LBB128_88:
	v_add_u32_e32 v0, v4, v1
	v_mov_b32_e32 v1, 0
	v_lshlrev_b64 v[0:1], 2, v[0:1]
	s_waitcnt lgkmcnt(0)
	v_mov_b32_e32 v5, s13
	v_add_co_u32_e32 v0, vcc, s12, v0
	v_addc_co_u32_e32 v1, vcc, v5, v1, vcc
	global_store_dword v[0:1], v33, off
	s_or_b64 exec, exec, s[6:7]
	s_and_saveexec_b64 s[0:1], s[2:3]
	s_cbranch_execz .LBB128_66
.LBB128_89:
	v_add_u32_e32 v0, v4, v2
	v_mov_b32_e32 v1, 0
	v_lshlrev_b64 v[0:1], 2, v[0:1]
	s_waitcnt lgkmcnt(0)
	v_mov_b32_e32 v2, s13
	v_add_co_u32_e32 v0, vcc, s12, v0
	v_addc_co_u32_e32 v1, vcc, v2, v1, vcc
	global_store_dword v[0:1], v32, off
	s_or_b64 exec, exec, s[0:1]
	s_and_b64 exec, exec, s[4:5]
	s_cbranch_execnz .LBB128_67
	s_branch .LBB128_68
	.section	.rodata,"a",@progbits
	.p2align	6, 0x0
	.amdhsa_kernel _ZL12mul_mat_q2_KIfLb1EEvPKvS1_PT_iiiii
		.amdhsa_group_segment_fixed_size 31392
		.amdhsa_private_segment_fixed_size 436
		.amdhsa_kernarg_size 44
		.amdhsa_user_sgpr_count 6
		.amdhsa_user_sgpr_private_segment_buffer 1
		.amdhsa_user_sgpr_dispatch_ptr 0
		.amdhsa_user_sgpr_queue_ptr 0
		.amdhsa_user_sgpr_kernarg_segment_ptr 1
		.amdhsa_user_sgpr_dispatch_id 0
		.amdhsa_user_sgpr_flat_scratch_init 0
		.amdhsa_user_sgpr_private_segment_size 0
		.amdhsa_uses_dynamic_stack 0
		.amdhsa_system_sgpr_private_segment_wavefront_offset 1
		.amdhsa_system_sgpr_workgroup_id_x 1
		.amdhsa_system_sgpr_workgroup_id_y 1
		.amdhsa_system_sgpr_workgroup_id_z 0
		.amdhsa_system_sgpr_workgroup_info 0
		.amdhsa_system_vgpr_workitem_id 1
		.amdhsa_next_free_vgpr 128
		.amdhsa_next_free_sgpr 98
		.amdhsa_reserve_vcc 1
		.amdhsa_reserve_flat_scratch 0
		.amdhsa_float_round_mode_32 0
		.amdhsa_float_round_mode_16_64 0
		.amdhsa_float_denorm_mode_32 3
		.amdhsa_float_denorm_mode_16_64 3
		.amdhsa_dx10_clamp 1
		.amdhsa_ieee_mode 1
		.amdhsa_fp16_overflow 0
		.amdhsa_exception_fp_ieee_invalid_op 0
		.amdhsa_exception_fp_denorm_src 0
		.amdhsa_exception_fp_ieee_div_zero 0
		.amdhsa_exception_fp_ieee_overflow 0
		.amdhsa_exception_fp_ieee_underflow 0
		.amdhsa_exception_fp_ieee_inexact 0
		.amdhsa_exception_int_div_zero 0
	.end_amdhsa_kernel
	.section	.text._ZL12mul_mat_q2_KIfLb1EEvPKvS1_PT_iiiii,"axG",@progbits,_ZL12mul_mat_q2_KIfLb1EEvPKvS1_PT_iiiii,comdat
.Lfunc_end128:
	.size	_ZL12mul_mat_q2_KIfLb1EEvPKvS1_PT_iiiii, .Lfunc_end128-_ZL12mul_mat_q2_KIfLb1EEvPKvS1_PT_iiiii
                                        ; -- End function
	.set _ZL12mul_mat_q2_KIfLb1EEvPKvS1_PT_iiiii.num_vgpr, 128
	.set _ZL12mul_mat_q2_KIfLb1EEvPKvS1_PT_iiiii.num_agpr, 0
	.set _ZL12mul_mat_q2_KIfLb1EEvPKvS1_PT_iiiii.numbered_sgpr, 24
	.set _ZL12mul_mat_q2_KIfLb1EEvPKvS1_PT_iiiii.num_named_barrier, 0
	.set _ZL12mul_mat_q2_KIfLb1EEvPKvS1_PT_iiiii.private_seg_size, 436
	.set _ZL12mul_mat_q2_KIfLb1EEvPKvS1_PT_iiiii.uses_vcc, 1
	.set _ZL12mul_mat_q2_KIfLb1EEvPKvS1_PT_iiiii.uses_flat_scratch, 0
	.set _ZL12mul_mat_q2_KIfLb1EEvPKvS1_PT_iiiii.has_dyn_sized_stack, 0
	.set _ZL12mul_mat_q2_KIfLb1EEvPKvS1_PT_iiiii.has_recursion, 0
	.set _ZL12mul_mat_q2_KIfLb1EEvPKvS1_PT_iiiii.has_indirect_call, 0
	.section	.AMDGPU.csdata,"",@progbits
; Kernel info:
; codeLenInByte = 36140
; TotalNumSgprs: 28
; NumVgprs: 128
; ScratchSize: 436
; MemoryBound: 0
; FloatMode: 240
; IeeeMode: 1
; LDSByteSize: 31392 bytes/workgroup (compile time only)
; SGPRBlocks: 12
; VGPRBlocks: 31
; NumSGPRsForWavesPerEU: 102
; NumVGPRsForWavesPerEU: 128
; Occupancy: 2
; WaveLimiterHint : 0
; COMPUTE_PGM_RSRC2:SCRATCH_EN: 1
; COMPUTE_PGM_RSRC2:USER_SGPR: 6
; COMPUTE_PGM_RSRC2:TRAP_HANDLER: 0
; COMPUTE_PGM_RSRC2:TGID_X_EN: 1
; COMPUTE_PGM_RSRC2:TGID_Y_EN: 1
; COMPUTE_PGM_RSRC2:TGID_Z_EN: 0
; COMPUTE_PGM_RSRC2:TIDIG_COMP_CNT: 1
	.section	.text._ZL12mul_mat_q3_KIfLb0EEvPKvS1_PT_iiiii,"axG",@progbits,_ZL12mul_mat_q3_KIfLb0EEvPKvS1_PT_iiiii,comdat
	.globl	_ZL12mul_mat_q3_KIfLb0EEvPKvS1_PT_iiiii ; -- Begin function _ZL12mul_mat_q3_KIfLb0EEvPKvS1_PT_iiiii
	.p2align	8
	.type	_ZL12mul_mat_q3_KIfLb0EEvPKvS1_PT_iiiii,@function
_ZL12mul_mat_q3_KIfLb0EEvPKvS1_PT_iiiii: ; @_ZL12mul_mat_q3_KIfLb0EEvPKvS1_PT_iiiii
; %bb.0:
	s_load_dword s14, s[4:5], 0x18
	s_load_dwordx4 s[8:11], s[4:5], 0x20
	s_waitcnt lgkmcnt(0)
	s_lshl_b32 s11, s7, 6
	v_add_u32_e32 v54, s11, v1
	s_cmpk_gt_i32 s14, 0xff
	s_cbranch_scc1 .LBB129_2
; %bb.1:
	v_add_u32_e32 v34, s11, v1
	s_mov_b64 s[0:1], 0
	s_branch .LBB129_3
.LBB129_2:
	s_mov_b64 s[0:1], -1
                                        ; implicit-def: $vgpr34
.LBB129_3:
	s_load_dwordx2 s[12:13], s[4:5], 0x10
	s_lshl_b32 s6, s6, 7
	s_andn2_b64 vcc, exec, s[0:1]
	s_mov_b32 s7, 0
	s_cbranch_vccnz .LBB129_16
; %bb.4:
	s_load_dwordx4 s[0:3], s[4:5], 0x0
	s_ashr_i32 s4, s14, 31
	s_lshr_b32 s4, s4, 24
	s_add_i32 s14, s14, s4
	s_ashr_i32 s5, s9, 31
	s_ashr_i32 s4, s14, 8
	s_lshr_b32 s5, s5, 27
	s_add_i32 s5, s9, s5
	s_mul_i32 s14, s4, s6
	s_ashr_i32 s9, s5, 5
	s_mul_hi_i32 s15, s14, 0x6e
	s_mulk_i32 s14, 0x6e
	s_waitcnt lgkmcnt(0)
	s_add_u32 s0, s0, s14
	v_lshlrev_b32_e32 v5, 2, v0
	s_movk_i32 s14, 0x84
	s_addc_u32 s1, s1, s15
	v_mad_u32_u24 v58, v1, s14, v5
	s_lshl_b32 s14, s4, 3
	v_mov_b32_e32 v3, s14
	v_mad_i32_i24 v59, s4, v1, v3
	v_add_u32_e32 v61, s14, v59
	v_add_u32_e32 v63, s14, v61
	;; [unrolled: 1-line block ×11, first 2 shown]
	v_lshlrev_b32_e32 v15, 4, v1
	v_lshrrev_b32_e32 v90, 1, v0
	v_add_u32_e32 v83, s14, v81
	v_and_b32_e32 v89, 1, v0
	v_add_u32_e32 v3, v90, v15
	v_add_u32_e32 v85, s14, v83
	v_and_b32_e32 v4, 0x7f, v3
	v_lshlrev_b32_e32 v6, 2, v89
	v_lshrrev_b32_e32 v3, 2, v3
	v_add_u32_e32 v87, s14, v85
	v_mul_i32_i24_e32 v91, s4, v4
	v_lshl_or_b32 v4, v4, 3, v6
	v_and_b32_e32 v3, 28, v3
	s_mov_b32 s14, 0x9380
	v_lshrrev_b32_e32 v55, 4, v0
	v_add3_u32 v92, v4, v3, s14
	v_lshlrev_b32_e32 v3, 1, v1
	v_add_u32_e32 v4, v55, v3
	v_add_u16_e32 v3, v55, v3
	v_and_b32_e32 v2, 15, v0
	v_lshrrev_b16_e32 v3, 1, v3
	v_lshlrev_b32_e32 v56, 2, v2
	v_lshlrev_b32_e32 v3, 2, v3
	s_movk_i32 s14, 0x4200
	s_lshl_b32 s15, s4, 4
	v_add3_u32 v16, v3, v56, s14
	v_add_u32_e32 v3, 16, v4
	v_mov_b32_e32 v6, s15
	v_mad_i32_i24 v96, s4, v4, v6
	v_lshlrev_b32_e32 v6, 1, v3
	v_and_b32_e32 v6, 0xffc, v6
	v_lshlrev_b32_e32 v23, 6, v3
	v_add_u32_e32 v3, 32, v4
	v_add3_u32 v22, v6, v56, s14
	v_lshlrev_b32_e32 v6, 1, v3
	v_and_b32_e32 v6, 0xffc, v6
	v_lshlrev_b32_e32 v25, 6, v3
	v_add_u32_e32 v3, 48, v4
	v_add3_u32 v24, v6, v56, s14
	;; [unrolled: 5-line block ×4, first 2 shown]
	v_lshlrev_b32_e32 v6, 1, v3
	v_and_b32_e32 v6, 0xffc, v6
	v_lshlrev_b32_e32 v31, 6, v3
	v_add_u32_e32 v3, 0x60, v4
	v_add_u32_e32 v97, s15, v96
	v_add3_u32 v30, v6, v56, s14
	v_lshlrev_b32_e32 v6, 1, v3
	v_lshlrev_b32_e32 v33, 6, v3
	v_add_u32_e32 v3, 0x70, v4
	v_cmp_lt_u32_e32 vcc, 7, v2
	v_and_b32_e32 v2, 7, v0
	v_mul_i32_i24_e32 v95, s4, v4
	v_lshlrev_b32_e32 v17, 6, v4
	v_add_u32_e32 v98, s15, v97
	v_lshlrev_b32_e32 v4, 1, v3
	v_cndmask_b32_e64 v93, 0, 1, vcc
	v_lshlrev_b32_e32 v94, 2, v2
	v_add_u32_e32 v99, s15, v98
	v_and_b32_e32 v4, 0xffc, v4
	v_cmp_lt_u32_e32 vcc, 3, v2
	v_and_b32_e32 v2, 3, v0
	v_add_u32_e32 v100, s15, v99
	v_and_b32_e32 v6, 0xffc, v6
	v_add3_u32 v34, v4, v56, s14
	v_lshrrev_b32_e32 v103, 3, v0
	v_cndmask_b32_e64 v104, 0, 1, vcc
	v_add_u16_e32 v4, -2, v2
	v_cmp_gt_u32_e32 vcc, 2, v2
	v_add_u32_e32 v101, s15, v100
	v_add3_u32 v32, v6, v56, s14
	v_lshlrev_b32_e32 v35, 6, v3
	v_lshl_add_u32 v3, v1, 2, v103
	v_cndmask_b32_e32 v4, v4, v2, vcc
	v_mov_b32_e32 v6, 2
	v_add_u32_e32 v102, s15, v101
	v_lshlrev_b32_sdwa v107, v6, v4 dst_sel:DWORD dst_unused:UNUSED_PAD src0_sel:DWORD src1_sel:BYTE_0
	v_and_b32_e32 v4, 0x7fc, v3
	s_mov_b32 s14, 0x8300
	s_lshl_b32 s15, s4, 5
	v_add3_u32 v36, v4, v94, s14
	v_add_u32_e32 v4, 32, v3
	v_mov_b32_e32 v6, s15
	v_mul_i32_i24_e32 v109, s4, v3
	v_lshlrev_b32_e32 v37, 5, v3
	v_mad_i32_i24 v110, s4, v3, v6
	v_and_b32_e32 v6, 0xffc, v4
	v_lshlrev_b32_e32 v39, 5, v4
	v_add_u32_e32 v4, 64, v3
	v_add_u32_e32 v3, 0x60, v3
	v_add3_u32 v38, v6, v94, s14
	v_and_b32_e32 v6, 0xffc, v4
	v_lshlrev_b32_e32 v41, 5, v4
	v_and_b32_e32 v4, 0xffc, v3
	v_add3_u32 v40, v6, v94, s14
	v_add3_u32 v45, v4, v94, s14
	s_add_i32 s14, s8, -1
	v_and_b32_e32 v6, 31, v0
	v_and_b32_e32 v19, 28, v5
	v_mov_b32_e32 v5, 0x6300
	v_lshlrev_b32_e32 v46, 5, v3
	v_cvt_f64_i32_e32 v[3:4], s14
	v_lshl_or_b32 v47, v6, 2, v5
	v_lshrrev_b32_e32 v7, 2, v0
	v_cvt_f64_u32_e32 v[5:6], v54
	v_lshl_add_u32 v7, v1, 3, v7
	v_and_b32_e32 v11, 63, v7
	v_add_u32_e32 v7, 8, v54
	v_cvt_f64_u32_e32 v[7:8], v7
	v_add_u32_e32 v9, 16, v54
	v_min_f64 v[5:6], v[5:6], v[3:4]
	v_cvt_f64_u32_e32 v[9:10], v9
	v_min_f64 v[7:8], v[7:8], v[3:4]
	v_or_b32_e32 v12, s11, v11
	v_add_u32_e32 v111, s15, v110
	v_min_f64 v[9:10], v[9:10], v[3:4]
	v_min_i32_e32 v12, s14, v12
	v_lshlrev_b32_e32 v108, 1, v2
	v_cvt_i32_f64_e32 v5, v[5:6]
	v_add_u32_e32 v112, s15, v111
	v_mad_u64_u32 v[42:43], s[14:15], v12, s9, v[2:3]
	v_lshlrev_b32_e32 v2, 2, v2
	v_lshl_or_b32 v2, v11, 4, v2
	v_add_u32_e32 v113, 0x97a0, v2
	v_cvt_i32_f64_e32 v2, v[7:8]
	v_mul_lo_u32 v114, s9, v5
	v_cvt_i32_f64_e32 v5, v[9:10]
	v_mov_b32_e32 v18, 0
	v_mul_lo_u32 v115, s9, v2
	v_add_u32_e32 v2, 24, v54
	v_mul_lo_u32 v116, s9, v5
	v_cvt_f64_u32_e32 v[5:6], v2
	v_add_u32_e32 v2, 32, v54
	v_cvt_f64_u32_e32 v[7:8], v2
	v_add_u32_e32 v2, 40, v54
	v_min_f64 v[5:6], v[5:6], v[3:4]
	v_cvt_f64_u32_e32 v[9:10], v2
	v_add_u32_e32 v2, 48, v54
	v_cvt_f64_u32_e32 v[11:12], v2
	v_add_u32_e32 v2, 56, v54
	v_cvt_f64_u32_e32 v[13:14], v2
	v_min_f64 v[7:8], v[7:8], v[3:4]
	v_min_f64 v[9:10], v[9:10], v[3:4]
	v_cvt_i32_f64_e32 v20, v[5:6]
	v_min_f64 v[5:6], v[11:12], v[3:4]
	v_min_f64 v[2:3], v[13:14], v[3:4]
	v_add_u32_e32 v11, 64, v0
	v_lshlrev_b32_e32 v48, 7, v1
	v_mul_lo_u32 v117, s9, v20
	v_cvt_i32_f64_e32 v7, v[7:8]
	v_cvt_i32_f64_e32 v8, v[9:10]
	v_add_u32_e32 v14, 0x60, v0
	v_cvt_i32_f64_e32 v5, v[5:6]
	v_cvt_i32_f64_e32 v2, v[2:3]
	v_mul_lo_u32 v119, s9, v8
	v_add_u32_e32 v8, 32, v0
	v_lshlrev_b32_e32 v6, 5, v0
	v_lshrrev_b32_e32 v9, 1, v8
	v_lshrrev_b32_e32 v10, 4, v8
	v_lshlrev_b32_e32 v124, 6, v8
	v_lshlrev_b32_e32 v125, 3, v8
	v_lshrrev_b32_e32 v130, 3, v8
	v_and_b32_e32 v8, 0x1fc, v8
	v_mul_lo_u32 v118, s9, v7
	v_mul_lo_u32 v120, s9, v5
	;; [unrolled: 1-line block ×3, first 2 shown]
	v_add_u32_e32 v135, v6, v8
	v_and_b32_e32 v8, 0x1fc, v11
	v_add_u32_e32 v4, 0xc00, v48
	v_add_u32_e32 v7, 0x1000, v48
	;; [unrolled: 1-line block ×5, first 2 shown]
	v_lshrrev_b32_e32 v12, 1, v11
	v_lshrrev_b32_e32 v13, 4, v11
	v_mov_b32_e32 v20, s3
	v_add_co_u32_e32 v43, vcc, s2, v19
	v_and_b32_e32 v19, 0xfc, v0
	v_add_u32_e32 v137, v6, v8
	v_and_b32_e32 v8, 0x1fc, v14
	v_mov_b32_e32 v21, v18
	v_lshlrev_b32_e32 v105, 1, v0
	v_add_u32_e32 v49, 0x400, v48
	v_add_u32_e32 v50, 0x800, v48
	v_lshrrev_b32_e32 v51, 1, v14
	v_lshrrev_b32_e32 v52, 4, v14
	v_lshlrev_b32_e32 v126, 6, v11
	v_lshlrev_b32_e32 v127, 3, v11
	;; [unrolled: 1-line block ×4, first 2 shown]
	v_lshrrev_b32_e32 v131, 3, v11
	v_lshrrev_b32_e32 v132, 3, v14
	v_addc_co_u32_e32 v44, vcc, 0, v20, vcc
	v_add_u32_e32 v133, v6, v19
	v_add_u32_e32 v139, v6, v8
	;; [unrolled: 1-line block ×3, first 2 shown]
	v_mov_b32_e32 v19, v18
	v_mov_b32_e32 v20, v18
	v_add_u32_e32 v143, v16, v17
	v_add_u32_e32 v144, v22, v23
	v_add_u32_e32 v145, v24, v25
	v_add_u32_e32 v146, v26, v27
	v_add_u32_e32 v147, v28, v29
	v_add_u32_e32 v148, v30, v31
	v_add_u32_e32 v149, v32, v33
	v_add_u32_e32 v158, v47, v4
	v_add_u32_e32 v159, v47, v7
	v_add_u32_e32 v160, v47, v3
	v_add_u32_e32 v161, v47, v5
	v_add_u32_e32 v162, v47, v2
	v_lshlrev_b32_e32 v164, 2, v9
	v_lshlrev_b32_e32 v165, 2, v10
	;; [unrolled: 1-line block ×4, first 2 shown]
	v_mov_b32_e32 v14, v18
	v_mov_b32_e32 v33, v21
	;; [unrolled: 1-line block ×7, first 2 shown]
	s_movk_i32 s5, 0x6e
	v_mul_i32_i24_e32 v57, s4, v1
	v_add_u32_e32 v60, 0x420, v58
	v_add_u32_e32 v62, 0x840, v58
	;; [unrolled: 1-line block ×15, first 2 shown]
	v_and_b32_e32 v106, 4, v105
	v_mul_u32_u24_e32 v122, 0x84, v0
	v_lshlrev_b32_e32 v123, 6, v0
	v_add_u32_e32 v134, 0x8300, v133
	v_add_u32_e32 v136, 0x8700, v135
	;; [unrolled: 1-line block ×6, first 2 shown]
	s_mov_b32 s9, 0x30303030
	s_movk_i32 s14, 0x3f00
	s_movk_i32 s15, 0xe000
	v_add_u32_e32 v151, v36, v37
	v_add_u32_e32 v152, v38, v39
	;; [unrolled: 1-line block ×7, first 2 shown]
	v_mov_b32_e32 v163, 8
	v_lshlrev_b32_e32 v168, 2, v51
	v_lshlrev_b32_e32 v169, 2, v52
	v_mov_b32_e32 v15, v19
	v_mov_b32_e32 v16, v20
	;; [unrolled: 1-line block ×21, first 2 shown]
	s_branch .LBB129_6
.LBB129_5:                              ;   in Loop: Header=BB129_6 Depth=1
	s_add_i32 s7, s7, 2
	s_cmp_ge_i32 s7, s4
	s_cbranch_scc1 .LBB129_18
.LBB129_6:                              ; =>This Loop Header: Depth=1
                                        ;     Child Loop BB129_7 Depth 2
                                        ;     Child Loop BB129_9 Depth 2
	;; [unrolled: 1-line block ×4, first 2 shown]
	s_mul_i32 s16, s7, 0x6e
	s_mul_hi_u32 s17, s7, 0x6e
	s_add_u32 s16, s0, s16
	s_addc_u32 s17, s1, s17
	v_mov_b32_e32 v35, s17
	v_mov_b32_e32 v34, s16
	v_mad_u64_u32 v[36:37], s[16:17], v55, s5, v[34:35]
	s_mov_b32 s20, -2
	v_mad_u64_u32 v[38:39], s[16:17], v57, s5, v[36:37]
	v_mad_u64_u32 v[40:41], s[16:17], v59, s5, v[36:37]
	v_add_co_u32_e32 v38, vcc, v38, v56
	v_mad_u64_u32 v[45:46], s[16:17], v61, s5, v[36:37]
	v_addc_co_u32_e32 v39, vcc, 0, v39, vcc
	v_add_co_u32_e32 v40, vcc, v40, v56
	v_mad_u64_u32 v[47:48], s[16:17], v63, s5, v[36:37]
	v_addc_co_u32_e32 v41, vcc, 0, v41, vcc
	;; [unrolled: 3-line block ×6, first 2 shown]
	v_add_co_u32_e32 v170, vcc, v170, v56
	v_addc_co_u32_e32 v171, vcc, 0, v171, vcc
	v_mad_u64_u32 v[174:175], s[16:17], v73, s5, v[36:37]
	v_add_co_u32_e32 v172, vcc, v172, v56
	v_addc_co_u32_e32 v173, vcc, 0, v173, vcc
	global_load_dword v53, v[38:39], off offset:32
	global_load_dword v176, v[40:41], off offset:32
	;; [unrolled: 1-line block ×8, first 2 shown]
	v_mad_u64_u32 v[40:41], s[16:17], v75, s5, v[36:37]
	v_add_co_u32_e32 v38, vcc, v174, v56
	v_mad_u64_u32 v[45:46], s[16:17], v77, s5, v[36:37]
	v_addc_co_u32_e32 v39, vcc, 0, v175, vcc
	v_add_co_u32_e32 v40, vcc, v40, v56
	v_mad_u64_u32 v[47:48], s[16:17], v79, s5, v[36:37]
	v_addc_co_u32_e32 v41, vcc, 0, v41, vcc
	;; [unrolled: 3-line block ×6, first 2 shown]
	v_mad_u64_u32 v[172:173], s[16:17], v91, s5, v[34:35]
	v_add_co_u32_e32 v170, vcc, v170, v56
	v_mad_u64_u32 v[174:175], s[16:17], v93, s5, v[34:35]
	v_addc_co_u32_e32 v171, vcc, 0, v171, vcc
	v_add_co_u32_e32 v36, vcc, v36, v56
	v_addc_co_u32_e32 v37, vcc, 0, v37, vcc
	v_mad_u64_u32 v[172:173], s[16:17], v89, s5, v[172:173]
	global_load_dword v183, v[38:39], off offset:32
	global_load_dword v184, v[40:41], off offset:32
	;; [unrolled: 1-line block ×6, first 2 shown]
	s_nop 0
	global_load_dword v170, v[170:171], off offset:32
	s_nop 0
	global_load_dword v171, v[36:37], off offset:32
	s_nop 0
	global_load_ushort v172, v[172:173], off offset:108
	v_add_co_u32_e32 v36, vcc, v174, v94
	v_addc_co_u32_e32 v37, vcc, 0, v175, vcc
	v_mad_u64_u32 v[38:39], s[16:17], v95, s5, v[36:37]
	v_mad_u64_u32 v[40:41], s[16:17], v96, s5, v[36:37]
	;; [unrolled: 1-line block ×4, first 2 shown]
	global_load_dword v173, v[38:39], off
	global_load_dword v174, v[40:41], off
	;; [unrolled: 1-line block ×4, first 2 shown]
	v_mad_u64_u32 v[38:39], s[16:17], v99, s5, v[36:37]
	v_mad_u64_u32 v[40:41], s[16:17], v100, s5, v[36:37]
	;; [unrolled: 1-line block ×3, first 2 shown]
	global_load_dword v190, v[38:39], off
	global_load_dword v191, v[40:41], off
	;; [unrolled: 1-line block ×3, first 2 shown]
	v_mad_u64_u32 v[34:35], s[16:17], v104, s5, v[34:35]
	v_mad_u64_u32 v[36:37], s[16:17], v102, s5, v[36:37]
	;; [unrolled: 1-line block ×4, first 2 shown]
	v_add_co_u32_e32 v40, vcc, v38, v107
	v_mad_u64_u32 v[47:48], s[16:17], v111, s5, v[34:35]
	v_addc_co_u32_e32 v41, vcc, 0, v39, vcc
	v_add_co_u32_e32 v49, vcc, v45, v107
	v_addc_co_u32_e32 v50, vcc, 0, v46, vcc
	v_add_co_u32_e32 v51, vcc, v47, v107
	v_addc_co_u32_e32 v52, vcc, 0, v48, vcc
	v_mad_u64_u32 v[34:35], s[16:17], v112, s5, v[34:35]
	global_load_dword v193, v[36:37], off
	global_load_dword v194, v[40:41], off offset:96
	s_nop 0
	global_load_dword v49, v[49:50], off offset:96
	s_nop 0
	;; [unrolled: 2-line block ×5, first 2 shown]
	global_load_dword v48, v[45:46], off offset:104
	global_load_dword v52, v[38:39], off offset:104
	s_waitcnt vmcnt(31)
	ds_write_b32 v58, v53
	s_waitcnt vmcnt(30)
	ds_write_b32 v60, v176
	;; [unrolled: 2-line block ×13, first 2 shown]
	v_add_co_u32_e32 v34, vcc, v34, v107
	v_addc_co_u32_e32 v35, vcc, 0, v35, vcc
	s_waitcnt vmcnt(15)
	v_cvt_f32_f16_e32 v36, v172
	ds_write_b32 v84, v188
	ds_write_b32 v86, v170
	;; [unrolled: 1-line block ×4, first 2 shown]
	global_load_dword v170, v[34:35], off offset:96
	s_lshl_b32 s16, s7, 3
	v_add_u32_e32 v171, s16, v103
	v_add_u32_e32 v34, v171, v114
	v_mad_i64_i32 v[34:35], s[18:19], v34, 36, v[43:44]
	v_add_u32_e32 v38, v171, v116
	s_waitcnt vmcnt(15)
	v_not_b32_e32 v36, v173
	ds_write_b32 v143, v36
	s_waitcnt vmcnt(14)
	v_not_b32_e32 v36, v174
	ds_write_b32 v144, v36
	;; [unrolled: 3-line block ×6, first 2 shown]
	v_add_u32_e32 v36, v171, v115
	v_mad_i64_i32 v[36:37], s[18:19], v36, 36, v[43:44]
	v_mad_i64_i32 v[38:39], s[18:19], v38, 36, v[43:44]
	v_add_u32_e32 v40, v171, v117
	v_add_u32_e32 v45, v171, v118
	v_add_u32_e32 v173, s16, v42
	v_mad_i64_i32 v[40:41], s[18:19], v40, 36, v[43:44]
	v_mad_i64_i32 v[45:46], s[18:19], v45, 36, v[43:44]
	global_load_dword v172, v[34:35], off offset:4
	global_load_dword v174, v[36:37], off offset:4
	;; [unrolled: 1-line block ×4, first 2 shown]
	s_nop 0
	global_load_dword v45, v[45:46], off offset:4
	v_add_u32_e32 v34, v171, v119
	v_mad_u64_u32 v[38:39], s[18:19], v173, 36, s[2:3]
	v_mad_i64_i32 v[34:35], s[18:19], v34, 36, v[43:44]
	v_add_u32_e32 v36, v171, v120
	v_mad_i64_i32 v[36:37], s[18:19], v36, 36, v[43:44]
	v_add_u32_e32 v40, v171, v121
	v_mad_i64_i32 v[40:41], s[18:19], v40, 36, v[43:44]
	global_load_dword v38, v[38:39], off
	s_nop 0
	global_load_dword v34, v[34:35], off offset:4
	s_nop 0
	global_load_dword v35, v[36:37], off offset:4
	;; [unrolled: 2-line block ×3, first 2 shown]
	s_waitcnt vmcnt(18)
	v_not_b32_e32 v53, v192
	s_waitcnt vmcnt(17)
	v_not_b32_e32 v37, v193
	ds_write_b32 v149, v53
	ds_write_b32 v150, v37
	s_waitcnt vmcnt(16)
	v_ashrrev_i32_e32 v37, v106, v194
	s_waitcnt vmcnt(10)
	v_ashrrev_i32_e32 v39, v108, v52
	v_and_b32_e32 v37, 0xf0f0f0f, v37
	v_lshlrev_b32_e32 v39, 4, v39
	v_and_or_b32 v37, v39, s9, v37
	v_lshlrev_b16_e32 v40, 8, v37
	v_and_b32_e32 v39, 0x3f00, v37
	v_add_u16_e32 v40, 0xe000, v40
	v_or_b32_sdwa v39, v39, v40 dst_sel:DWORD dst_unused:UNUSED_PAD src0_sel:DWORD src1_sel:BYTE_1
	v_and_b32_sdwa v40, v37, s14 dst_sel:DWORD dst_unused:UNUSED_PAD src0_sel:WORD_1 src1_sel:DWORD
	v_lshlrev_b16_sdwa v37, v163, v37 dst_sel:DWORD dst_unused:UNUSED_PAD src0_sel:DWORD src1_sel:WORD_1
	v_add_u16_e32 v37, 0xe000, v37
	v_or_b32_sdwa v37, v40, v37 dst_sel:DWORD dst_unused:UNUSED_PAD src0_sel:DWORD src1_sel:BYTE_1
	v_add_u16_e32 v39, 0xe000, v39
	v_add_u16_sdwa v37, v37, s15 dst_sel:WORD_1 dst_unused:UNUSED_PAD src0_sel:DWORD src1_sel:DWORD
	v_or_b32_e32 v37, v39, v37
	ds_write_b32 v151, v37
	v_ashrrev_i32_e32 v37, v106, v49
	v_ashrrev_i32_e32 v39, v108, v48
	v_and_b32_e32 v37, 0xf0f0f0f, v37
	v_lshlrev_b32_e32 v39, 4, v39
	v_and_or_b32 v37, v39, s9, v37
	v_lshlrev_b16_e32 v40, 8, v37
	v_and_b32_e32 v39, 0x3f00, v37
	v_add_u16_e32 v40, 0xe000, v40
	v_or_b32_sdwa v39, v39, v40 dst_sel:DWORD dst_unused:UNUSED_PAD src0_sel:DWORD src1_sel:BYTE_1
	v_and_b32_sdwa v40, v37, s14 dst_sel:DWORD dst_unused:UNUSED_PAD src0_sel:WORD_1 src1_sel:DWORD
	v_lshlrev_b16_sdwa v37, v163, v37 dst_sel:DWORD dst_unused:UNUSED_PAD src0_sel:DWORD src1_sel:WORD_1
	v_add_u16_e32 v37, 0xe000, v37
	v_or_b32_sdwa v37, v40, v37 dst_sel:DWORD dst_unused:UNUSED_PAD src0_sel:DWORD src1_sel:BYTE_1
	v_add_u16_e32 v39, 0xe000, v39
	v_add_u16_sdwa v37, v37, s15 dst_sel:WORD_1 dst_unused:UNUSED_PAD src0_sel:DWORD src1_sel:DWORD
	v_or_b32_e32 v37, v39, v37
	ds_write_b32 v152, v37
	v_ashrrev_i32_e32 v37, v106, v50
	v_ashrrev_i32_e32 v39, v108, v47
	v_and_b32_e32 v37, 0xf0f0f0f, v37
	v_lshlrev_b32_e32 v39, 4, v39
	v_and_or_b32 v37, v39, s9, v37
	v_lshlrev_b16_e32 v40, 8, v37
	v_and_b32_e32 v39, 0x3f00, v37
	v_add_u16_e32 v40, 0xe000, v40
	v_or_b32_sdwa v39, v39, v40 dst_sel:DWORD dst_unused:UNUSED_PAD src0_sel:DWORD src1_sel:BYTE_1
	v_and_b32_sdwa v40, v37, s14 dst_sel:DWORD dst_unused:UNUSED_PAD src0_sel:WORD_1 src1_sel:DWORD
	v_lshlrev_b16_sdwa v37, v163, v37 dst_sel:DWORD dst_unused:UNUSED_PAD src0_sel:DWORD src1_sel:WORD_1
	v_add_u16_e32 v37, 0xe000, v37
	v_or_b32_sdwa v37, v40, v37 dst_sel:DWORD dst_unused:UNUSED_PAD src0_sel:DWORD src1_sel:BYTE_1
	v_add_u16_e32 v39, 0xe000, v39
	v_add_u16_sdwa v37, v37, s15 dst_sel:WORD_1 dst_unused:UNUSED_PAD src0_sel:DWORD src1_sel:DWORD
	v_or_b32_e32 v37, v39, v37
	ds_write_b32 v153, v37
	s_waitcnt vmcnt(9)
	v_ashrrev_i32_e32 v37, v106, v170
	v_ashrrev_i32_e32 v39, v108, v51
	v_and_b32_e32 v37, 0xf0f0f0f, v37
	v_lshlrev_b32_e32 v39, 4, v39
	v_and_or_b32 v37, v39, s9, v37
	v_lshlrev_b16_e32 v40, 8, v37
	v_and_b32_e32 v39, 0x3f00, v37
	v_add_u16_e32 v40, 0xe000, v40
	v_or_b32_sdwa v39, v39, v40 dst_sel:DWORD dst_unused:UNUSED_PAD src0_sel:DWORD src1_sel:BYTE_1
	v_and_b32_sdwa v40, v37, s14 dst_sel:DWORD dst_unused:UNUSED_PAD src0_sel:WORD_1 src1_sel:DWORD
	v_lshlrev_b16_sdwa v37, v163, v37 dst_sel:DWORD dst_unused:UNUSED_PAD src0_sel:DWORD src1_sel:WORD_1
	v_add_u16_e32 v37, 0xe000, v37
	v_or_b32_sdwa v37, v40, v37 dst_sel:DWORD dst_unused:UNUSED_PAD src0_sel:DWORD src1_sel:BYTE_1
	v_add_u16_e32 v39, 0xe000, v39
	v_add_u16_sdwa v37, v37, s15 dst_sel:WORD_1 dst_unused:UNUSED_PAD src0_sel:DWORD src1_sel:DWORD
	v_or_b32_e32 v37, v39, v37
	ds_write_b32 v154, v37
	s_waitcnt vmcnt(8)
	ds_write_b32 v155, v172
	s_waitcnt vmcnt(7)
	;; [unrolled: 2-line block ×5, first 2 shown]
	ds_write_b32 v159, v45
	v_mov_b32_e32 v174, v142
	v_mov_b32_e32 v175, v141
	s_mov_b32 s17, 0
	s_mov_b32 s18, 0
	s_waitcnt vmcnt(3)
	v_cvt_f32_f16_e32 v37, v38
	s_waitcnt vmcnt(2)
	ds_write_b32 v160, v34
	s_waitcnt vmcnt(1)
	ds_write_b32 v161, v35
	;; [unrolled: 2-line block ×3, first 2 shown]
	ds_write_b32 v113, v37
	s_waitcnt lgkmcnt(0)
	s_barrier
.LBB129_7:                              ;   Parent Loop BB129_6 Depth=1
                                        ; =>  This Inner Loop Header: Depth=2
	s_add_i32 s19, s20, 2
	s_lshr_b32 s23, s19, 4
	s_and_b32 s21, s19, 0x3ffffff8
	v_lshl_add_u32 v191, s21, 2, v122
	s_lshl_b32 s21, s23, 5
	s_addk_i32 s21, 0x4200
	v_lshlrev_b32_e32 v170, 2, v90
	v_add3_u32 v176, s21, v170, v123
	ds_read2_b32 v[45:46], v175 offset1:32
	ds_read_b128 v[38:41], v174
	ds_read_b128 v[34:37], v174 offset:16
	ds_read2_b32 v[49:50], v176 offset1:1
	ds_read2_b32 v[47:48], v191 offset1:1
	v_add3_u32 v187, s21, v164, v124
	ds_read2_b32 v[179:180], v187 offset1:1
	s_and_b32 s22, s18, -16
	s_waitcnt lgkmcnt(2)
	v_ashrrev_i32_e32 v49, s17, v49
	s_waitcnt lgkmcnt(1)
	v_ashrrev_i32_e32 v47, s19, v47
	v_lshlrev_b32_e32 v49, 2, v49
	v_and_b32_e32 v51, 0x3030303, v47
	v_bfe_u32 v47, v47, 24, 2
	v_and_b32_e32 v49, 0x4040404, v49
	v_sub_u16_e32 v52, v51, v49
	v_sub_u16_sdwa v53, v51, v49 dst_sel:BYTE_1 dst_unused:UNUSED_PAD src0_sel:BYTE_1 src1_sel:BYTE_1
	v_sub_u16_sdwa v47, v47, v49 dst_sel:BYTE_1 dst_unused:UNUSED_PAD src0_sel:DWORD src1_sel:BYTE_3
	v_sub_u16_sdwa v49, v51, v49 dst_sel:DWORD dst_unused:UNUSED_PAD src0_sel:WORD_1 src1_sel:WORD_1
	v_or_b32_sdwa v52, v52, v53 dst_sel:DWORD dst_unused:UNUSED_PAD src0_sel:BYTE_0 src1_sel:DWORD
	v_or_b32_sdwa v47, v49, v47 dst_sel:WORD_1 dst_unused:UNUSED_PAD src0_sel:BYTE_0 src1_sel:DWORD
	v_ashrrev_i32_e32 v50, s17, v50
	v_or_b32_sdwa v49, v52, v47 dst_sel:DWORD dst_unused:UNUSED_PAD src0_sel:WORD_0 src1_sel:DWORD
	v_ashrrev_i32_e32 v47, s19, v48
	v_lshlrev_b32_e32 v50, 2, v50
	v_and_b32_e32 v48, 0x3030303, v47
	v_bfe_u32 v47, v47, 24, 2
	v_and_b32_e32 v50, 0x4040404, v50
	v_sub_u16_e32 v51, v48, v50
	v_sub_u16_sdwa v52, v48, v50 dst_sel:BYTE_1 dst_unused:UNUSED_PAD src0_sel:BYTE_1 src1_sel:BYTE_1
	v_sub_u16_sdwa v47, v47, v50 dst_sel:BYTE_1 dst_unused:UNUSED_PAD src0_sel:DWORD src1_sel:BYTE_3
	v_sub_u16_sdwa v48, v48, v50 dst_sel:DWORD dst_unused:UNUSED_PAD src0_sel:WORD_1 src1_sel:WORD_1
	v_or_b32_sdwa v51, v51, v52 dst_sel:DWORD dst_unused:UNUSED_PAD src0_sel:BYTE_0 src1_sel:DWORD
	v_or_b32_sdwa v47, v48, v47 dst_sel:WORD_1 dst_unused:UNUSED_PAD src0_sel:BYTE_0 src1_sel:DWORD
	v_or_b32_sdwa v50, v51, v47 dst_sel:DWORD dst_unused:UNUSED_PAD src0_sel:WORD_0 src1_sel:DWORD
	ds_read2_b32 v[47:48], v191 offset0:2 offset1:3
	ds_read2_b32 v[51:52], v176 offset0:2 offset1:3
	s_add_i32 s20, s20, s22
	s_lshl_b32 s22, s23, 2
	s_add_i32 s22, s22, 0x9380
	s_waitcnt lgkmcnt(1)
	v_ashrrev_i32_e32 v47, s19, v47
	s_waitcnt lgkmcnt(0)
	v_ashrrev_i32_e32 v51, s17, v51
	v_lshlrev_b32_e32 v51, 2, v51
	v_and_b32_e32 v53, 0x3030303, v47
	v_bfe_u32 v47, v47, 24, 2
	v_and_b32_e32 v51, 0x4040404, v51
	v_sub_u16_e32 v171, v53, v51
	v_sub_u16_sdwa v172, v53, v51 dst_sel:BYTE_1 dst_unused:UNUSED_PAD src0_sel:BYTE_1 src1_sel:BYTE_1
	v_sub_u16_sdwa v47, v47, v51 dst_sel:BYTE_1 dst_unused:UNUSED_PAD src0_sel:DWORD src1_sel:BYTE_3
	v_sub_u16_sdwa v51, v53, v51 dst_sel:DWORD dst_unused:UNUSED_PAD src0_sel:WORD_1 src1_sel:WORD_1
	v_or_b32_sdwa v171, v171, v172 dst_sel:DWORD dst_unused:UNUSED_PAD src0_sel:BYTE_0 src1_sel:DWORD
	v_or_b32_sdwa v47, v51, v47 dst_sel:WORD_1 dst_unused:UNUSED_PAD src0_sel:BYTE_0 src1_sel:DWORD
	v_ashrrev_i32_e32 v52, s17, v52
	v_or_b32_sdwa v51, v171, v47 dst_sel:DWORD dst_unused:UNUSED_PAD src0_sel:WORD_0 src1_sel:DWORD
	v_ashrrev_i32_e32 v47, s19, v48
	v_lshlrev_b32_e32 v52, 2, v52
	v_and_b32_e32 v48, 0x3030303, v47
	v_bfe_u32 v47, v47, 24, 2
	v_and_b32_e32 v52, 0x4040404, v52
	v_sub_u16_e32 v53, v48, v52
	v_sub_u16_sdwa v171, v48, v52 dst_sel:BYTE_1 dst_unused:UNUSED_PAD src0_sel:BYTE_1 src1_sel:BYTE_1
	v_sub_u16_sdwa v47, v47, v52 dst_sel:BYTE_1 dst_unused:UNUSED_PAD src0_sel:DWORD src1_sel:BYTE_3
	v_sub_u16_sdwa v48, v48, v52 dst_sel:DWORD dst_unused:UNUSED_PAD src0_sel:WORD_1 src1_sel:WORD_1
	v_or_b32_sdwa v53, v53, v171 dst_sel:DWORD dst_unused:UNUSED_PAD src0_sel:BYTE_0 src1_sel:DWORD
	v_or_b32_sdwa v47, v48, v47 dst_sel:WORD_1 dst_unused:UNUSED_PAD src0_sel:BYTE_0 src1_sel:DWORD
	v_or_b32_sdwa v52, v53, v47 dst_sel:DWORD dst_unused:UNUSED_PAD src0_sel:WORD_0 src1_sel:DWORD
	ds_read2_b32 v[47:48], v191 offset0:4 offset1:5
	ds_read2_b32 v[171:172], v176 offset0:4 offset1:5
	v_ashrrev_i32_e32 v179, s17, v179
	v_add3_u32 v200, s21, v166, v126
	v_lshlrev_b32_e32 v179, 2, v179
	s_waitcnt lgkmcnt(1)
	v_ashrrev_i32_e32 v47, s19, v47
	s_waitcnt lgkmcnt(0)
	v_ashrrev_i32_e32 v171, s17, v171
	v_lshlrev_b32_e32 v171, 2, v171
	v_and_b32_e32 v53, 0x3030303, v47
	v_bfe_u32 v47, v47, 24, 2
	v_and_b32_e32 v171, 0x4040404, v171
	v_sub_u16_e32 v177, v53, v171
	v_sub_u16_sdwa v178, v53, v171 dst_sel:BYTE_1 dst_unused:UNUSED_PAD src0_sel:BYTE_1 src1_sel:BYTE_1
	v_sub_u16_sdwa v47, v47, v171 dst_sel:BYTE_1 dst_unused:UNUSED_PAD src0_sel:DWORD src1_sel:BYTE_3
	v_sub_u16_sdwa v53, v53, v171 dst_sel:DWORD dst_unused:UNUSED_PAD src0_sel:WORD_1 src1_sel:WORD_1
	v_or_b32_sdwa v177, v177, v178 dst_sel:DWORD dst_unused:UNUSED_PAD src0_sel:BYTE_0 src1_sel:DWORD
	v_or_b32_sdwa v47, v53, v47 dst_sel:WORD_1 dst_unused:UNUSED_PAD src0_sel:BYTE_0 src1_sel:DWORD
	v_ashrrev_i32_e32 v171, s17, v172
	v_or_b32_sdwa v53, v177, v47 dst_sel:DWORD dst_unused:UNUSED_PAD src0_sel:WORD_0 src1_sel:DWORD
	v_ashrrev_i32_e32 v47, s19, v48
	v_lshlrev_b32_e32 v171, 2, v171
	v_and_b32_e32 v48, 0x3030303, v47
	v_bfe_u32 v47, v47, 24, 2
	v_and_b32_e32 v171, 0x4040404, v171
	v_sub_u16_e32 v172, v48, v171
	v_sub_u16_sdwa v177, v48, v171 dst_sel:BYTE_1 dst_unused:UNUSED_PAD src0_sel:BYTE_1 src1_sel:BYTE_1
	v_sub_u16_sdwa v47, v47, v171 dst_sel:BYTE_1 dst_unused:UNUSED_PAD src0_sel:DWORD src1_sel:BYTE_3
	v_sub_u16_sdwa v48, v48, v171 dst_sel:DWORD dst_unused:UNUSED_PAD src0_sel:WORD_1 src1_sel:WORD_1
	v_or_b32_sdwa v172, v172, v177 dst_sel:DWORD dst_unused:UNUSED_PAD src0_sel:BYTE_0 src1_sel:DWORD
	v_or_b32_sdwa v47, v48, v47 dst_sel:WORD_1 dst_unused:UNUSED_PAD src0_sel:BYTE_0 src1_sel:DWORD
	v_or_b32_sdwa v204, v172, v47 dst_sel:DWORD dst_unused:UNUSED_PAD src0_sel:WORD_0 src1_sel:DWORD
	ds_read2_b32 v[47:48], v191 offset0:6 offset1:7
	ds_read2_b32 v[171:172], v176 offset0:6 offset1:7
	ds_read2_b32 v[196:197], v200 offset0:4 offset1:5
	v_and_b32_e32 v179, 0x4040404, v179
	v_ashrrev_i32_e32 v180, s17, v180
	s_waitcnt lgkmcnt(2)
	v_ashrrev_i32_e32 v47, s19, v47
	s_waitcnt lgkmcnt(1)
	v_ashrrev_i32_e32 v171, s17, v171
	v_lshlrev_b32_e32 v171, 2, v171
	v_and_b32_e32 v177, 0x3030303, v47
	v_bfe_u32 v47, v47, 24, 2
	v_and_b32_e32 v171, 0x4040404, v171
	v_sub_u16_e32 v176, v177, v171
	v_sub_u16_sdwa v178, v177, v171 dst_sel:BYTE_1 dst_unused:UNUSED_PAD src0_sel:BYTE_1 src1_sel:BYTE_1
	v_sub_u16_sdwa v47, v47, v171 dst_sel:BYTE_1 dst_unused:UNUSED_PAD src0_sel:DWORD src1_sel:BYTE_3
	v_sub_u16_sdwa v171, v177, v171 dst_sel:DWORD dst_unused:UNUSED_PAD src0_sel:WORD_1 src1_sel:WORD_1
	v_or_b32_sdwa v176, v176, v178 dst_sel:DWORD dst_unused:UNUSED_PAD src0_sel:BYTE_0 src1_sel:DWORD
	v_or_b32_sdwa v47, v171, v47 dst_sel:WORD_1 dst_unused:UNUSED_PAD src0_sel:BYTE_0 src1_sel:DWORD
	v_ashrrev_i32_e32 v171, s17, v172
	v_or_b32_sdwa v205, v176, v47 dst_sel:DWORD dst_unused:UNUSED_PAD src0_sel:WORD_0 src1_sel:DWORD
	v_ashrrev_i32_e32 v47, s19, v48
	v_lshlrev_b32_e32 v171, 2, v171
	v_and_b32_e32 v48, 0x3030303, v47
	v_bfe_u32 v47, v47, 24, 2
	v_and_b32_e32 v171, 0x4040404, v171
	v_sub_u16_e32 v172, v48, v171
	v_sub_u16_sdwa v176, v48, v171 dst_sel:BYTE_1 dst_unused:UNUSED_PAD src0_sel:BYTE_1 src1_sel:BYTE_1
	v_sub_u16_sdwa v47, v47, v171 dst_sel:BYTE_1 dst_unused:UNUSED_PAD src0_sel:DWORD src1_sel:BYTE_3
	v_sub_u16_sdwa v48, v48, v171 dst_sel:DWORD dst_unused:UNUSED_PAD src0_sel:WORD_1 src1_sel:WORD_1
	v_dot4_i32_i8 v177, v53, v34, 0
	v_or_b32_sdwa v172, v172, v176 dst_sel:DWORD dst_unused:UNUSED_PAD src0_sel:BYTE_0 src1_sel:DWORD
	v_or_b32_sdwa v47, v48, v47 dst_sel:WORD_1 dst_unused:UNUSED_PAD src0_sel:BYTE_0 src1_sel:DWORD
	v_dot4_i32_i8 v177, v204, v35, v177
	v_or_b32_sdwa v206, v172, v47 dst_sel:DWORD dst_unused:UNUSED_PAD src0_sel:WORD_0 src1_sel:DWORD
	v_lshlrev_b32_e32 v171, 2, v55
	v_lshlrev_b32_e32 v172, 2, v105
	v_dot4_i32_i8 v177, v205, v36, v177
	v_add3_u32 v48, s22, v171, v172
	v_dot4_i32_i8 v207, v206, v37, v177
	v_add_u32_e32 v177, 0x1080, v191
	ds_read_b32 v176, v48
	ds_read2_b32 v[177:178], v177 offset1:1
	v_lshlrev_b32_e32 v180, 2, v180
	v_and_b32_e32 v180, 0x4040404, v180
	v_add3_u32 v216, s21, v168, v128
	v_dot4_i32_i8 v48, v49, v38, 0
	s_waitcnt lgkmcnt(0)
	v_ashrrev_i32_e32 v177, s19, v177
	v_and_b32_e32 v181, 0x3030303, v177
	v_bfe_u32 v177, v177, 24, 2
	v_sub_u16_e32 v182, v181, v179
	v_sub_u16_sdwa v183, v181, v179 dst_sel:BYTE_1 dst_unused:UNUSED_PAD src0_sel:BYTE_1 src1_sel:BYTE_1
	v_sub_u16_sdwa v177, v177, v179 dst_sel:BYTE_1 dst_unused:UNUSED_PAD src0_sel:DWORD src1_sel:BYTE_3
	v_sub_u16_sdwa v179, v181, v179 dst_sel:DWORD dst_unused:UNUSED_PAD src0_sel:WORD_1 src1_sel:WORD_1
	v_ashrrev_i32_e32 v178, s19, v178
	v_or_b32_sdwa v182, v182, v183 dst_sel:DWORD dst_unused:UNUSED_PAD src0_sel:BYTE_0 src1_sel:DWORD
	v_or_b32_sdwa v177, v179, v177 dst_sel:WORD_1 dst_unused:UNUSED_PAD src0_sel:BYTE_0 src1_sel:DWORD
	v_and_b32_e32 v179, 0x3030303, v178
	v_bfe_u32 v178, v178, 24, 2
	v_or_b32_sdwa v177, v182, v177 dst_sel:DWORD dst_unused:UNUSED_PAD src0_sel:WORD_0 src1_sel:DWORD
	v_sub_u16_e32 v181, v179, v180
	v_sub_u16_sdwa v182, v179, v180 dst_sel:BYTE_1 dst_unused:UNUSED_PAD src0_sel:BYTE_1 src1_sel:BYTE_1
	v_sub_u16_sdwa v178, v178, v180 dst_sel:BYTE_1 dst_unused:UNUSED_PAD src0_sel:DWORD src1_sel:BYTE_3
	v_sub_u16_sdwa v179, v179, v180 dst_sel:DWORD dst_unused:UNUSED_PAD src0_sel:WORD_1 src1_sel:WORD_1
	v_or_b32_sdwa v181, v181, v182 dst_sel:DWORD dst_unused:UNUSED_PAD src0_sel:BYTE_0 src1_sel:DWORD
	v_or_b32_sdwa v178, v179, v178 dst_sel:WORD_1 dst_unused:UNUSED_PAD src0_sel:BYTE_0 src1_sel:DWORD
	v_add_u32_e32 v179, 0x1088, v191
	v_or_b32_sdwa v178, v181, v178 dst_sel:DWORD dst_unused:UNUSED_PAD src0_sel:WORD_0 src1_sel:DWORD
	ds_read2_b32 v[180:181], v179 offset1:1
	ds_read2_b32 v[182:183], v187 offset0:2 offset1:3
	ds_read2_b32 v[211:212], v216 offset1:1
	v_dot4_i32_i8 v48, v50, v39, v48
	v_dot4_i32_i8 v48, v51, v40, v48
	s_waitcnt lgkmcnt(2)
	v_ashrrev_i32_e32 v179, s19, v180
	s_waitcnt lgkmcnt(1)
	v_ashrrev_i32_e32 v182, s17, v182
	v_lshlrev_b32_e32 v182, 2, v182
	v_and_b32_e32 v180, 0x3030303, v179
	v_bfe_u32 v179, v179, 24, 2
	v_and_b32_e32 v182, 0x4040404, v182
	v_sub_u16_e32 v184, v180, v182
	v_sub_u16_sdwa v185, v180, v182 dst_sel:BYTE_1 dst_unused:UNUSED_PAD src0_sel:BYTE_1 src1_sel:BYTE_1
	v_sub_u16_sdwa v179, v179, v182 dst_sel:BYTE_1 dst_unused:UNUSED_PAD src0_sel:DWORD src1_sel:BYTE_3
	v_sub_u16_sdwa v180, v180, v182 dst_sel:DWORD dst_unused:UNUSED_PAD src0_sel:WORD_1 src1_sel:WORD_1
	v_or_b32_sdwa v184, v184, v185 dst_sel:DWORD dst_unused:UNUSED_PAD src0_sel:BYTE_0 src1_sel:DWORD
	v_or_b32_sdwa v179, v180, v179 dst_sel:WORD_1 dst_unused:UNUSED_PAD src0_sel:BYTE_0 src1_sel:DWORD
	v_ashrrev_i32_e32 v182, s17, v183
	v_or_b32_sdwa v180, v184, v179 dst_sel:DWORD dst_unused:UNUSED_PAD src0_sel:WORD_0 src1_sel:DWORD
	v_ashrrev_i32_e32 v179, s19, v181
	v_lshlrev_b32_e32 v182, 2, v182
	v_and_b32_e32 v181, 0x3030303, v179
	v_bfe_u32 v179, v179, 24, 2
	v_and_b32_e32 v182, 0x4040404, v182
	v_sub_u16_e32 v183, v181, v182
	v_sub_u16_sdwa v184, v181, v182 dst_sel:BYTE_1 dst_unused:UNUSED_PAD src0_sel:BYTE_1 src1_sel:BYTE_1
	v_sub_u16_sdwa v179, v179, v182 dst_sel:BYTE_1 dst_unused:UNUSED_PAD src0_sel:DWORD src1_sel:BYTE_3
	v_sub_u16_sdwa v181, v181, v182 dst_sel:DWORD dst_unused:UNUSED_PAD src0_sel:WORD_1 src1_sel:WORD_1
	v_or_b32_sdwa v183, v183, v184 dst_sel:DWORD dst_unused:UNUSED_PAD src0_sel:BYTE_0 src1_sel:DWORD
	v_or_b32_sdwa v179, v181, v179 dst_sel:WORD_1 dst_unused:UNUSED_PAD src0_sel:BYTE_0 src1_sel:DWORD
	v_or_b32_sdwa v182, v183, v179 dst_sel:DWORD dst_unused:UNUSED_PAD src0_sel:WORD_0 src1_sel:DWORD
	v_add_u32_e32 v179, 0x1090, v191
	ds_read2_b32 v[183:184], v179 offset1:1
	ds_read2_b32 v[185:186], v187 offset0:4 offset1:5
	v_dot4_i32_i8 v48, v52, v41, v48
	v_add_u32_e32 v47, s20, v134
	v_add_u32_e32 v209, s20, v136
	s_waitcnt lgkmcnt(1)
	v_ashrrev_i32_e32 v179, s19, v183
	s_waitcnt lgkmcnt(0)
	v_ashrrev_i32_e32 v183, s17, v185
	v_lshlrev_b32_e32 v183, 2, v183
	v_and_b32_e32 v181, 0x3030303, v179
	v_bfe_u32 v179, v179, 24, 2
	v_and_b32_e32 v183, 0x4040404, v183
	v_sub_u16_e32 v185, v181, v183
	v_sub_u16_sdwa v188, v181, v183 dst_sel:BYTE_1 dst_unused:UNUSED_PAD src0_sel:BYTE_1 src1_sel:BYTE_1
	v_sub_u16_sdwa v179, v179, v183 dst_sel:BYTE_1 dst_unused:UNUSED_PAD src0_sel:DWORD src1_sel:BYTE_3
	v_sub_u16_sdwa v181, v181, v183 dst_sel:DWORD dst_unused:UNUSED_PAD src0_sel:WORD_1 src1_sel:WORD_1
	v_or_b32_sdwa v185, v185, v188 dst_sel:DWORD dst_unused:UNUSED_PAD src0_sel:BYTE_0 src1_sel:DWORD
	v_or_b32_sdwa v179, v181, v179 dst_sel:WORD_1 dst_unused:UNUSED_PAD src0_sel:BYTE_0 src1_sel:DWORD
	v_ashrrev_i32_e32 v183, s17, v186
	v_or_b32_sdwa v185, v185, v179 dst_sel:DWORD dst_unused:UNUSED_PAD src0_sel:WORD_0 src1_sel:DWORD
	v_ashrrev_i32_e32 v179, s19, v184
	v_lshlrev_b32_e32 v183, 2, v183
	v_and_b32_e32 v181, 0x3030303, v179
	v_bfe_u32 v179, v179, 24, 2
	v_and_b32_e32 v183, 0x4040404, v183
	v_sub_u16_e32 v184, v181, v183
	v_sub_u16_sdwa v186, v181, v183 dst_sel:BYTE_1 dst_unused:UNUSED_PAD src0_sel:BYTE_1 src1_sel:BYTE_1
	v_sub_u16_sdwa v179, v179, v183 dst_sel:BYTE_1 dst_unused:UNUSED_PAD src0_sel:DWORD src1_sel:BYTE_3
	v_sub_u16_sdwa v181, v181, v183 dst_sel:DWORD dst_unused:UNUSED_PAD src0_sel:WORD_1 src1_sel:WORD_1
	v_or_b32_sdwa v184, v184, v186 dst_sel:DWORD dst_unused:UNUSED_PAD src0_sel:BYTE_0 src1_sel:DWORD
	v_or_b32_sdwa v179, v181, v179 dst_sel:WORD_1 dst_unused:UNUSED_PAD src0_sel:BYTE_0 src1_sel:DWORD
	v_or_b32_sdwa v188, v184, v179 dst_sel:DWORD dst_unused:UNUSED_PAD src0_sel:WORD_0 src1_sel:DWORD
	v_add_u32_e32 v179, 0x1098, v191
	ds_read2_b32 v[183:184], v179 offset1:1
	ds_read2_b32 v[186:187], v187 offset0:6 offset1:7
	v_add_u32_e32 v214, s20, v138
	s_add_i32 s18, s18, 2
	s_waitcnt lgkmcnt(1)
	v_ashrrev_i32_e32 v179, s19, v183
	s_waitcnt lgkmcnt(0)
	v_ashrrev_i32_e32 v183, s17, v186
	v_lshlrev_b32_e32 v183, 2, v183
	v_and_b32_e32 v181, 0x3030303, v179
	v_bfe_u32 v179, v179, 24, 2
	v_and_b32_e32 v183, 0x4040404, v183
	v_sub_u16_e32 v186, v181, v183
	v_sub_u16_sdwa v189, v181, v183 dst_sel:BYTE_1 dst_unused:UNUSED_PAD src0_sel:BYTE_1 src1_sel:BYTE_1
	v_sub_u16_sdwa v179, v179, v183 dst_sel:BYTE_1 dst_unused:UNUSED_PAD src0_sel:DWORD src1_sel:BYTE_3
	v_sub_u16_sdwa v181, v181, v183 dst_sel:DWORD dst_unused:UNUSED_PAD src0_sel:WORD_1 src1_sel:WORD_1
	v_or_b32_sdwa v186, v186, v189 dst_sel:DWORD dst_unused:UNUSED_PAD src0_sel:BYTE_0 src1_sel:DWORD
	v_or_b32_sdwa v179, v181, v179 dst_sel:WORD_1 dst_unused:UNUSED_PAD src0_sel:BYTE_0 src1_sel:DWORD
	v_ashrrev_i32_e32 v183, s17, v187
	v_or_b32_sdwa v192, v186, v179 dst_sel:DWORD dst_unused:UNUSED_PAD src0_sel:WORD_0 src1_sel:DWORD
	v_ashrrev_i32_e32 v179, s19, v184
	v_lshlrev_b32_e32 v183, 2, v183
	v_and_b32_e32 v181, 0x3030303, v179
	v_bfe_u32 v179, v179, 24, 2
	v_and_b32_e32 v183, 0x4040404, v183
	v_sub_u16_e32 v184, v181, v183
	v_sub_u16_sdwa v186, v181, v183 dst_sel:BYTE_1 dst_unused:UNUSED_PAD src0_sel:BYTE_1 src1_sel:BYTE_1
	v_sub_u16_sdwa v179, v179, v183 dst_sel:BYTE_1 dst_unused:UNUSED_PAD src0_sel:DWORD src1_sel:BYTE_3
	v_sub_u16_sdwa v181, v181, v183 dst_sel:DWORD dst_unused:UNUSED_PAD src0_sel:WORD_1 src1_sel:WORD_1
	v_or_b32_sdwa v179, v181, v179 dst_sel:WORD_1 dst_unused:UNUSED_PAD src0_sel:BYTE_0 src1_sel:DWORD
	v_dot4_i32_i8 v181, v177, v38, 0
	v_dot4_i32_i8 v181, v178, v39, v181
	;; [unrolled: 1-line block ×5, first 2 shown]
	v_or_b32_sdwa v184, v184, v186 dst_sel:DWORD dst_unused:UNUSED_PAD src0_sel:BYTE_0 src1_sel:DWORD
	v_dot4_i32_i8 v181, v188, v35, v181
	v_or_b32_sdwa v195, v184, v179 dst_sel:DWORD dst_unused:UNUSED_PAD src0_sel:WORD_0 src1_sel:DWORD
	v_dot4_i32_i8 v181, v192, v36, v181
	v_add3_u32 v179, s22, v165, v125
	v_dot4_i32_i8 v210, v195, v37, v181
	v_add_u32_e32 v181, 0x2100, v191
	ds_read_b32 v179, v179
	ds_read2_b32 v[183:184], v181 offset1:1
	ds_read2_b32 v[186:187], v200 offset1:1
	s_waitcnt lgkmcnt(1)
	v_ashrrev_i32_e32 v181, s19, v183
	s_waitcnt lgkmcnt(0)
	v_ashrrev_i32_e32 v186, s17, v186
	v_lshlrev_b32_e32 v186, 2, v186
	v_and_b32_e32 v183, 0x3030303, v181
	v_bfe_u32 v181, v181, 24, 2
	v_and_b32_e32 v186, 0x4040404, v186
	v_sub_u16_e32 v189, v183, v186
	v_sub_u16_sdwa v190, v183, v186 dst_sel:BYTE_1 dst_unused:UNUSED_PAD src0_sel:BYTE_1 src1_sel:BYTE_1
	v_sub_u16_sdwa v181, v181, v186 dst_sel:BYTE_1 dst_unused:UNUSED_PAD src0_sel:DWORD src1_sel:BYTE_3
	v_sub_u16_sdwa v183, v183, v186 dst_sel:DWORD dst_unused:UNUSED_PAD src0_sel:WORD_1 src1_sel:WORD_1
	v_ashrrev_i32_e32 v186, s17, v187
	v_or_b32_sdwa v181, v183, v181 dst_sel:WORD_1 dst_unused:UNUSED_PAD src0_sel:BYTE_0 src1_sel:DWORD
	v_ashrrev_i32_e32 v183, s19, v184
	v_lshlrev_b32_e32 v186, 2, v186
	v_or_b32_sdwa v189, v189, v190 dst_sel:DWORD dst_unused:UNUSED_PAD src0_sel:BYTE_0 src1_sel:DWORD
	v_and_b32_e32 v184, 0x3030303, v183
	v_bfe_u32 v183, v183, 24, 2
	v_and_b32_e32 v186, 0x4040404, v186
	v_or_b32_sdwa v181, v189, v181 dst_sel:DWORD dst_unused:UNUSED_PAD src0_sel:WORD_0 src1_sel:DWORD
	v_sub_u16_e32 v187, v184, v186
	v_sub_u16_sdwa v189, v184, v186 dst_sel:BYTE_1 dst_unused:UNUSED_PAD src0_sel:BYTE_1 src1_sel:BYTE_1
	v_sub_u16_sdwa v183, v183, v186 dst_sel:BYTE_1 dst_unused:UNUSED_PAD src0_sel:DWORD src1_sel:BYTE_3
	v_sub_u16_sdwa v184, v184, v186 dst_sel:DWORD dst_unused:UNUSED_PAD src0_sel:WORD_1 src1_sel:WORD_1
	v_or_b32_sdwa v187, v187, v189 dst_sel:DWORD dst_unused:UNUSED_PAD src0_sel:BYTE_0 src1_sel:DWORD
	v_or_b32_sdwa v183, v184, v183 dst_sel:WORD_1 dst_unused:UNUSED_PAD src0_sel:BYTE_0 src1_sel:DWORD
	v_add_u32_e32 v184, 0x2108, v191
	v_or_b32_sdwa v183, v187, v183 dst_sel:DWORD dst_unused:UNUSED_PAD src0_sel:WORD_0 src1_sel:DWORD
	ds_read2_b32 v[186:187], v184 offset1:1
	ds_read2_b32 v[189:190], v200 offset0:2 offset1:3
	ds_read2_b32 v[200:201], v200 offset0:6 offset1:7
	s_waitcnt lgkmcnt(2)
	v_ashrrev_i32_e32 v184, s19, v186
	s_waitcnt lgkmcnt(1)
	v_ashrrev_i32_e32 v189, s17, v189
	v_lshlrev_b32_e32 v189, 2, v189
	v_and_b32_e32 v186, 0x3030303, v184
	v_bfe_u32 v184, v184, 24, 2
	v_and_b32_e32 v189, 0x4040404, v189
	v_sub_u16_e32 v193, v186, v189
	v_sub_u16_sdwa v194, v186, v189 dst_sel:BYTE_1 dst_unused:UNUSED_PAD src0_sel:BYTE_1 src1_sel:BYTE_1
	v_sub_u16_sdwa v184, v184, v189 dst_sel:BYTE_1 dst_unused:UNUSED_PAD src0_sel:DWORD src1_sel:BYTE_3
	v_sub_u16_sdwa v186, v186, v189 dst_sel:DWORD dst_unused:UNUSED_PAD src0_sel:WORD_1 src1_sel:WORD_1
	v_or_b32_sdwa v193, v193, v194 dst_sel:DWORD dst_unused:UNUSED_PAD src0_sel:BYTE_0 src1_sel:DWORD
	v_or_b32_sdwa v184, v186, v184 dst_sel:WORD_1 dst_unused:UNUSED_PAD src0_sel:BYTE_0 src1_sel:DWORD
	v_ashrrev_i32_e32 v189, s17, v190
	v_or_b32_sdwa v186, v193, v184 dst_sel:DWORD dst_unused:UNUSED_PAD src0_sel:WORD_0 src1_sel:DWORD
	v_ashrrev_i32_e32 v184, s19, v187
	v_lshlrev_b32_e32 v189, 2, v189
	v_and_b32_e32 v187, 0x3030303, v184
	v_bfe_u32 v184, v184, 24, 2
	v_and_b32_e32 v189, 0x4040404, v189
	v_sub_u16_e32 v190, v187, v189
	v_sub_u16_sdwa v193, v187, v189 dst_sel:BYTE_1 dst_unused:UNUSED_PAD src0_sel:BYTE_1 src1_sel:BYTE_1
	v_sub_u16_sdwa v184, v184, v189 dst_sel:BYTE_1 dst_unused:UNUSED_PAD src0_sel:DWORD src1_sel:BYTE_3
	v_sub_u16_sdwa v187, v187, v189 dst_sel:DWORD dst_unused:UNUSED_PAD src0_sel:WORD_1 src1_sel:WORD_1
	v_or_b32_sdwa v190, v190, v193 dst_sel:DWORD dst_unused:UNUSED_PAD src0_sel:BYTE_0 src1_sel:DWORD
	v_or_b32_sdwa v184, v187, v184 dst_sel:WORD_1 dst_unused:UNUSED_PAD src0_sel:BYTE_0 src1_sel:DWORD
	v_or_b32_sdwa v189, v190, v184 dst_sel:DWORD dst_unused:UNUSED_PAD src0_sel:WORD_0 src1_sel:DWORD
	v_add_u32_e32 v184, 0x2110, v191
	ds_read2_b32 v[193:194], v184 offset1:1
	v_ashrrev_i32_e32 v190, s17, v196
	v_lshlrev_b32_e32 v190, 2, v190
	v_and_b32_e32 v190, 0x4040404, v190
	s_waitcnt lgkmcnt(0)
	v_ashrrev_i32_e32 v184, s19, v193
	v_and_b32_e32 v187, 0x3030303, v184
	v_bfe_u32 v184, v184, 24, 2
	v_sub_u16_e32 v193, v187, v190
	v_sub_u16_sdwa v196, v187, v190 dst_sel:BYTE_1 dst_unused:UNUSED_PAD src0_sel:BYTE_1 src1_sel:BYTE_1
	v_sub_u16_sdwa v184, v184, v190 dst_sel:BYTE_1 dst_unused:UNUSED_PAD src0_sel:DWORD src1_sel:BYTE_3
	v_sub_u16_sdwa v187, v187, v190 dst_sel:DWORD dst_unused:UNUSED_PAD src0_sel:WORD_1 src1_sel:WORD_1
	v_or_b32_sdwa v193, v193, v196 dst_sel:DWORD dst_unused:UNUSED_PAD src0_sel:BYTE_0 src1_sel:DWORD
	v_or_b32_sdwa v184, v187, v184 dst_sel:WORD_1 dst_unused:UNUSED_PAD src0_sel:BYTE_0 src1_sel:DWORD
	v_ashrrev_i32_e32 v190, s17, v197
	v_or_b32_sdwa v193, v193, v184 dst_sel:DWORD dst_unused:UNUSED_PAD src0_sel:WORD_0 src1_sel:DWORD
	v_ashrrev_i32_e32 v184, s19, v194
	v_lshlrev_b32_e32 v190, 2, v190
	v_and_b32_e32 v187, 0x3030303, v184
	v_bfe_u32 v184, v184, 24, 2
	v_and_b32_e32 v190, 0x4040404, v190
	v_sub_u16_e32 v194, v187, v190
	v_sub_u16_sdwa v196, v187, v190 dst_sel:BYTE_1 dst_unused:UNUSED_PAD src0_sel:BYTE_1 src1_sel:BYTE_1
	v_sub_u16_sdwa v184, v184, v190 dst_sel:BYTE_1 dst_unused:UNUSED_PAD src0_sel:DWORD src1_sel:BYTE_3
	v_sub_u16_sdwa v187, v187, v190 dst_sel:DWORD dst_unused:UNUSED_PAD src0_sel:WORD_1 src1_sel:WORD_1
	v_or_b32_sdwa v194, v194, v196 dst_sel:DWORD dst_unused:UNUSED_PAD src0_sel:BYTE_0 src1_sel:DWORD
	v_or_b32_sdwa v184, v187, v184 dst_sel:WORD_1 dst_unused:UNUSED_PAD src0_sel:BYTE_0 src1_sel:DWORD
	v_or_b32_sdwa v196, v194, v184 dst_sel:DWORD dst_unused:UNUSED_PAD src0_sel:WORD_0 src1_sel:DWORD
	v_add_u32_e32 v184, 0x2118, v191
	ds_read2_b32 v[198:199], v184 offset1:1
	v_ashrrev_i32_e32 v190, s17, v200
	v_lshlrev_b32_e32 v190, 2, v190
	v_and_b32_e32 v190, 0x4040404, v190
	s_waitcnt lgkmcnt(0)
	v_ashrrev_i32_e32 v184, s19, v198
	v_and_b32_e32 v187, 0x3030303, v184
	v_bfe_u32 v184, v184, 24, 2
	v_sub_u16_e32 v194, v187, v190
	v_sub_u16_sdwa v197, v187, v190 dst_sel:BYTE_1 dst_unused:UNUSED_PAD src0_sel:BYTE_1 src1_sel:BYTE_1
	v_sub_u16_sdwa v184, v184, v190 dst_sel:BYTE_1 dst_unused:UNUSED_PAD src0_sel:DWORD src1_sel:BYTE_3
	v_sub_u16_sdwa v187, v187, v190 dst_sel:DWORD dst_unused:UNUSED_PAD src0_sel:WORD_1 src1_sel:WORD_1
	v_or_b32_sdwa v194, v194, v197 dst_sel:DWORD dst_unused:UNUSED_PAD src0_sel:BYTE_0 src1_sel:DWORD
	v_or_b32_sdwa v184, v187, v184 dst_sel:WORD_1 dst_unused:UNUSED_PAD src0_sel:BYTE_0 src1_sel:DWORD
	v_ashrrev_i32_e32 v190, s17, v201
	v_or_b32_sdwa v198, v194, v184 dst_sel:DWORD dst_unused:UNUSED_PAD src0_sel:WORD_0 src1_sel:DWORD
	v_ashrrev_i32_e32 v184, s19, v199
	v_lshlrev_b32_e32 v190, 2, v190
	v_and_b32_e32 v187, 0x3030303, v184
	v_bfe_u32 v184, v184, 24, 2
	v_and_b32_e32 v190, 0x4040404, v190
	v_sub_u16_e32 v194, v187, v190
	v_sub_u16_sdwa v197, v187, v190 dst_sel:BYTE_1 dst_unused:UNUSED_PAD src0_sel:BYTE_1 src1_sel:BYTE_1
	v_sub_u16_sdwa v184, v184, v190 dst_sel:BYTE_1 dst_unused:UNUSED_PAD src0_sel:DWORD src1_sel:BYTE_3
	v_sub_u16_sdwa v187, v187, v190 dst_sel:DWORD dst_unused:UNUSED_PAD src0_sel:WORD_1 src1_sel:WORD_1
	v_or_b32_sdwa v184, v187, v184 dst_sel:WORD_1 dst_unused:UNUSED_PAD src0_sel:BYTE_0 src1_sel:DWORD
	v_dot4_i32_i8 v187, v181, v38, 0
	v_dot4_i32_i8 v187, v183, v39, v187
	;; [unrolled: 1-line block ×5, first 2 shown]
	v_or_b32_sdwa v194, v194, v197 dst_sel:DWORD dst_unused:UNUSED_PAD src0_sel:BYTE_0 src1_sel:DWORD
	v_dot4_i32_i8 v187, v196, v35, v187
	v_or_b32_sdwa v200, v194, v184 dst_sel:DWORD dst_unused:UNUSED_PAD src0_sel:WORD_0 src1_sel:DWORD
	v_dot4_i32_i8 v187, v198, v36, v187
	v_add3_u32 v184, s22, v167, v127
	v_dot4_i32_i8 v215, v200, v37, v187
	v_add_u32_e32 v187, 0x3180, v191
	ds_read_b32 v184, v184
	ds_read2_b32 v[201:202], v187 offset1:1
	v_ashrrev_i32_e32 v194, s17, v211
	v_lshlrev_b32_e32 v194, 2, v194
	v_and_b32_e32 v194, 0x4040404, v194
	s_waitcnt lgkmcnt(0)
	v_ashrrev_i32_e32 v187, s19, v201
	v_and_b32_e32 v190, 0x3030303, v187
	v_bfe_u32 v187, v187, 24, 2
	v_sub_u16_e32 v197, v190, v194
	v_sub_u16_sdwa v199, v190, v194 dst_sel:BYTE_1 dst_unused:UNUSED_PAD src0_sel:BYTE_1 src1_sel:BYTE_1
	v_sub_u16_sdwa v187, v187, v194 dst_sel:BYTE_1 dst_unused:UNUSED_PAD src0_sel:DWORD src1_sel:BYTE_3
	v_sub_u16_sdwa v190, v190, v194 dst_sel:DWORD dst_unused:UNUSED_PAD src0_sel:WORD_1 src1_sel:WORD_1
	v_or_b32_sdwa v197, v197, v199 dst_sel:DWORD dst_unused:UNUSED_PAD src0_sel:BYTE_0 src1_sel:DWORD
	v_or_b32_sdwa v187, v190, v187 dst_sel:WORD_1 dst_unused:UNUSED_PAD src0_sel:BYTE_0 src1_sel:DWORD
	v_or_b32_sdwa v187, v197, v187 dst_sel:DWORD dst_unused:UNUSED_PAD src0_sel:WORD_0 src1_sel:DWORD
	v_ashrrev_i32_e32 v197, s17, v212
	v_ashrrev_i32_e32 v190, s19, v202
	v_lshlrev_b32_e32 v197, 2, v197
	v_and_b32_e32 v194, 0x3030303, v190
	v_bfe_u32 v190, v190, 24, 2
	v_and_b32_e32 v197, 0x4040404, v197
	v_sub_u16_e32 v199, v194, v197
	v_sub_u16_sdwa v201, v194, v197 dst_sel:BYTE_1 dst_unused:UNUSED_PAD src0_sel:BYTE_1 src1_sel:BYTE_1
	v_sub_u16_sdwa v190, v190, v197 dst_sel:BYTE_1 dst_unused:UNUSED_PAD src0_sel:DWORD src1_sel:BYTE_3
	v_sub_u16_sdwa v194, v194, v197 dst_sel:DWORD dst_unused:UNUSED_PAD src0_sel:WORD_1 src1_sel:WORD_1
	v_or_b32_sdwa v190, v194, v190 dst_sel:WORD_1 dst_unused:UNUSED_PAD src0_sel:BYTE_0 src1_sel:DWORD
	v_add_u32_e32 v194, 0x3188, v191
	v_or_b32_sdwa v199, v199, v201 dst_sel:DWORD dst_unused:UNUSED_PAD src0_sel:BYTE_0 src1_sel:DWORD
	ds_read2_b32 v[201:202], v194 offset1:1
	ds_read2_b32 v[211:212], v216 offset0:2 offset1:3
	v_or_b32_sdwa v190, v199, v190 dst_sel:DWORD dst_unused:UNUSED_PAD src0_sel:WORD_0 src1_sel:DWORD
	v_dot4_i32_i8 v38, v187, v38, 0
	v_dot4_i32_i8 v38, v190, v39, v38
	s_waitcnt lgkmcnt(1)
	v_ashrrev_i32_e32 v194, s19, v201
	s_waitcnt lgkmcnt(0)
	v_ashrrev_i32_e32 v199, s17, v211
	v_lshlrev_b32_e32 v199, 2, v199
	v_and_b32_e32 v197, 0x3030303, v194
	v_bfe_u32 v194, v194, 24, 2
	v_and_b32_e32 v199, 0x4040404, v199
	v_sub_u16_e32 v201, v197, v199
	v_sub_u16_sdwa v203, v197, v199 dst_sel:BYTE_1 dst_unused:UNUSED_PAD src0_sel:BYTE_1 src1_sel:BYTE_1
	v_sub_u16_sdwa v194, v194, v199 dst_sel:BYTE_1 dst_unused:UNUSED_PAD src0_sel:DWORD src1_sel:BYTE_3
	v_sub_u16_sdwa v197, v197, v199 dst_sel:DWORD dst_unused:UNUSED_PAD src0_sel:WORD_1 src1_sel:WORD_1
	v_or_b32_sdwa v201, v201, v203 dst_sel:DWORD dst_unused:UNUSED_PAD src0_sel:BYTE_0 src1_sel:DWORD
	v_or_b32_sdwa v194, v197, v194 dst_sel:WORD_1 dst_unused:UNUSED_PAD src0_sel:BYTE_0 src1_sel:DWORD
	v_or_b32_sdwa v194, v201, v194 dst_sel:DWORD dst_unused:UNUSED_PAD src0_sel:WORD_0 src1_sel:DWORD
	v_ashrrev_i32_e32 v201, s17, v212
	v_ashrrev_i32_e32 v197, s19, v202
	v_lshlrev_b32_e32 v201, 2, v201
	v_and_b32_e32 v199, 0x3030303, v197
	v_bfe_u32 v197, v197, 24, 2
	v_and_b32_e32 v201, 0x4040404, v201
	v_sub_u16_e32 v202, v199, v201
	v_sub_u16_sdwa v203, v199, v201 dst_sel:BYTE_1 dst_unused:UNUSED_PAD src0_sel:BYTE_1 src1_sel:BYTE_1
	v_sub_u16_sdwa v197, v197, v201 dst_sel:BYTE_1 dst_unused:UNUSED_PAD src0_sel:DWORD src1_sel:BYTE_3
	v_sub_u16_sdwa v199, v199, v201 dst_sel:DWORD dst_unused:UNUSED_PAD src0_sel:WORD_1 src1_sel:WORD_1
	v_or_b32_sdwa v202, v202, v203 dst_sel:DWORD dst_unused:UNUSED_PAD src0_sel:BYTE_0 src1_sel:DWORD
	v_or_b32_sdwa v197, v199, v197 dst_sel:WORD_1 dst_unused:UNUSED_PAD src0_sel:BYTE_0 src1_sel:DWORD
	v_add_u32_e32 v199, 0x3190, v191
	v_or_b32_sdwa v197, v202, v197 dst_sel:DWORD dst_unused:UNUSED_PAD src0_sel:WORD_0 src1_sel:DWORD
	ds_read2_b32 v[201:202], v199 offset1:1
	ds_read2_b32 v[211:212], v216 offset0:4 offset1:5
	v_add_u32_e32 v191, 0x3198, v191
	v_dot4_i32_i8 v38, v194, v40, v38
	v_dot4_i32_i8 v38, v197, v41, v38
	s_waitcnt lgkmcnt(1)
	v_ashrrev_i32_e32 v199, s19, v201
	s_waitcnt lgkmcnt(0)
	v_ashrrev_i32_e32 v203, s17, v211
	v_lshlrev_b32_e32 v203, 2, v203
	v_and_b32_e32 v201, 0x3030303, v199
	v_bfe_u32 v199, v199, 24, 2
	v_and_b32_e32 v203, 0x4040404, v203
	v_sub_u16_e32 v211, v201, v203
	v_sub_u16_sdwa v217, v201, v203 dst_sel:BYTE_1 dst_unused:UNUSED_PAD src0_sel:BYTE_1 src1_sel:BYTE_1
	v_sub_u16_sdwa v199, v199, v203 dst_sel:BYTE_1 dst_unused:UNUSED_PAD src0_sel:DWORD src1_sel:BYTE_3
	v_sub_u16_sdwa v201, v201, v203 dst_sel:DWORD dst_unused:UNUSED_PAD src0_sel:WORD_1 src1_sel:WORD_1
	v_ashrrev_i32_e32 v203, s17, v212
	v_or_b32_sdwa v199, v201, v199 dst_sel:WORD_1 dst_unused:UNUSED_PAD src0_sel:BYTE_0 src1_sel:DWORD
	v_ashrrev_i32_e32 v201, s19, v202
	v_lshlrev_b32_e32 v203, 2, v203
	v_or_b32_sdwa v211, v211, v217 dst_sel:DWORD dst_unused:UNUSED_PAD src0_sel:BYTE_0 src1_sel:DWORD
	v_and_b32_e32 v202, 0x3030303, v201
	v_bfe_u32 v201, v201, 24, 2
	v_and_b32_e32 v203, 0x4040404, v203
	v_or_b32_sdwa v199, v211, v199 dst_sel:DWORD dst_unused:UNUSED_PAD src0_sel:WORD_0 src1_sel:DWORD
	v_sub_u16_e32 v211, v202, v203
	v_sub_u16_sdwa v212, v202, v203 dst_sel:BYTE_1 dst_unused:UNUSED_PAD src0_sel:BYTE_1 src1_sel:BYTE_1
	v_sub_u16_sdwa v201, v201, v203 dst_sel:BYTE_1 dst_unused:UNUSED_PAD src0_sel:DWORD src1_sel:BYTE_3
	v_sub_u16_sdwa v202, v202, v203 dst_sel:DWORD dst_unused:UNUSED_PAD src0_sel:WORD_1 src1_sel:WORD_1
	v_or_b32_sdwa v211, v211, v212 dst_sel:DWORD dst_unused:UNUSED_PAD src0_sel:BYTE_0 src1_sel:DWORD
	v_or_b32_sdwa v201, v202, v201 dst_sel:WORD_1 dst_unused:UNUSED_PAD src0_sel:BYTE_0 src1_sel:DWORD
	v_or_b32_sdwa v201, v211, v201 dst_sel:DWORD dst_unused:UNUSED_PAD src0_sel:WORD_0 src1_sel:DWORD
	ds_read2_b32 v[202:203], v191 offset1:1
	ds_read2_b32 v[211:212], v216 offset0:6 offset1:7
	v_dot4_i32_i8 v34, v199, v34, 0
	v_dot4_i32_i8 v34, v201, v35, v34
	s_waitcnt lgkmcnt(1)
	v_ashrrev_i32_e32 v191, s19, v202
	s_waitcnt lgkmcnt(0)
	v_ashrrev_i32_e32 v211, s17, v211
	v_lshlrev_b32_e32 v211, 2, v211
	v_and_b32_e32 v202, 0x3030303, v191
	v_bfe_u32 v191, v191, 24, 2
	v_and_b32_e32 v211, 0x4040404, v211
	v_sub_u16_e32 v216, v202, v211
	v_sub_u16_sdwa v217, v202, v211 dst_sel:BYTE_1 dst_unused:UNUSED_PAD src0_sel:BYTE_1 src1_sel:BYTE_1
	v_sub_u16_sdwa v191, v191, v211 dst_sel:BYTE_1 dst_unused:UNUSED_PAD src0_sel:DWORD src1_sel:BYTE_3
	v_sub_u16_sdwa v202, v202, v211 dst_sel:DWORD dst_unused:UNUSED_PAD src0_sel:WORD_1 src1_sel:WORD_1
	v_or_b32_sdwa v216, v216, v217 dst_sel:DWORD dst_unused:UNUSED_PAD src0_sel:BYTE_0 src1_sel:DWORD
	v_or_b32_sdwa v191, v202, v191 dst_sel:WORD_1 dst_unused:UNUSED_PAD src0_sel:BYTE_0 src1_sel:DWORD
	v_ashrrev_i32_e32 v211, s17, v212
	v_or_b32_sdwa v202, v216, v191 dst_sel:DWORD dst_unused:UNUSED_PAD src0_sel:WORD_0 src1_sel:DWORD
	v_ashrrev_i32_e32 v191, s19, v203
	v_lshlrev_b32_e32 v211, 2, v211
	v_and_b32_e32 v203, 0x3030303, v191
	v_bfe_u32 v191, v191, 24, 2
	v_and_b32_e32 v211, 0x4040404, v211
	v_sub_u16_e32 v212, v203, v211
	v_sub_u16_sdwa v216, v203, v211 dst_sel:BYTE_1 dst_unused:UNUSED_PAD src0_sel:BYTE_1 src1_sel:BYTE_1
	v_sub_u16_sdwa v191, v191, v211 dst_sel:BYTE_1 dst_unused:UNUSED_PAD src0_sel:DWORD src1_sel:BYTE_3
	v_sub_u16_sdwa v203, v203, v211 dst_sel:DWORD dst_unused:UNUSED_PAD src0_sel:WORD_1 src1_sel:WORD_1
	v_or_b32_sdwa v212, v212, v216 dst_sel:DWORD dst_unused:UNUSED_PAD src0_sel:BYTE_0 src1_sel:DWORD
	v_or_b32_sdwa v191, v203, v191 dst_sel:WORD_1 dst_unused:UNUSED_PAD src0_sel:BYTE_0 src1_sel:DWORD
	v_or_b32_sdwa v203, v212, v191 dst_sel:DWORD dst_unused:UNUSED_PAD src0_sel:WORD_0 src1_sel:DWORD
	v_add3_u32 v191, s22, v169, v129
	ds_read_b32 v191, v191
	ds_read_b128 v[217:220], v174 offset:1024
	ds_read_b128 v[221:224], v174 offset:1040
	v_dot4_i32_i8 v34, v202, v36, v34
	v_dot4_i32_i8 v34, v203, v37, v34
	v_add_u32_e32 v216, s20, v140
	s_waitcnt lgkmcnt(1)
	v_dot4_i32_i8 v35, v49, v217, 0
	v_dot4_i32_i8 v35, v50, v218, v35
	;; [unrolled: 1-line block ×4, first 2 shown]
	s_waitcnt lgkmcnt(0)
	v_dot4_i32_i8 v35, v53, v221, 0
	v_dot4_i32_i8 v35, v204, v222, v35
	;; [unrolled: 1-line block ×28, first 2 shown]
	ds_read2_b32 v[35:36], v175 offset0:64 offset1:96
	ds_read_b128 v[217:220], v174 offset:2048
	ds_read_b128 v[221:224], v174 offset:2064
	s_add_i32 s17, s17, 1
	s_cmp_lt_u32 s19, 6
	s_waitcnt lgkmcnt(1)
	v_dot4_i32_i8 v39, v49, v217, 0
	v_dot4_i32_i8 v39, v50, v218, v39
	;; [unrolled: 1-line block ×4, first 2 shown]
	s_waitcnt lgkmcnt(0)
	v_dot4_i32_i8 v39, v53, v221, 0
	v_dot4_i32_i8 v39, v204, v222, v39
	;; [unrolled: 1-line block ×24, first 2 shown]
	ds_read_b128 v[217:220], v174 offset:3072
	ds_read_b128 v[225:228], v174 offset:3088
	v_dot4_i32_i8 v39, v199, v221, 0
	v_dot4_i32_i8 v39, v201, v222, v39
	v_dot4_i32_i8 v39, v202, v223, v39
	v_dot4_i32_i8 v241, v203, v224, v39
	s_waitcnt lgkmcnt(1)
	v_dot4_i32_i8 v39, v49, v217, 0
	v_dot4_i32_i8 v39, v50, v218, v39
	v_dot4_i32_i8 v39, v51, v219, v39
	v_dot4_i32_i8 v40, v52, v220, v39
	s_waitcnt lgkmcnt(0)
	v_dot4_i32_i8 v39, v53, v225, 0
	v_dot4_i32_i8 v39, v204, v226, v39
	;; [unrolled: 1-line block ×4, first 2 shown]
	ds_read_u16 v39, v47 offset:2
	s_waitcnt lgkmcnt(0)
	v_lshrrev_b16_e32 v47, 8, v39
	v_bfe_i32 v223, v47, 0, 8
	v_bfe_i32 v224, v39, 0, 8
	v_mul_lo_u32 v41, v41, v223
	v_mul_lo_u32 v37, v37, v224
	;; [unrolled: 1-line block ×4, first 2 shown]
	v_mad_u64_u32 v[211:212], s[20:21], v211, v224, v[41:42]
                                        ; kill: def $vgpr41 killed $sgpr0 killed $exec
	v_mad_u64_u32 v[40:41], s[20:21], v221, v223, v[40:41]
	v_mad_u64_u32 v[221:222], s[20:21], v229, v223, v[37:38]
	;; [unrolled: 1-line block ×3, first 2 shown]
	v_cvt_f32_i32_e32 v207, v221
	v_mul_f32_e32 v37, v176, v46
	v_cvt_f32_i32_e32 v40, v40
	v_mul_f32_e32 v41, v176, v36
	v_fmac_f32_e32 v18, v37, v207
	v_dot4_i32_i8 v37, v177, v217, 0
	v_dot4_i32_i8 v37, v178, v218, v37
	;; [unrolled: 1-line block ×3, first 2 shown]
	v_fma_f32 v20, v41, v40, v20
	v_dot4_i32_i8 v40, v182, v220, v37
	v_dot4_i32_i8 v37, v185, v225, 0
	;; [unrolled: 1-line block ×5, first 2 shown]
	ds_read_u16 v37, v209 offset:2
	v_cvt_f32_i32_e32 v47, v47
	v_cvt_f32_i32_e32 v211, v211
	v_mul_f32_e32 v39, v176, v45
	v_mul_f32_e32 v48, v176, v35
	v_fma_f32 v19, v39, v47, v19
	s_waitcnt lgkmcnt(0)
	v_lshrrev_b16_e32 v39, 8, v37
	v_fma_f32 v21, v48, v211, v21
	v_bfe_i32 v211, v39, 0, 8
	v_bfe_i32 v212, v37, 0, 8
	v_mul_lo_u32 v41, v237, v211
	v_mul_lo_u32 v40, v40, v212
	;; [unrolled: 1-line block ×4, first 2 shown]
	v_mad_u64_u32 v[47:48], s[20:21], v236, v212, v[41:42]
                                        ; kill: def $vgpr41 killed $sgpr0 killed $exec
	v_mul_f32_e32 v48, v179, v35
	v_mad_u64_u32 v[40:41], s[20:21], v207, v211, v[40:41]
	v_mul_f32_e32 v41, v179, v36
	v_cvt_f32_i32_e32 v47, v47
	v_mad_u64_u32 v[207:208], s[20:21], v208, v212, v[39:40]
	v_mad_u64_u32 v[208:209], s[20:21], v231, v211, v[37:38]
	v_mul_f32_e32 v37, v179, v46
	v_cvt_f32_i32_e32 v40, v40
	v_cvt_f32_i32_e32 v208, v208
	;; [unrolled: 1-line block ×3, first 2 shown]
	v_mul_f32_e32 v39, v179, v45
	v_fma_f32 v32, v41, v40, v32
	v_fmac_f32_e32 v30, v37, v208
	v_dot4_i32_i8 v37, v181, v217, 0
	v_dot4_i32_i8 v37, v183, v218, v37
	;; [unrolled: 1-line block ×7, first 2 shown]
	v_fma_f32 v31, v39, v207, v31
	v_dot4_i32_i8 v207, v200, v228, v37
	ds_read_u16 v37, v214 offset:2
	v_fma_f32 v33, v48, v47, v33
	s_waitcnt lgkmcnt(0)
	v_lshrrev_b16_e32 v39, 8, v37
	v_bfe_i32 v209, v39, 0, 8
	v_bfe_i32 v210, v37, 0, 8
	v_mul_lo_u32 v41, v239, v209
	v_mul_lo_u32 v40, v40, v210
	;; [unrolled: 1-line block ×4, first 2 shown]
	v_mad_u64_u32 v[47:48], s[20:21], v238, v210, v[41:42]
                                        ; kill: def $vgpr41 killed $sgpr0 killed $exec
	v_mul_f32_e32 v48, v184, v35
	v_mad_u64_u32 v[40:41], s[20:21], v207, v209, v[40:41]
	v_cvt_f32_i32_e32 v47, v47
	v_mul_f32_e32 v41, v184, v36
	v_mad_u64_u32 v[207:208], s[20:21], v213, v210, v[39:40]
	v_mad_u64_u32 v[213:214], s[20:21], v233, v209, v[37:38]
	v_mul_f32_e32 v37, v184, v46
	v_cvt_f32_i32_e32 v207, v207
	v_cvt_f32_i32_e32 v208, v213
	v_mul_f32_e32 v39, v184, v45
	v_fma_f32 v29, v48, v47, v29
	v_fma_f32 v27, v39, v207, v27
	v_fmac_f32_e32 v26, v37, v208
	v_dot4_i32_i8 v37, v187, v217, 0
	v_dot4_i32_i8 v37, v190, v218, v37
	;; [unrolled: 1-line block ×8, first 2 shown]
	ds_read_u16 v37, v216 offset:2
	v_cvt_f32_i32_e32 v40, v40
	v_mul_f32_e32 v36, v191, v36
	v_fma_f32 v28, v41, v40, v28
	s_waitcnt lgkmcnt(0)
	v_lshrrev_b16_e32 v40, 8, v37
	v_bfe_i32 v207, v40, 0, 8
	v_mul_lo_u32 v40, v241, v207
	v_bfe_i32 v208, v37, 0, 8
                                        ; kill: def $vgpr41 killed $sgpr0 killed $exec
	v_mul_lo_u32 v34, v34, v207
	v_mul_lo_u32 v39, v39, v208
	v_mad_u64_u32 v[40:41], s[20:21], v240, v208, v[40:41]
	v_mul_lo_u32 v37, v234, v208
	v_mad_u64_u32 v[47:48], s[20:21], v47, v207, v[39:40]
	v_mad_u64_u32 v[38:39], s[20:21], v38, v208, v[34:35]
	v_cvt_f32_i32_e32 v41, v47
	v_cvt_f32_i32_e32 v40, v40
	v_mad_u64_u32 v[213:214], s[20:21], v235, v207, v[37:38]
	v_cvt_f32_i32_e32 v38, v38
	v_mul_f32_e32 v34, v191, v46
	v_cvt_f32_i32_e32 v39, v213
	v_mul_f32_e32 v37, v191, v45
	v_mul_f32_e32 v35, v191, v35
	v_fma_f32 v25, v35, v40, v25
	v_fma_f32 v24, v36, v41, v24
	;; [unrolled: 1-line block ×3, first 2 shown]
	v_fmac_f32_e32 v22, v34, v39
	ds_read2_b32 v[45:46], v175 offset0:128 offset1:160
	ds_read_b128 v[34:37], v174 offset:4096
	ds_read_b128 v[38:41], v174 offset:4112
	s_waitcnt lgkmcnt(1)
	v_dot4_i32_i8 v47, v49, v34, 0
	v_dot4_i32_i8 v47, v50, v35, v47
	;; [unrolled: 1-line block ×4, first 2 shown]
	s_waitcnt lgkmcnt(0)
	v_dot4_i32_i8 v47, v53, v38, 0
	v_dot4_i32_i8 v47, v204, v39, v47
	;; [unrolled: 1-line block ×28, first 2 shown]
	ds_read_b128 v[34:37], v174 offset:5120
	ds_read_b128 v[38:41], v174 offset:5136
	s_waitcnt lgkmcnt(1)
	v_dot4_i32_i8 v47, v49, v34, 0
	v_dot4_i32_i8 v47, v50, v35, v47
	v_dot4_i32_i8 v47, v51, v36, v47
	v_dot4_i32_i8 v235, v52, v37, v47
	s_waitcnt lgkmcnt(0)
	v_dot4_i32_i8 v47, v53, v38, 0
	v_dot4_i32_i8 v47, v204, v39, v47
	;; [unrolled: 1-line block ×28, first 2 shown]
	ds_read2_b32 v[47:48], v175 offset0:192 offset1:224
	ds_read_b128 v[34:37], v174 offset:6144
	ds_read_b128 v[38:41], v174 offset:6160
	v_add_u32_e32 v175, 4, v175
	s_waitcnt lgkmcnt(1)
	v_dot4_i32_i8 v225, v49, v34, 0
	v_dot4_i32_i8 v225, v50, v35, v225
	;; [unrolled: 1-line block ×4, first 2 shown]
	s_waitcnt lgkmcnt(0)
	v_dot4_i32_i8 v225, v53, v38, 0
	v_dot4_i32_i8 v225, v204, v39, v225
	;; [unrolled: 1-line block ×28, first 2 shown]
	ds_read_b128 v[38:41], v174 offset:7168
	ds_read_b128 v[34:37], v174 offset:7184
	v_add_u32_e32 v174, 32, v174
	s_waitcnt lgkmcnt(1)
	v_dot4_i32_i8 v49, v49, v38, 0
	v_dot4_i32_i8 v49, v50, v39, v49
	;; [unrolled: 1-line block ×4, first 2 shown]
	s_waitcnt lgkmcnt(0)
	v_dot4_i32_i8 v50, v53, v34, 0
	v_mul_lo_u32 v51, v49, v224
	v_mul_lo_u32 v49, v238, v223
	v_dot4_i32_i8 v50, v204, v35, v50
	v_mul_lo_u32 v52, v234, v223
	v_dot4_i32_i8 v50, v205, v36, v50
	;; [unrolled: 2-line block ×3, first 2 shown]
                                        ; kill: def $vgpr50 killed $sgpr0 killed $exec
	v_mul_f32_e32 v205, v176, v48
	v_mad_u64_u32 v[49:50], s[20:21], v237, v224, v[49:50]
	v_mad_u64_u32 v[50:51], s[20:21], v204, v223, v[51:52]
	;; [unrolled: 1-line block ×4, first 2 shown]
	v_cvt_f32_i32_e32 v49, v49
	v_mul_f32_e32 v53, v176, v46
	v_cvt_f32_i32_e32 v52, v52
	v_mul_f32_e32 v204, v176, v45
	v_mul_f32_e32 v176, v176, v47
	v_cvt_f32_i32_e32 v51, v51
	v_fma_f32 v17, v176, v49, v17
	v_fmac_f32_e32 v14, v53, v52
	v_dot4_i32_i8 v49, v177, v38, 0
	v_mul_lo_u32 v52, v232, v211
	v_cvt_f32_i32_e32 v50, v50
	v_dot4_i32_i8 v49, v178, v39, v49
	v_dot4_i32_i8 v49, v180, v40, v49
	v_fma_f32 v15, v204, v51, v15
	v_dot4_i32_i8 v51, v182, v41, v49
                                        ; kill: def $vgpr53 killed $sgpr0 killed $exec
	v_dot4_i32_i8 v49, v185, v34, 0
	v_mul_lo_u32 v51, v51, v212
	v_mad_u64_u32 v[52:53], s[20:21], v231, v212, v[52:53]
	v_fma_f32 v16, v205, v50, v16
	v_dot4_i32_i8 v49, v188, v35, v49
	v_mul_lo_u32 v50, v222, v211
	v_dot4_i32_i8 v49, v192, v36, v49
	v_dot4_i32_i8 v176, v195, v37, v49
	v_mad_u64_u32 v[176:177], s[20:21], v176, v211, v[51:52]
                                        ; kill: def $vgpr51 killed $sgpr0 killed $exec
	v_mul_lo_u32 v49, v228, v212
	v_mad_u64_u32 v[50:51], s[20:21], v221, v212, v[50:51]
	v_mul_f32_e32 v51, v179, v45
	v_cvt_f32_i32_e32 v176, v176
	v_mad_u64_u32 v[177:178], s[20:21], v227, v211, v[49:50]
	v_mul_f32_e32 v49, v179, v46
	v_cvt_f32_i32_e32 v50, v50
	v_cvt_f32_i32_e32 v177, v177
	;; [unrolled: 1-line block ×3, first 2 shown]
	v_mul_f32_e32 v53, v179, v48
	v_fma_f32 v11, v51, v50, v11
	v_fmac_f32_e32 v10, v49, v177
	v_dot4_i32_i8 v49, v181, v38, 0
	v_dot4_i32_i8 v49, v183, v39, v49
	;; [unrolled: 1-line block ×8, first 2 shown]
	v_mul_f32_e32 v178, v179, v47
	v_dot4_i32_i8 v49, v198, v36, v49
	v_dot4_i32_i8 v38, v187, v38, 0
	;; [unrolled: 1-line block ×3, first 2 shown]
	v_fma_f32 v13, v178, v52, v13
	v_fma_f32 v12, v53, v176, v12
	v_dot4_i32_i8 v176, v200, v37, v49
	v_mul_lo_u32 v52, v230, v209
	v_dot4_i32_i8 v38, v190, v39, v38
	v_dot4_i32_i8 v39, v203, v37, v34
	v_mul_lo_u32 v37, v226, v207
	v_dot4_i32_i8 v38, v194, v40, v38
	v_dot4_i32_i8 v38, v197, v41, v38
                                        ; kill: def $vgpr53 killed $sgpr0 killed $exec
	v_mul_lo_u32 v36, v38, v208
                                        ; kill: def $vgpr38 killed $sgpr0 killed $exec
	v_mul_lo_u32 v51, v51, v210
	v_mad_u64_u32 v[52:53], s[20:21], v229, v210, v[52:53]
	v_mad_u64_u32 v[37:38], s[20:21], v225, v208, v[37:38]
	v_mul_lo_u32 v50, v218, v209
	v_mul_lo_u32 v35, v214, v207
	v_mad_u64_u32 v[176:177], s[20:21], v176, v209, v[51:52]
                                        ; kill: def $vgpr51 killed $sgpr0 killed $exec
	v_mad_u64_u32 v[38:39], s[20:21], v39, v207, v[36:37]
                                        ; kill: def $vgpr36 killed $sgpr0 killed $exec
	v_mul_lo_u32 v49, v220, v210
	v_mad_u64_u32 v[50:51], s[20:21], v217, v210, v[50:51]
	v_mul_lo_u32 v34, v216, v208
	v_mad_u64_u32 v[35:36], s[20:21], v213, v208, v[35:36]
	v_mad_u64_u32 v[177:178], s[20:21], v219, v209, v[49:50]
	;; [unrolled: 1-line block ×3, first 2 shown]
	v_cvt_f32_i32_e32 v177, v177
	v_cvt_f32_i32_e32 v50, v50
	;; [unrolled: 1-line block ×8, first 2 shown]
	v_mul_f32_e32 v49, v184, v46
	v_mul_f32_e32 v51, v184, v45
	;; [unrolled: 1-line block ×8, first 2 shown]
	v_fma_f32 v9, v178, v52, v9
	v_fma_f32 v8, v53, v176, v8
	;; [unrolled: 1-line block ×3, first 2 shown]
	v_fmac_f32_e32 v6, v49, v177
	v_fma_f32 v5, v41, v37, v5
	v_fma_f32 v4, v40, v38, v4
	v_fma_f32 v3, v36, v35, v3
	v_fmac_f32_e32 v2, v34, v39
	s_mov_b32 s20, s19
	s_cbranch_scc1 .LBB129_7
; %bb.8:                                ;   in Loop: Header=BB129_6 Depth=1
	v_add_u32_e32 v53, s16, v130
	v_add_u32_e32 v51, 4, v173
	;; [unrolled: 1-line block ×3, first 2 shown]
	v_mad_u64_u32 v[51:52], s[18:19], v51, 36, s[2:3]
	v_mad_i64_i32 v[34:35], s[18:19], v34, 36, v[43:44]
	v_add_u32_e32 v36, v53, v115
	v_mad_i64_i32 v[36:37], s[18:19], v36, 36, v[43:44]
	v_add_u32_e32 v38, v53, v116
	v_add_u32_e32 v40, v53, v117
	v_mad_i64_i32 v[38:39], s[18:19], v38, 36, v[43:44]
	v_mad_i64_i32 v[40:41], s[18:19], v40, 36, v[43:44]
	v_add_u32_e32 v45, v53, v118
	v_add_u32_e32 v47, v53, v119
	;; [unrolled: 1-line block ×4, first 2 shown]
	s_barrier
	v_mad_i64_i32 v[45:46], s[18:19], v45, 36, v[43:44]
	v_mad_i64_i32 v[47:48], s[18:19], v47, 36, v[43:44]
	;; [unrolled: 1-line block ×4, first 2 shown]
	global_load_dword v51, v[51:52], off
	s_nop 0
	global_load_dword v34, v[34:35], off offset:4
	s_nop 0
	global_load_dword v35, v[36:37], off offset:4
	s_nop 0
	global_load_dword v36, v[38:39], off offset:4
	global_load_dword v37, v[40:41], off offset:4
	s_nop 0
	global_load_dword v38, v[45:46], off offset:4
	global_load_dword v39, v[47:48], off offset:4
	;; [unrolled: 1-line block ×4, first 2 shown]
	s_mov_b32 s17, 4
	s_mov_b32 s18, 8
	;; [unrolled: 1-line block ×3, first 2 shown]
	v_mov_b32_e32 v174, v142
	v_mov_b32_e32 v175, v141
	s_waitcnt vmcnt(8)
	v_cvt_f32_f16_e32 v45, v51
	s_waitcnt vmcnt(7)
	ds_write_b32 v155, v34
	s_waitcnt vmcnt(6)
	ds_write_b32 v156, v35
	;; [unrolled: 2-line block ×8, first 2 shown]
	ds_write_b32 v113, v45
	s_waitcnt lgkmcnt(0)
	s_barrier
.LBB129_9:                              ;   Parent Loop BB129_6 Depth=1
                                        ; =>  This Inner Loop Header: Depth=2
	s_add_i32 s19, s20, 2
	s_lshr_b32 s24, s19, 4
	s_and_b32 s22, s19, 0x3ffffff8
	v_lshl_add_u32 v203, s22, 2, v122
	s_lshl_b32 s22, s24, 5
	s_addk_i32 s22, 0x4200
	v_add3_u32 v178, s22, v170, v123
	ds_read2_b32 v[45:46], v175 offset1:32
	ds_read_b128 v[38:41], v174
	ds_read_b128 v[34:37], v174 offset:16
	ds_read2_b32 v[49:50], v178 offset1:1
	ds_read2_b32 v[47:48], v203 offset1:1
	v_add3_u32 v197, s22, v166, v126
	s_add_i32 s21, s20, -6
	ds_read2_b32 v[198:199], v197 offset0:6 offset1:7
	s_waitcnt lgkmcnt(2)
	v_ashrrev_i32_e32 v49, s17, v49
	s_waitcnt lgkmcnt(1)
	v_ashrrev_i32_e32 v47, s21, v47
	v_lshlrev_b32_e32 v49, 2, v49
	v_and_b32_e32 v51, 0x3030303, v47
	v_bfe_u32 v47, v47, 24, 2
	v_and_b32_e32 v49, 0x4040404, v49
	v_sub_u16_e32 v52, v51, v49
	v_sub_u16_sdwa v53, v51, v49 dst_sel:BYTE_1 dst_unused:UNUSED_PAD src0_sel:BYTE_1 src1_sel:BYTE_1
	v_sub_u16_sdwa v47, v47, v49 dst_sel:BYTE_1 dst_unused:UNUSED_PAD src0_sel:DWORD src1_sel:BYTE_3
	v_sub_u16_sdwa v49, v51, v49 dst_sel:DWORD dst_unused:UNUSED_PAD src0_sel:WORD_1 src1_sel:WORD_1
	v_or_b32_sdwa v52, v52, v53 dst_sel:DWORD dst_unused:UNUSED_PAD src0_sel:BYTE_0 src1_sel:DWORD
	v_or_b32_sdwa v47, v49, v47 dst_sel:WORD_1 dst_unused:UNUSED_PAD src0_sel:BYTE_0 src1_sel:DWORD
	v_ashrrev_i32_e32 v50, s17, v50
	v_or_b32_sdwa v49, v52, v47 dst_sel:DWORD dst_unused:UNUSED_PAD src0_sel:WORD_0 src1_sel:DWORD
	v_ashrrev_i32_e32 v47, s21, v48
	v_lshlrev_b32_e32 v50, 2, v50
	v_and_b32_e32 v48, 0x3030303, v47
	v_bfe_u32 v47, v47, 24, 2
	v_and_b32_e32 v50, 0x4040404, v50
	v_sub_u16_e32 v51, v48, v50
	v_sub_u16_sdwa v52, v48, v50 dst_sel:BYTE_1 dst_unused:UNUSED_PAD src0_sel:BYTE_1 src1_sel:BYTE_1
	v_sub_u16_sdwa v47, v47, v50 dst_sel:BYTE_1 dst_unused:UNUSED_PAD src0_sel:DWORD src1_sel:BYTE_3
	v_sub_u16_sdwa v48, v48, v50 dst_sel:DWORD dst_unused:UNUSED_PAD src0_sel:WORD_1 src1_sel:WORD_1
	v_or_b32_sdwa v51, v51, v52 dst_sel:DWORD dst_unused:UNUSED_PAD src0_sel:BYTE_0 src1_sel:DWORD
	v_or_b32_sdwa v47, v48, v47 dst_sel:WORD_1 dst_unused:UNUSED_PAD src0_sel:BYTE_0 src1_sel:DWORD
	v_or_b32_sdwa v50, v51, v47 dst_sel:DWORD dst_unused:UNUSED_PAD src0_sel:WORD_0 src1_sel:DWORD
	ds_read2_b32 v[47:48], v203 offset0:2 offset1:3
	ds_read2_b32 v[51:52], v178 offset0:2 offset1:3
	s_and_b32 s23, s18, -16
	s_add_i32 s20, s20, s23
	s_lshl_b32 s23, s24, 2
	s_waitcnt lgkmcnt(1)
	v_ashrrev_i32_e32 v47, s21, v47
	s_waitcnt lgkmcnt(0)
	v_ashrrev_i32_e32 v51, s17, v51
	v_lshlrev_b32_e32 v51, 2, v51
	v_and_b32_e32 v53, 0x3030303, v47
	v_bfe_u32 v47, v47, 24, 2
	v_and_b32_e32 v51, 0x4040404, v51
	v_sub_u16_e32 v176, v53, v51
	v_sub_u16_sdwa v177, v53, v51 dst_sel:BYTE_1 dst_unused:UNUSED_PAD src0_sel:BYTE_1 src1_sel:BYTE_1
	v_sub_u16_sdwa v47, v47, v51 dst_sel:BYTE_1 dst_unused:UNUSED_PAD src0_sel:DWORD src1_sel:BYTE_3
	v_sub_u16_sdwa v51, v53, v51 dst_sel:DWORD dst_unused:UNUSED_PAD src0_sel:WORD_1 src1_sel:WORD_1
	v_or_b32_sdwa v176, v176, v177 dst_sel:DWORD dst_unused:UNUSED_PAD src0_sel:BYTE_0 src1_sel:DWORD
	v_or_b32_sdwa v47, v51, v47 dst_sel:WORD_1 dst_unused:UNUSED_PAD src0_sel:BYTE_0 src1_sel:DWORD
	v_ashrrev_i32_e32 v52, s17, v52
	v_or_b32_sdwa v51, v176, v47 dst_sel:DWORD dst_unused:UNUSED_PAD src0_sel:WORD_0 src1_sel:DWORD
	v_ashrrev_i32_e32 v47, s21, v48
	v_lshlrev_b32_e32 v52, 2, v52
	v_and_b32_e32 v48, 0x3030303, v47
	v_bfe_u32 v47, v47, 24, 2
	v_and_b32_e32 v52, 0x4040404, v52
	v_sub_u16_e32 v53, v48, v52
	v_sub_u16_sdwa v176, v48, v52 dst_sel:BYTE_1 dst_unused:UNUSED_PAD src0_sel:BYTE_1 src1_sel:BYTE_1
	v_sub_u16_sdwa v47, v47, v52 dst_sel:BYTE_1 dst_unused:UNUSED_PAD src0_sel:DWORD src1_sel:BYTE_3
	v_sub_u16_sdwa v48, v48, v52 dst_sel:DWORD dst_unused:UNUSED_PAD src0_sel:WORD_1 src1_sel:WORD_1
	v_or_b32_sdwa v53, v53, v176 dst_sel:DWORD dst_unused:UNUSED_PAD src0_sel:BYTE_0 src1_sel:DWORD
	v_or_b32_sdwa v47, v48, v47 dst_sel:WORD_1 dst_unused:UNUSED_PAD src0_sel:BYTE_0 src1_sel:DWORD
	v_or_b32_sdwa v52, v53, v47 dst_sel:DWORD dst_unused:UNUSED_PAD src0_sel:WORD_0 src1_sel:DWORD
	ds_read2_b32 v[47:48], v203 offset0:4 offset1:5
	ds_read2_b32 v[176:177], v178 offset0:4 offset1:5
	s_add_i32 s23, s23, 0x9380
	v_add3_u32 v187, s22, v164, v124
	v_add3_u32 v216, s22, v168, v128
	s_waitcnt lgkmcnt(1)
	v_ashrrev_i32_e32 v47, s21, v47
	s_waitcnt lgkmcnt(0)
	v_ashrrev_i32_e32 v176, s17, v176
	v_lshlrev_b32_e32 v176, 2, v176
	v_and_b32_e32 v53, 0x3030303, v47
	v_bfe_u32 v47, v47, 24, 2
	v_and_b32_e32 v176, 0x4040404, v176
	v_sub_u16_e32 v179, v53, v176
	v_sub_u16_sdwa v180, v53, v176 dst_sel:BYTE_1 dst_unused:UNUSED_PAD src0_sel:BYTE_1 src1_sel:BYTE_1
	v_sub_u16_sdwa v47, v47, v176 dst_sel:BYTE_1 dst_unused:UNUSED_PAD src0_sel:DWORD src1_sel:BYTE_3
	v_sub_u16_sdwa v53, v53, v176 dst_sel:DWORD dst_unused:UNUSED_PAD src0_sel:WORD_1 src1_sel:WORD_1
	v_or_b32_sdwa v179, v179, v180 dst_sel:DWORD dst_unused:UNUSED_PAD src0_sel:BYTE_0 src1_sel:DWORD
	v_or_b32_sdwa v47, v53, v47 dst_sel:WORD_1 dst_unused:UNUSED_PAD src0_sel:BYTE_0 src1_sel:DWORD
	v_ashrrev_i32_e32 v176, s17, v177
	v_or_b32_sdwa v53, v179, v47 dst_sel:DWORD dst_unused:UNUSED_PAD src0_sel:WORD_0 src1_sel:DWORD
	v_ashrrev_i32_e32 v47, s21, v48
	v_lshlrev_b32_e32 v176, 2, v176
	v_and_b32_e32 v48, 0x3030303, v47
	v_bfe_u32 v47, v47, 24, 2
	v_and_b32_e32 v176, 0x4040404, v176
	v_sub_u16_e32 v177, v48, v176
	v_sub_u16_sdwa v179, v48, v176 dst_sel:BYTE_1 dst_unused:UNUSED_PAD src0_sel:BYTE_1 src1_sel:BYTE_1
	v_sub_u16_sdwa v47, v47, v176 dst_sel:BYTE_1 dst_unused:UNUSED_PAD src0_sel:DWORD src1_sel:BYTE_3
	v_sub_u16_sdwa v48, v48, v176 dst_sel:DWORD dst_unused:UNUSED_PAD src0_sel:WORD_1 src1_sel:WORD_1
	v_or_b32_sdwa v177, v177, v179 dst_sel:DWORD dst_unused:UNUSED_PAD src0_sel:BYTE_0 src1_sel:DWORD
	v_or_b32_sdwa v47, v48, v47 dst_sel:WORD_1 dst_unused:UNUSED_PAD src0_sel:BYTE_0 src1_sel:DWORD
	v_or_b32_sdwa v204, v177, v47 dst_sel:DWORD dst_unused:UNUSED_PAD src0_sel:WORD_0 src1_sel:DWORD
	ds_read2_b32 v[47:48], v203 offset0:6 offset1:7
	ds_read2_b32 v[176:177], v178 offset0:6 offset1:7
	;; [unrolled: 1-line block ×3, first 2 shown]
	v_add_u32_e32 v209, s20, v135
	v_add_u32_e32 v212, s20, v137
	s_waitcnt lgkmcnt(2)
	v_ashrrev_i32_e32 v47, s21, v47
	s_waitcnt lgkmcnt(1)
	v_ashrrev_i32_e32 v176, s17, v176
	v_lshlrev_b32_e32 v176, 2, v176
	v_and_b32_e32 v179, 0x3030303, v47
	v_bfe_u32 v47, v47, 24, 2
	v_and_b32_e32 v176, 0x4040404, v176
	v_sub_u16_e32 v178, v179, v176
	v_sub_u16_sdwa v180, v179, v176 dst_sel:BYTE_1 dst_unused:UNUSED_PAD src0_sel:BYTE_1 src1_sel:BYTE_1
	v_sub_u16_sdwa v47, v47, v176 dst_sel:BYTE_1 dst_unused:UNUSED_PAD src0_sel:DWORD src1_sel:BYTE_3
	v_sub_u16_sdwa v176, v179, v176 dst_sel:DWORD dst_unused:UNUSED_PAD src0_sel:WORD_1 src1_sel:WORD_1
	v_or_b32_sdwa v178, v178, v180 dst_sel:DWORD dst_unused:UNUSED_PAD src0_sel:BYTE_0 src1_sel:DWORD
	v_or_b32_sdwa v47, v176, v47 dst_sel:WORD_1 dst_unused:UNUSED_PAD src0_sel:BYTE_0 src1_sel:DWORD
	v_ashrrev_i32_e32 v176, s17, v177
	v_or_b32_sdwa v205, v178, v47 dst_sel:DWORD dst_unused:UNUSED_PAD src0_sel:WORD_0 src1_sel:DWORD
	v_ashrrev_i32_e32 v47, s21, v48
	v_lshlrev_b32_e32 v176, 2, v176
	v_and_b32_e32 v48, 0x3030303, v47
	v_bfe_u32 v47, v47, 24, 2
	v_and_b32_e32 v176, 0x4040404, v176
	v_sub_u16_e32 v177, v48, v176
	v_sub_u16_sdwa v178, v48, v176 dst_sel:BYTE_1 dst_unused:UNUSED_PAD src0_sel:BYTE_1 src1_sel:BYTE_1
	v_sub_u16_sdwa v47, v47, v176 dst_sel:BYTE_1 dst_unused:UNUSED_PAD src0_sel:DWORD src1_sel:BYTE_3
	v_sub_u16_sdwa v48, v48, v176 dst_sel:DWORD dst_unused:UNUSED_PAD src0_sel:WORD_1 src1_sel:WORD_1
	v_or_b32_sdwa v177, v177, v178 dst_sel:DWORD dst_unused:UNUSED_PAD src0_sel:BYTE_0 src1_sel:DWORD
	v_or_b32_sdwa v47, v48, v47 dst_sel:WORD_1 dst_unused:UNUSED_PAD src0_sel:BYTE_0 src1_sel:DWORD
	v_or_b32_sdwa v206, v177, v47 dst_sel:DWORD dst_unused:UNUSED_PAD src0_sel:WORD_0 src1_sel:DWORD
	v_dot4_i32_i8 v177, v53, v34, 0
	v_dot4_i32_i8 v177, v204, v35, v177
	;; [unrolled: 1-line block ×3, first 2 shown]
	v_add3_u32 v47, s23, v171, v172
	v_dot4_i32_i8 v207, v206, v37, v177
	v_add_u32_e32 v177, 0x1080, v203
	ds_read_b32 v176, v47
	ds_read2_b32 v[177:178], v177 offset1:1
	ds_read2_b32 v[179:180], v187 offset1:1
	v_dot4_i32_i8 v47, v49, v38, 0
	v_dot4_i32_i8 v47, v50, v39, v47
	;; [unrolled: 1-line block ×3, first 2 shown]
	s_waitcnt lgkmcnt(1)
	v_ashrrev_i32_e32 v177, s21, v177
	s_waitcnt lgkmcnt(0)
	v_ashrrev_i32_e32 v179, s17, v179
	v_lshlrev_b32_e32 v179, 2, v179
	v_and_b32_e32 v181, 0x3030303, v177
	v_bfe_u32 v177, v177, 24, 2
	v_and_b32_e32 v179, 0x4040404, v179
	v_ashrrev_i32_e32 v180, s17, v180
	v_sub_u16_e32 v182, v181, v179
	v_sub_u16_sdwa v183, v181, v179 dst_sel:BYTE_1 dst_unused:UNUSED_PAD src0_sel:BYTE_1 src1_sel:BYTE_1
	v_sub_u16_sdwa v177, v177, v179 dst_sel:BYTE_1 dst_unused:UNUSED_PAD src0_sel:DWORD src1_sel:BYTE_3
	v_sub_u16_sdwa v179, v181, v179 dst_sel:DWORD dst_unused:UNUSED_PAD src0_sel:WORD_1 src1_sel:WORD_1
	v_ashrrev_i32_e32 v178, s21, v178
	v_lshlrev_b32_e32 v180, 2, v180
	v_or_b32_sdwa v182, v182, v183 dst_sel:DWORD dst_unused:UNUSED_PAD src0_sel:BYTE_0 src1_sel:DWORD
	v_or_b32_sdwa v177, v179, v177 dst_sel:WORD_1 dst_unused:UNUSED_PAD src0_sel:BYTE_0 src1_sel:DWORD
	v_and_b32_e32 v179, 0x3030303, v178
	v_bfe_u32 v178, v178, 24, 2
	v_and_b32_e32 v180, 0x4040404, v180
	v_or_b32_sdwa v177, v182, v177 dst_sel:DWORD dst_unused:UNUSED_PAD src0_sel:WORD_0 src1_sel:DWORD
	v_sub_u16_e32 v181, v179, v180
	v_sub_u16_sdwa v182, v179, v180 dst_sel:BYTE_1 dst_unused:UNUSED_PAD src0_sel:BYTE_1 src1_sel:BYTE_1
	v_sub_u16_sdwa v178, v178, v180 dst_sel:BYTE_1 dst_unused:UNUSED_PAD src0_sel:DWORD src1_sel:BYTE_3
	v_sub_u16_sdwa v179, v179, v180 dst_sel:DWORD dst_unused:UNUSED_PAD src0_sel:WORD_1 src1_sel:WORD_1
	v_or_b32_sdwa v181, v181, v182 dst_sel:DWORD dst_unused:UNUSED_PAD src0_sel:BYTE_0 src1_sel:DWORD
	v_or_b32_sdwa v178, v179, v178 dst_sel:WORD_1 dst_unused:UNUSED_PAD src0_sel:BYTE_0 src1_sel:DWORD
	v_add_u32_e32 v179, 0x1088, v203
	v_or_b32_sdwa v178, v181, v178 dst_sel:DWORD dst_unused:UNUSED_PAD src0_sel:WORD_0 src1_sel:DWORD
	ds_read2_b32 v[180:181], v179 offset1:1
	ds_read2_b32 v[182:183], v187 offset0:2 offset1:3
	ds_read2_b32 v[201:202], v216 offset1:1
	v_dot4_i32_i8 v47, v52, v41, v47
	v_add_u32_e32 v48, s20, v133
	s_waitcnt lgkmcnt(2)
	v_ashrrev_i32_e32 v179, s21, v180
	s_waitcnt lgkmcnt(1)
	v_ashrrev_i32_e32 v182, s17, v182
	v_lshlrev_b32_e32 v182, 2, v182
	v_and_b32_e32 v180, 0x3030303, v179
	v_bfe_u32 v179, v179, 24, 2
	v_and_b32_e32 v182, 0x4040404, v182
	v_sub_u16_e32 v184, v180, v182
	v_sub_u16_sdwa v185, v180, v182 dst_sel:BYTE_1 dst_unused:UNUSED_PAD src0_sel:BYTE_1 src1_sel:BYTE_1
	v_sub_u16_sdwa v179, v179, v182 dst_sel:BYTE_1 dst_unused:UNUSED_PAD src0_sel:DWORD src1_sel:BYTE_3
	v_sub_u16_sdwa v180, v180, v182 dst_sel:DWORD dst_unused:UNUSED_PAD src0_sel:WORD_1 src1_sel:WORD_1
	v_or_b32_sdwa v184, v184, v185 dst_sel:DWORD dst_unused:UNUSED_PAD src0_sel:BYTE_0 src1_sel:DWORD
	v_or_b32_sdwa v179, v180, v179 dst_sel:WORD_1 dst_unused:UNUSED_PAD src0_sel:BYTE_0 src1_sel:DWORD
	v_ashrrev_i32_e32 v182, s17, v183
	v_or_b32_sdwa v180, v184, v179 dst_sel:DWORD dst_unused:UNUSED_PAD src0_sel:WORD_0 src1_sel:DWORD
	v_ashrrev_i32_e32 v179, s21, v181
	v_lshlrev_b32_e32 v182, 2, v182
	v_and_b32_e32 v181, 0x3030303, v179
	v_bfe_u32 v179, v179, 24, 2
	v_and_b32_e32 v182, 0x4040404, v182
	v_sub_u16_e32 v183, v181, v182
	v_sub_u16_sdwa v184, v181, v182 dst_sel:BYTE_1 dst_unused:UNUSED_PAD src0_sel:BYTE_1 src1_sel:BYTE_1
	v_sub_u16_sdwa v179, v179, v182 dst_sel:BYTE_1 dst_unused:UNUSED_PAD src0_sel:DWORD src1_sel:BYTE_3
	v_sub_u16_sdwa v181, v181, v182 dst_sel:DWORD dst_unused:UNUSED_PAD src0_sel:WORD_1 src1_sel:WORD_1
	v_or_b32_sdwa v183, v183, v184 dst_sel:DWORD dst_unused:UNUSED_PAD src0_sel:BYTE_0 src1_sel:DWORD
	v_or_b32_sdwa v179, v181, v179 dst_sel:WORD_1 dst_unused:UNUSED_PAD src0_sel:BYTE_0 src1_sel:DWORD
	v_or_b32_sdwa v182, v183, v179 dst_sel:DWORD dst_unused:UNUSED_PAD src0_sel:WORD_0 src1_sel:DWORD
	v_add_u32_e32 v179, 0x1090, v203
	ds_read2_b32 v[183:184], v179 offset1:1
	ds_read2_b32 v[185:186], v187 offset0:4 offset1:5
	s_add_i32 s18, s18, 2
	s_waitcnt lgkmcnt(1)
	v_ashrrev_i32_e32 v179, s21, v183
	s_waitcnt lgkmcnt(0)
	v_ashrrev_i32_e32 v183, s17, v185
	v_lshlrev_b32_e32 v183, 2, v183
	v_and_b32_e32 v181, 0x3030303, v179
	v_bfe_u32 v179, v179, 24, 2
	v_and_b32_e32 v183, 0x4040404, v183
	v_sub_u16_e32 v185, v181, v183
	v_sub_u16_sdwa v188, v181, v183 dst_sel:BYTE_1 dst_unused:UNUSED_PAD src0_sel:BYTE_1 src1_sel:BYTE_1
	v_sub_u16_sdwa v179, v179, v183 dst_sel:BYTE_1 dst_unused:UNUSED_PAD src0_sel:DWORD src1_sel:BYTE_3
	v_sub_u16_sdwa v181, v181, v183 dst_sel:DWORD dst_unused:UNUSED_PAD src0_sel:WORD_1 src1_sel:WORD_1
	v_or_b32_sdwa v185, v185, v188 dst_sel:DWORD dst_unused:UNUSED_PAD src0_sel:BYTE_0 src1_sel:DWORD
	v_or_b32_sdwa v179, v181, v179 dst_sel:WORD_1 dst_unused:UNUSED_PAD src0_sel:BYTE_0 src1_sel:DWORD
	v_ashrrev_i32_e32 v183, s17, v186
	v_or_b32_sdwa v185, v185, v179 dst_sel:DWORD dst_unused:UNUSED_PAD src0_sel:WORD_0 src1_sel:DWORD
	v_ashrrev_i32_e32 v179, s21, v184
	v_lshlrev_b32_e32 v183, 2, v183
	v_and_b32_e32 v181, 0x3030303, v179
	v_bfe_u32 v179, v179, 24, 2
	v_and_b32_e32 v183, 0x4040404, v183
	v_sub_u16_e32 v184, v181, v183
	v_sub_u16_sdwa v186, v181, v183 dst_sel:BYTE_1 dst_unused:UNUSED_PAD src0_sel:BYTE_1 src1_sel:BYTE_1
	v_sub_u16_sdwa v179, v179, v183 dst_sel:BYTE_1 dst_unused:UNUSED_PAD src0_sel:DWORD src1_sel:BYTE_3
	v_sub_u16_sdwa v181, v181, v183 dst_sel:DWORD dst_unused:UNUSED_PAD src0_sel:WORD_1 src1_sel:WORD_1
	v_or_b32_sdwa v184, v184, v186 dst_sel:DWORD dst_unused:UNUSED_PAD src0_sel:BYTE_0 src1_sel:DWORD
	v_or_b32_sdwa v179, v181, v179 dst_sel:WORD_1 dst_unused:UNUSED_PAD src0_sel:BYTE_0 src1_sel:DWORD
	v_or_b32_sdwa v188, v184, v179 dst_sel:DWORD dst_unused:UNUSED_PAD src0_sel:WORD_0 src1_sel:DWORD
	v_add_u32_e32 v179, 0x1098, v203
	ds_read2_b32 v[183:184], v179 offset1:1
	ds_read2_b32 v[186:187], v187 offset0:6 offset1:7
	s_waitcnt lgkmcnt(1)
	v_ashrrev_i32_e32 v179, s21, v183
	s_waitcnt lgkmcnt(0)
	v_ashrrev_i32_e32 v183, s17, v186
	v_lshlrev_b32_e32 v183, 2, v183
	v_and_b32_e32 v181, 0x3030303, v179
	v_bfe_u32 v179, v179, 24, 2
	v_and_b32_e32 v183, 0x4040404, v183
	v_sub_u16_e32 v186, v181, v183
	v_sub_u16_sdwa v189, v181, v183 dst_sel:BYTE_1 dst_unused:UNUSED_PAD src0_sel:BYTE_1 src1_sel:BYTE_1
	v_sub_u16_sdwa v179, v179, v183 dst_sel:BYTE_1 dst_unused:UNUSED_PAD src0_sel:DWORD src1_sel:BYTE_3
	v_sub_u16_sdwa v181, v181, v183 dst_sel:DWORD dst_unused:UNUSED_PAD src0_sel:WORD_1 src1_sel:WORD_1
	v_or_b32_sdwa v186, v186, v189 dst_sel:DWORD dst_unused:UNUSED_PAD src0_sel:BYTE_0 src1_sel:DWORD
	v_or_b32_sdwa v179, v181, v179 dst_sel:WORD_1 dst_unused:UNUSED_PAD src0_sel:BYTE_0 src1_sel:DWORD
	v_ashrrev_i32_e32 v183, s17, v187
	v_or_b32_sdwa v192, v186, v179 dst_sel:DWORD dst_unused:UNUSED_PAD src0_sel:WORD_0 src1_sel:DWORD
	v_ashrrev_i32_e32 v179, s21, v184
	v_lshlrev_b32_e32 v183, 2, v183
	v_and_b32_e32 v181, 0x3030303, v179
	v_bfe_u32 v179, v179, 24, 2
	v_and_b32_e32 v183, 0x4040404, v183
	v_sub_u16_e32 v184, v181, v183
	v_sub_u16_sdwa v186, v181, v183 dst_sel:BYTE_1 dst_unused:UNUSED_PAD src0_sel:BYTE_1 src1_sel:BYTE_1
	v_sub_u16_sdwa v179, v179, v183 dst_sel:BYTE_1 dst_unused:UNUSED_PAD src0_sel:DWORD src1_sel:BYTE_3
	v_sub_u16_sdwa v181, v181, v183 dst_sel:DWORD dst_unused:UNUSED_PAD src0_sel:WORD_1 src1_sel:WORD_1
	v_or_b32_sdwa v179, v181, v179 dst_sel:WORD_1 dst_unused:UNUSED_PAD src0_sel:BYTE_0 src1_sel:DWORD
	v_dot4_i32_i8 v181, v177, v38, 0
	v_dot4_i32_i8 v181, v178, v39, v181
	;; [unrolled: 1-line block ×5, first 2 shown]
	v_or_b32_sdwa v184, v184, v186 dst_sel:DWORD dst_unused:UNUSED_PAD src0_sel:BYTE_0 src1_sel:DWORD
	v_dot4_i32_i8 v181, v188, v35, v181
	v_or_b32_sdwa v195, v184, v179 dst_sel:DWORD dst_unused:UNUSED_PAD src0_sel:WORD_0 src1_sel:DWORD
	v_dot4_i32_i8 v181, v192, v36, v181
	v_add3_u32 v179, s23, v165, v125
	v_dot4_i32_i8 v210, v195, v37, v181
	v_add_u32_e32 v181, 0x2100, v203
	ds_read_b32 v179, v179
	ds_read2_b32 v[183:184], v181 offset1:1
	ds_read2_b32 v[186:187], v197 offset1:1
	s_waitcnt lgkmcnt(1)
	v_ashrrev_i32_e32 v181, s21, v183
	s_waitcnt lgkmcnt(0)
	v_ashrrev_i32_e32 v186, s17, v186
	v_lshlrev_b32_e32 v186, 2, v186
	v_and_b32_e32 v183, 0x3030303, v181
	v_bfe_u32 v181, v181, 24, 2
	v_and_b32_e32 v186, 0x4040404, v186
	v_sub_u16_e32 v189, v183, v186
	v_sub_u16_sdwa v190, v183, v186 dst_sel:BYTE_1 dst_unused:UNUSED_PAD src0_sel:BYTE_1 src1_sel:BYTE_1
	v_sub_u16_sdwa v181, v181, v186 dst_sel:BYTE_1 dst_unused:UNUSED_PAD src0_sel:DWORD src1_sel:BYTE_3
	v_sub_u16_sdwa v183, v183, v186 dst_sel:DWORD dst_unused:UNUSED_PAD src0_sel:WORD_1 src1_sel:WORD_1
	v_ashrrev_i32_e32 v186, s17, v187
	v_or_b32_sdwa v181, v183, v181 dst_sel:WORD_1 dst_unused:UNUSED_PAD src0_sel:BYTE_0 src1_sel:DWORD
	v_ashrrev_i32_e32 v183, s21, v184
	v_lshlrev_b32_e32 v186, 2, v186
	v_or_b32_sdwa v189, v189, v190 dst_sel:DWORD dst_unused:UNUSED_PAD src0_sel:BYTE_0 src1_sel:DWORD
	v_and_b32_e32 v184, 0x3030303, v183
	v_bfe_u32 v183, v183, 24, 2
	v_and_b32_e32 v186, 0x4040404, v186
	v_or_b32_sdwa v181, v189, v181 dst_sel:DWORD dst_unused:UNUSED_PAD src0_sel:WORD_0 src1_sel:DWORD
	v_sub_u16_e32 v187, v184, v186
	v_sub_u16_sdwa v189, v184, v186 dst_sel:BYTE_1 dst_unused:UNUSED_PAD src0_sel:BYTE_1 src1_sel:BYTE_1
	v_sub_u16_sdwa v183, v183, v186 dst_sel:BYTE_1 dst_unused:UNUSED_PAD src0_sel:DWORD src1_sel:BYTE_3
	v_sub_u16_sdwa v184, v184, v186 dst_sel:DWORD dst_unused:UNUSED_PAD src0_sel:WORD_1 src1_sel:WORD_1
	v_or_b32_sdwa v187, v187, v189 dst_sel:DWORD dst_unused:UNUSED_PAD src0_sel:BYTE_0 src1_sel:DWORD
	v_or_b32_sdwa v183, v184, v183 dst_sel:WORD_1 dst_unused:UNUSED_PAD src0_sel:BYTE_0 src1_sel:DWORD
	v_add_u32_e32 v184, 0x2108, v203
	v_or_b32_sdwa v183, v187, v183 dst_sel:DWORD dst_unused:UNUSED_PAD src0_sel:WORD_0 src1_sel:DWORD
	ds_read2_b32 v[186:187], v184 offset1:1
	ds_read2_b32 v[189:190], v197 offset0:2 offset1:3
	s_waitcnt lgkmcnt(1)
	v_ashrrev_i32_e32 v184, s21, v186
	s_waitcnt lgkmcnt(0)
	v_ashrrev_i32_e32 v189, s17, v189
	v_lshlrev_b32_e32 v189, 2, v189
	v_and_b32_e32 v186, 0x3030303, v184
	v_bfe_u32 v184, v184, 24, 2
	v_and_b32_e32 v189, 0x4040404, v189
	v_sub_u16_e32 v191, v186, v189
	v_sub_u16_sdwa v193, v186, v189 dst_sel:BYTE_1 dst_unused:UNUSED_PAD src0_sel:BYTE_1 src1_sel:BYTE_1
	v_sub_u16_sdwa v184, v184, v189 dst_sel:BYTE_1 dst_unused:UNUSED_PAD src0_sel:DWORD src1_sel:BYTE_3
	v_sub_u16_sdwa v186, v186, v189 dst_sel:DWORD dst_unused:UNUSED_PAD src0_sel:WORD_1 src1_sel:WORD_1
	v_or_b32_sdwa v191, v191, v193 dst_sel:DWORD dst_unused:UNUSED_PAD src0_sel:BYTE_0 src1_sel:DWORD
	v_or_b32_sdwa v184, v186, v184 dst_sel:WORD_1 dst_unused:UNUSED_PAD src0_sel:BYTE_0 src1_sel:DWORD
	v_ashrrev_i32_e32 v189, s17, v190
	v_or_b32_sdwa v186, v191, v184 dst_sel:DWORD dst_unused:UNUSED_PAD src0_sel:WORD_0 src1_sel:DWORD
	v_ashrrev_i32_e32 v184, s21, v187
	v_lshlrev_b32_e32 v189, 2, v189
	v_and_b32_e32 v187, 0x3030303, v184
	v_bfe_u32 v184, v184, 24, 2
	v_and_b32_e32 v189, 0x4040404, v189
	v_sub_u16_e32 v190, v187, v189
	v_sub_u16_sdwa v191, v187, v189 dst_sel:BYTE_1 dst_unused:UNUSED_PAD src0_sel:BYTE_1 src1_sel:BYTE_1
	v_sub_u16_sdwa v184, v184, v189 dst_sel:BYTE_1 dst_unused:UNUSED_PAD src0_sel:DWORD src1_sel:BYTE_3
	v_sub_u16_sdwa v187, v187, v189 dst_sel:DWORD dst_unused:UNUSED_PAD src0_sel:WORD_1 src1_sel:WORD_1
	v_or_b32_sdwa v190, v190, v191 dst_sel:DWORD dst_unused:UNUSED_PAD src0_sel:BYTE_0 src1_sel:DWORD
	v_or_b32_sdwa v184, v187, v184 dst_sel:WORD_1 dst_unused:UNUSED_PAD src0_sel:BYTE_0 src1_sel:DWORD
	v_or_b32_sdwa v189, v190, v184 dst_sel:DWORD dst_unused:UNUSED_PAD src0_sel:WORD_0 src1_sel:DWORD
	v_add_u32_e32 v184, 0x2110, v203
	ds_read2_b32 v[190:191], v184 offset1:1
	ds_read2_b32 v[193:194], v197 offset0:4 offset1:5
	s_waitcnt lgkmcnt(1)
	v_ashrrev_i32_e32 v184, s21, v190
	s_waitcnt lgkmcnt(0)
	v_ashrrev_i32_e32 v190, s17, v193
	v_lshlrev_b32_e32 v190, 2, v190
	v_and_b32_e32 v187, 0x3030303, v184
	v_bfe_u32 v184, v184, 24, 2
	v_and_b32_e32 v190, 0x4040404, v190
	v_sub_u16_e32 v193, v187, v190
	v_sub_u16_sdwa v196, v187, v190 dst_sel:BYTE_1 dst_unused:UNUSED_PAD src0_sel:BYTE_1 src1_sel:BYTE_1
	v_sub_u16_sdwa v184, v184, v190 dst_sel:BYTE_1 dst_unused:UNUSED_PAD src0_sel:DWORD src1_sel:BYTE_3
	v_sub_u16_sdwa v187, v187, v190 dst_sel:DWORD dst_unused:UNUSED_PAD src0_sel:WORD_1 src1_sel:WORD_1
	v_or_b32_sdwa v193, v193, v196 dst_sel:DWORD dst_unused:UNUSED_PAD src0_sel:BYTE_0 src1_sel:DWORD
	v_or_b32_sdwa v184, v187, v184 dst_sel:WORD_1 dst_unused:UNUSED_PAD src0_sel:BYTE_0 src1_sel:DWORD
	v_ashrrev_i32_e32 v190, s17, v194
	v_or_b32_sdwa v193, v193, v184 dst_sel:DWORD dst_unused:UNUSED_PAD src0_sel:WORD_0 src1_sel:DWORD
	v_ashrrev_i32_e32 v184, s21, v191
	v_lshlrev_b32_e32 v190, 2, v190
	v_and_b32_e32 v187, 0x3030303, v184
	v_bfe_u32 v184, v184, 24, 2
	v_and_b32_e32 v190, 0x4040404, v190
	v_sub_u16_e32 v191, v187, v190
	v_sub_u16_sdwa v194, v187, v190 dst_sel:BYTE_1 dst_unused:UNUSED_PAD src0_sel:BYTE_1 src1_sel:BYTE_1
	v_sub_u16_sdwa v184, v184, v190 dst_sel:BYTE_1 dst_unused:UNUSED_PAD src0_sel:DWORD src1_sel:BYTE_3
	v_sub_u16_sdwa v187, v187, v190 dst_sel:DWORD dst_unused:UNUSED_PAD src0_sel:WORD_1 src1_sel:WORD_1
	v_or_b32_sdwa v191, v191, v194 dst_sel:DWORD dst_unused:UNUSED_PAD src0_sel:BYTE_0 src1_sel:DWORD
	v_or_b32_sdwa v184, v187, v184 dst_sel:WORD_1 dst_unused:UNUSED_PAD src0_sel:BYTE_0 src1_sel:DWORD
	v_or_b32_sdwa v196, v191, v184 dst_sel:DWORD dst_unused:UNUSED_PAD src0_sel:WORD_0 src1_sel:DWORD
	v_add_u32_e32 v184, 0x2118, v203
	ds_read2_b32 v[190:191], v184 offset1:1
	s_waitcnt lgkmcnt(0)
	v_ashrrev_i32_e32 v184, s21, v190
	v_ashrrev_i32_e32 v190, s17, v198
	v_lshlrev_b32_e32 v190, 2, v190
	v_and_b32_e32 v187, 0x3030303, v184
	v_bfe_u32 v184, v184, 24, 2
	v_and_b32_e32 v190, 0x4040404, v190
	v_sub_u16_e32 v194, v187, v190
	v_sub_u16_sdwa v197, v187, v190 dst_sel:BYTE_1 dst_unused:UNUSED_PAD src0_sel:BYTE_1 src1_sel:BYTE_1
	v_sub_u16_sdwa v184, v184, v190 dst_sel:BYTE_1 dst_unused:UNUSED_PAD src0_sel:DWORD src1_sel:BYTE_3
	v_sub_u16_sdwa v187, v187, v190 dst_sel:DWORD dst_unused:UNUSED_PAD src0_sel:WORD_1 src1_sel:WORD_1
	v_or_b32_sdwa v194, v194, v197 dst_sel:DWORD dst_unused:UNUSED_PAD src0_sel:BYTE_0 src1_sel:DWORD
	v_or_b32_sdwa v184, v187, v184 dst_sel:WORD_1 dst_unused:UNUSED_PAD src0_sel:BYTE_0 src1_sel:DWORD
	v_ashrrev_i32_e32 v190, s17, v199
	v_or_b32_sdwa v198, v194, v184 dst_sel:DWORD dst_unused:UNUSED_PAD src0_sel:WORD_0 src1_sel:DWORD
	v_ashrrev_i32_e32 v184, s21, v191
	v_lshlrev_b32_e32 v190, 2, v190
	v_and_b32_e32 v187, 0x3030303, v184
	v_bfe_u32 v184, v184, 24, 2
	v_and_b32_e32 v190, 0x4040404, v190
	v_sub_u16_e32 v191, v187, v190
	v_sub_u16_sdwa v194, v187, v190 dst_sel:BYTE_1 dst_unused:UNUSED_PAD src0_sel:BYTE_1 src1_sel:BYTE_1
	v_sub_u16_sdwa v184, v184, v190 dst_sel:BYTE_1 dst_unused:UNUSED_PAD src0_sel:DWORD src1_sel:BYTE_3
	v_sub_u16_sdwa v187, v187, v190 dst_sel:DWORD dst_unused:UNUSED_PAD src0_sel:WORD_1 src1_sel:WORD_1
	v_or_b32_sdwa v184, v187, v184 dst_sel:WORD_1 dst_unused:UNUSED_PAD src0_sel:BYTE_0 src1_sel:DWORD
	v_dot4_i32_i8 v187, v181, v38, 0
	v_dot4_i32_i8 v187, v183, v39, v187
	;; [unrolled: 1-line block ×5, first 2 shown]
	v_or_b32_sdwa v191, v191, v194 dst_sel:DWORD dst_unused:UNUSED_PAD src0_sel:BYTE_0 src1_sel:DWORD
	v_dot4_i32_i8 v187, v196, v35, v187
	v_or_b32_sdwa v200, v191, v184 dst_sel:DWORD dst_unused:UNUSED_PAD src0_sel:WORD_0 src1_sel:DWORD
	v_dot4_i32_i8 v187, v198, v36, v187
	v_add3_u32 v184, s23, v167, v127
	v_dot4_i32_i8 v213, v200, v37, v187
	v_add_u32_e32 v187, 0x3180, v203
	ds_read_b32 v184, v184
	ds_read2_b32 v[190:191], v187 offset1:1
	v_ashrrev_i32_e32 v194, s17, v201
	v_lshlrev_b32_e32 v194, 2, v194
	v_and_b32_e32 v194, 0x4040404, v194
	s_waitcnt lgkmcnt(0)
	v_ashrrev_i32_e32 v187, s21, v190
	v_and_b32_e32 v190, 0x3030303, v187
	v_bfe_u32 v187, v187, 24, 2
	v_sub_u16_e32 v197, v190, v194
	v_sub_u16_sdwa v199, v190, v194 dst_sel:BYTE_1 dst_unused:UNUSED_PAD src0_sel:BYTE_1 src1_sel:BYTE_1
	v_sub_u16_sdwa v187, v187, v194 dst_sel:BYTE_1 dst_unused:UNUSED_PAD src0_sel:DWORD src1_sel:BYTE_3
	v_sub_u16_sdwa v190, v190, v194 dst_sel:DWORD dst_unused:UNUSED_PAD src0_sel:WORD_1 src1_sel:WORD_1
	v_ashrrev_i32_e32 v194, s17, v202
	v_or_b32_sdwa v187, v190, v187 dst_sel:WORD_1 dst_unused:UNUSED_PAD src0_sel:BYTE_0 src1_sel:DWORD
	v_ashrrev_i32_e32 v190, s21, v191
	v_lshlrev_b32_e32 v194, 2, v194
	v_or_b32_sdwa v197, v197, v199 dst_sel:DWORD dst_unused:UNUSED_PAD src0_sel:BYTE_0 src1_sel:DWORD
	v_and_b32_e32 v191, 0x3030303, v190
	v_bfe_u32 v190, v190, 24, 2
	v_and_b32_e32 v194, 0x4040404, v194
	v_or_b32_sdwa v187, v197, v187 dst_sel:DWORD dst_unused:UNUSED_PAD src0_sel:WORD_0 src1_sel:DWORD
	v_sub_u16_e32 v197, v191, v194
	v_sub_u16_sdwa v199, v191, v194 dst_sel:BYTE_1 dst_unused:UNUSED_PAD src0_sel:BYTE_1 src1_sel:BYTE_1
	v_sub_u16_sdwa v190, v190, v194 dst_sel:BYTE_1 dst_unused:UNUSED_PAD src0_sel:DWORD src1_sel:BYTE_3
	v_sub_u16_sdwa v191, v191, v194 dst_sel:DWORD dst_unused:UNUSED_PAD src0_sel:WORD_1 src1_sel:WORD_1
	v_or_b32_sdwa v190, v191, v190 dst_sel:WORD_1 dst_unused:UNUSED_PAD src0_sel:BYTE_0 src1_sel:DWORD
	v_add_u32_e32 v191, 0x3188, v203
	ds_read2_b32 v[201:202], v191 offset1:1
	v_or_b32_sdwa v197, v197, v199 dst_sel:DWORD dst_unused:UNUSED_PAD src0_sel:BYTE_0 src1_sel:DWORD
	v_or_b32_sdwa v190, v197, v190 dst_sel:DWORD dst_unused:UNUSED_PAD src0_sel:WORD_0 src1_sel:DWORD
	v_ashrrev_i32_e32 v197, s17, v214
	v_lshlrev_b32_e32 v197, 2, v197
	s_waitcnt lgkmcnt(0)
	v_ashrrev_i32_e32 v191, s21, v201
	v_and_b32_e32 v194, 0x3030303, v191
	v_bfe_u32 v191, v191, 24, 2
	v_and_b32_e32 v197, 0x4040404, v197
	v_sub_u16_e32 v199, v194, v197
	v_sub_u16_sdwa v201, v194, v197 dst_sel:BYTE_1 dst_unused:UNUSED_PAD src0_sel:BYTE_1 src1_sel:BYTE_1
	v_sub_u16_sdwa v191, v191, v197 dst_sel:BYTE_1 dst_unused:UNUSED_PAD src0_sel:DWORD src1_sel:BYTE_3
	v_sub_u16_sdwa v194, v194, v197 dst_sel:DWORD dst_unused:UNUSED_PAD src0_sel:WORD_1 src1_sel:WORD_1
	v_or_b32_sdwa v199, v199, v201 dst_sel:DWORD dst_unused:UNUSED_PAD src0_sel:BYTE_0 src1_sel:DWORD
	v_or_b32_sdwa v191, v194, v191 dst_sel:WORD_1 dst_unused:UNUSED_PAD src0_sel:BYTE_0 src1_sel:DWORD
	v_or_b32_sdwa v194, v199, v191 dst_sel:DWORD dst_unused:UNUSED_PAD src0_sel:WORD_0 src1_sel:DWORD
	v_ashrrev_i32_e32 v199, s17, v215
	v_ashrrev_i32_e32 v191, s21, v202
	v_lshlrev_b32_e32 v199, 2, v199
	v_and_b32_e32 v197, 0x3030303, v191
	v_bfe_u32 v191, v191, 24, 2
	v_and_b32_e32 v199, 0x4040404, v199
	v_sub_u16_e32 v201, v197, v199
	v_sub_u16_sdwa v202, v197, v199 dst_sel:BYTE_1 dst_unused:UNUSED_PAD src0_sel:BYTE_1 src1_sel:BYTE_1
	v_sub_u16_sdwa v191, v191, v199 dst_sel:BYTE_1 dst_unused:UNUSED_PAD src0_sel:DWORD src1_sel:BYTE_3
	v_sub_u16_sdwa v197, v197, v199 dst_sel:DWORD dst_unused:UNUSED_PAD src0_sel:WORD_1 src1_sel:WORD_1
	v_or_b32_sdwa v201, v201, v202 dst_sel:DWORD dst_unused:UNUSED_PAD src0_sel:BYTE_0 src1_sel:DWORD
	v_or_b32_sdwa v191, v197, v191 dst_sel:WORD_1 dst_unused:UNUSED_PAD src0_sel:BYTE_0 src1_sel:DWORD
	v_or_b32_sdwa v197, v201, v191 dst_sel:DWORD dst_unused:UNUSED_PAD src0_sel:WORD_0 src1_sel:DWORD
	v_add_u32_e32 v191, 0x3190, v203
	ds_read2_b32 v[201:202], v191 offset1:1
	ds_read2_b32 v[214:215], v216 offset0:4 offset1:5
	v_dot4_i32_i8 v38, v187, v38, 0
	v_dot4_i32_i8 v38, v190, v39, v38
	;; [unrolled: 1-line block ×3, first 2 shown]
	s_waitcnt lgkmcnt(1)
	v_ashrrev_i32_e32 v191, s21, v201
	s_waitcnt lgkmcnt(0)
	v_ashrrev_i32_e32 v201, s17, v214
	v_lshlrev_b32_e32 v201, 2, v201
	v_and_b32_e32 v199, 0x3030303, v191
	v_bfe_u32 v191, v191, 24, 2
	v_and_b32_e32 v201, 0x4040404, v201
	v_sub_u16_e32 v214, v199, v201
	v_sub_u16_sdwa v217, v199, v201 dst_sel:BYTE_1 dst_unused:UNUSED_PAD src0_sel:BYTE_1 src1_sel:BYTE_1
	v_sub_u16_sdwa v191, v191, v201 dst_sel:BYTE_1 dst_unused:UNUSED_PAD src0_sel:DWORD src1_sel:BYTE_3
	v_sub_u16_sdwa v199, v199, v201 dst_sel:DWORD dst_unused:UNUSED_PAD src0_sel:WORD_1 src1_sel:WORD_1
	v_or_b32_sdwa v214, v214, v217 dst_sel:DWORD dst_unused:UNUSED_PAD src0_sel:BYTE_0 src1_sel:DWORD
	v_or_b32_sdwa v191, v199, v191 dst_sel:WORD_1 dst_unused:UNUSED_PAD src0_sel:BYTE_0 src1_sel:DWORD
	v_or_b32_sdwa v199, v214, v191 dst_sel:DWORD dst_unused:UNUSED_PAD src0_sel:WORD_0 src1_sel:DWORD
	v_ashrrev_i32_e32 v191, s21, v202
	v_ashrrev_i32_e32 v202, s17, v215
	v_lshlrev_b32_e32 v202, 2, v202
	v_and_b32_e32 v201, 0x3030303, v191
	v_bfe_u32 v191, v191, 24, 2
	v_and_b32_e32 v202, 0x4040404, v202
	v_sub_u16_e32 v214, v201, v202
	v_sub_u16_sdwa v215, v201, v202 dst_sel:BYTE_1 dst_unused:UNUSED_PAD src0_sel:BYTE_1 src1_sel:BYTE_1
	v_sub_u16_sdwa v191, v191, v202 dst_sel:BYTE_1 dst_unused:UNUSED_PAD src0_sel:DWORD src1_sel:BYTE_3
	v_sub_u16_sdwa v201, v201, v202 dst_sel:DWORD dst_unused:UNUSED_PAD src0_sel:WORD_1 src1_sel:WORD_1
	v_or_b32_sdwa v214, v214, v215 dst_sel:DWORD dst_unused:UNUSED_PAD src0_sel:BYTE_0 src1_sel:DWORD
	v_or_b32_sdwa v191, v201, v191 dst_sel:WORD_1 dst_unused:UNUSED_PAD src0_sel:BYTE_0 src1_sel:DWORD
	v_or_b32_sdwa v201, v214, v191 dst_sel:DWORD dst_unused:UNUSED_PAD src0_sel:WORD_0 src1_sel:DWORD
	v_add_u32_e32 v191, 0x3198, v203
	ds_read2_b32 v[202:203], v191 offset1:1
	ds_read2_b32 v[214:215], v216 offset0:6 offset1:7
	v_dot4_i32_i8 v34, v199, v34, 0
	v_dot4_i32_i8 v34, v201, v35, v34
	;; [unrolled: 1-line block ×3, first 2 shown]
	s_waitcnt lgkmcnt(1)
	v_ashrrev_i32_e32 v191, s21, v202
	s_waitcnt lgkmcnt(0)
	v_ashrrev_i32_e32 v214, s17, v214
	v_lshlrev_b32_e32 v214, 2, v214
	v_and_b32_e32 v202, 0x3030303, v191
	v_bfe_u32 v191, v191, 24, 2
	v_and_b32_e32 v214, 0x4040404, v214
	v_sub_u16_e32 v216, v202, v214
	v_sub_u16_sdwa v217, v202, v214 dst_sel:BYTE_1 dst_unused:UNUSED_PAD src0_sel:BYTE_1 src1_sel:BYTE_1
	v_sub_u16_sdwa v191, v191, v214 dst_sel:BYTE_1 dst_unused:UNUSED_PAD src0_sel:DWORD src1_sel:BYTE_3
	v_sub_u16_sdwa v202, v202, v214 dst_sel:DWORD dst_unused:UNUSED_PAD src0_sel:WORD_1 src1_sel:WORD_1
	v_or_b32_sdwa v216, v216, v217 dst_sel:DWORD dst_unused:UNUSED_PAD src0_sel:BYTE_0 src1_sel:DWORD
	v_or_b32_sdwa v191, v202, v191 dst_sel:WORD_1 dst_unused:UNUSED_PAD src0_sel:BYTE_0 src1_sel:DWORD
	v_ashrrev_i32_e32 v214, s17, v215
	v_or_b32_sdwa v202, v216, v191 dst_sel:DWORD dst_unused:UNUSED_PAD src0_sel:WORD_0 src1_sel:DWORD
	v_ashrrev_i32_e32 v191, s21, v203
	v_lshlrev_b32_e32 v214, 2, v214
	v_and_b32_e32 v203, 0x3030303, v191
	v_bfe_u32 v191, v191, 24, 2
	v_and_b32_e32 v214, 0x4040404, v214
	v_sub_u16_e32 v215, v203, v214
	v_sub_u16_sdwa v216, v203, v214 dst_sel:BYTE_1 dst_unused:UNUSED_PAD src0_sel:BYTE_1 src1_sel:BYTE_1
	v_sub_u16_sdwa v191, v191, v214 dst_sel:BYTE_1 dst_unused:UNUSED_PAD src0_sel:DWORD src1_sel:BYTE_3
	v_sub_u16_sdwa v203, v203, v214 dst_sel:DWORD dst_unused:UNUSED_PAD src0_sel:WORD_1 src1_sel:WORD_1
	v_or_b32_sdwa v215, v215, v216 dst_sel:DWORD dst_unused:UNUSED_PAD src0_sel:BYTE_0 src1_sel:DWORD
	v_or_b32_sdwa v191, v203, v191 dst_sel:WORD_1 dst_unused:UNUSED_PAD src0_sel:BYTE_0 src1_sel:DWORD
	v_or_b32_sdwa v203, v215, v191 dst_sel:DWORD dst_unused:UNUSED_PAD src0_sel:WORD_0 src1_sel:DWORD
	v_add3_u32 v191, s23, v169, v129
	ds_read_b32 v191, v191
	ds_read_b128 v[215:218], v174 offset:1024
	ds_read_b128 v[219:222], v174 offset:1040
	v_dot4_i32_i8 v34, v202, v36, v34
	v_dot4_i32_i8 v34, v203, v37, v34
	v_add_u32_e32 v214, s20, v139
	s_waitcnt lgkmcnt(1)
	v_dot4_i32_i8 v35, v49, v215, 0
	v_dot4_i32_i8 v35, v50, v216, v35
	;; [unrolled: 1-line block ×4, first 2 shown]
	s_waitcnt lgkmcnt(0)
	v_dot4_i32_i8 v35, v53, v219, 0
	v_dot4_i32_i8 v35, v204, v220, v35
	;; [unrolled: 1-line block ×28, first 2 shown]
	ds_read2_b32 v[35:36], v175 offset0:64 offset1:96
	ds_read_b128 v[215:218], v174 offset:2048
	ds_read_b128 v[219:222], v174 offset:2064
	s_add_i32 s17, s17, 1
	s_cmp_lt_u32 s19, 14
	s_waitcnt lgkmcnt(1)
	v_dot4_i32_i8 v39, v49, v215, 0
	v_dot4_i32_i8 v39, v50, v216, v39
	;; [unrolled: 1-line block ×4, first 2 shown]
	s_waitcnt lgkmcnt(0)
	v_dot4_i32_i8 v39, v53, v219, 0
	v_dot4_i32_i8 v39, v204, v220, v39
	;; [unrolled: 1-line block ×28, first 2 shown]
	ds_read_b128 v[217:220], v174 offset:3072
	ds_read_b128 v[221:224], v174 offset:3088
	s_waitcnt lgkmcnt(1)
	v_dot4_i32_i8 v39, v49, v217, 0
	v_dot4_i32_i8 v39, v50, v218, v39
	;; [unrolled: 1-line block ×4, first 2 shown]
	s_waitcnt lgkmcnt(0)
	v_dot4_i32_i8 v39, v53, v221, 0
	v_dot4_i32_i8 v39, v204, v222, v39
	;; [unrolled: 1-line block ×4, first 2 shown]
	ds_read_u16 v39, v48 offset:33538
	s_waitcnt lgkmcnt(0)
	v_lshrrev_b16_e32 v48, 8, v39
	v_bfe_i32 v227, v48, 0, 8
	v_bfe_i32 v228, v39, 0, 8
	v_mul_lo_u32 v37, v37, v228
	v_mul_lo_u32 v41, v41, v227
	;; [unrolled: 1-line block ×4, first 2 shown]
	v_mad_u64_u32 v[215:216], s[20:21], v226, v228, v[41:42]
	v_mad_u64_u32 v[225:226], s[20:21], v225, v227, v[37:38]
                                        ; kill: def $vgpr41 killed $sgpr0 killed $exec
	v_mul_f32_e32 v37, v176, v46
	v_mad_u64_u32 v[40:41], s[20:21], v241, v227, v[40:41]
	v_cvt_f32_i32_e32 v207, v225
	v_mul_f32_e32 v41, v176, v36
	v_mad_u64_u32 v[47:48], s[20:21], v47, v228, v[39:40]
	v_cvt_f32_i32_e32 v40, v40
	v_fmac_f32_e32 v18, v37, v207
	v_dot4_i32_i8 v37, v177, v217, 0
	v_dot4_i32_i8 v37, v178, v218, v37
	;; [unrolled: 1-line block ×3, first 2 shown]
	v_fma_f32 v20, v41, v40, v20
	v_dot4_i32_i8 v40, v182, v220, v37
	v_dot4_i32_i8 v37, v185, v221, 0
	;; [unrolled: 1-line block ×5, first 2 shown]
	ds_read_u16 v37, v209 offset:34562
	v_cvt_f32_i32_e32 v47, v47
	v_cvt_f32_i32_e32 v215, v215
	v_mul_f32_e32 v39, v176, v45
	v_mul_f32_e32 v48, v176, v35
	v_fma_f32 v19, v39, v47, v19
	s_waitcnt lgkmcnt(0)
	v_lshrrev_b16_e32 v39, 8, v37
	v_fma_f32 v21, v48, v215, v21
	v_bfe_i32 v215, v39, 0, 8
	v_bfe_i32 v216, v37, 0, 8
	v_mul_lo_u32 v41, v236, v215
	v_mul_lo_u32 v40, v40, v216
	v_mul_lo_u32 v39, v210, v215
	v_mul_lo_u32 v37, v229, v216
	v_mad_u64_u32 v[47:48], s[20:21], v235, v216, v[41:42]
                                        ; kill: def $vgpr41 killed $sgpr0 killed $exec
	v_mul_f32_e32 v48, v179, v35
	v_mad_u64_u32 v[40:41], s[20:21], v207, v215, v[40:41]
	v_mul_f32_e32 v41, v179, v36
	v_cvt_f32_i32_e32 v47, v47
	v_mad_u64_u32 v[207:208], s[20:21], v208, v216, v[39:40]
	v_mad_u64_u32 v[208:209], s[20:21], v230, v215, v[37:38]
	v_mul_f32_e32 v37, v179, v46
	v_cvt_f32_i32_e32 v40, v40
	v_cvt_f32_i32_e32 v208, v208
	;; [unrolled: 1-line block ×3, first 2 shown]
	v_mul_f32_e32 v39, v179, v45
	v_fma_f32 v32, v41, v40, v32
	v_fmac_f32_e32 v30, v37, v208
	v_dot4_i32_i8 v37, v181, v217, 0
	v_dot4_i32_i8 v37, v183, v218, v37
	;; [unrolled: 1-line block ×7, first 2 shown]
	v_fma_f32 v31, v39, v207, v31
	v_dot4_i32_i8 v207, v200, v224, v37
	ds_read_u16 v37, v212 offset:35586
	v_fma_f32 v33, v48, v47, v33
	s_waitcnt lgkmcnt(0)
	v_lshrrev_b16_e32 v39, 8, v37
	v_bfe_i32 v209, v39, 0, 8
	v_bfe_i32 v210, v37, 0, 8
	v_mul_lo_u32 v41, v238, v209
	v_mul_lo_u32 v40, v40, v210
	;; [unrolled: 1-line block ×4, first 2 shown]
	v_mad_u64_u32 v[47:48], s[20:21], v237, v210, v[41:42]
                                        ; kill: def $vgpr41 killed $sgpr0 killed $exec
	v_mul_f32_e32 v48, v184, v35
	v_mad_u64_u32 v[40:41], s[20:21], v207, v209, v[40:41]
	v_cvt_f32_i32_e32 v47, v47
	v_mul_f32_e32 v41, v184, v36
	v_mad_u64_u32 v[207:208], s[20:21], v211, v210, v[39:40]
	v_mad_u64_u32 v[211:212], s[20:21], v232, v209, v[37:38]
	v_mul_f32_e32 v37, v184, v46
	v_cvt_f32_i32_e32 v207, v207
	v_cvt_f32_i32_e32 v208, v211
	v_mul_f32_e32 v39, v184, v45
	v_fma_f32 v29, v48, v47, v29
	v_fma_f32 v27, v39, v207, v27
	v_fmac_f32_e32 v26, v37, v208
	v_dot4_i32_i8 v37, v187, v217, 0
	v_dot4_i32_i8 v37, v190, v218, v37
	;; [unrolled: 1-line block ×8, first 2 shown]
	ds_read_u16 v37, v214 offset:36610
	v_cvt_f32_i32_e32 v40, v40
	v_mul_f32_e32 v36, v191, v36
	v_fma_f32 v28, v41, v40, v28
	s_waitcnt lgkmcnt(0)
	v_lshrrev_b16_e32 v40, 8, v37
	v_bfe_i32 v207, v40, 0, 8
	v_mul_lo_u32 v40, v240, v207
	v_bfe_i32 v208, v37, 0, 8
                                        ; kill: def $vgpr41 killed $sgpr0 killed $exec
	v_mul_lo_u32 v34, v34, v207
	v_mul_lo_u32 v39, v39, v208
	v_mad_u64_u32 v[40:41], s[20:21], v239, v208, v[40:41]
	v_mul_lo_u32 v37, v233, v208
	v_mad_u64_u32 v[47:48], s[20:21], v47, v207, v[39:40]
	v_mad_u64_u32 v[38:39], s[20:21], v38, v208, v[34:35]
	v_cvt_f32_i32_e32 v41, v47
	v_cvt_f32_i32_e32 v40, v40
	v_mad_u64_u32 v[211:212], s[20:21], v234, v207, v[37:38]
	v_cvt_f32_i32_e32 v38, v38
	v_mul_f32_e32 v34, v191, v46
	v_cvt_f32_i32_e32 v39, v211
	v_mul_f32_e32 v37, v191, v45
	v_mul_f32_e32 v35, v191, v35
	v_fma_f32 v25, v35, v40, v25
	v_fma_f32 v24, v36, v41, v24
	;; [unrolled: 1-line block ×3, first 2 shown]
	v_fmac_f32_e32 v22, v34, v39
	ds_read2_b32 v[45:46], v175 offset0:128 offset1:160
	ds_read_b128 v[34:37], v174 offset:4096
	ds_read_b128 v[38:41], v174 offset:4112
	s_waitcnt lgkmcnt(1)
	v_dot4_i32_i8 v47, v49, v34, 0
	v_dot4_i32_i8 v47, v50, v35, v47
	;; [unrolled: 1-line block ×4, first 2 shown]
	s_waitcnt lgkmcnt(0)
	v_dot4_i32_i8 v47, v53, v38, 0
	v_dot4_i32_i8 v47, v204, v39, v47
	;; [unrolled: 1-line block ×28, first 2 shown]
	ds_read_b128 v[34:37], v174 offset:5120
	ds_read_b128 v[38:41], v174 offset:5136
	s_waitcnt lgkmcnt(1)
	v_dot4_i32_i8 v47, v49, v34, 0
	v_dot4_i32_i8 v47, v50, v35, v47
	;; [unrolled: 1-line block ×4, first 2 shown]
	s_waitcnt lgkmcnt(0)
	v_dot4_i32_i8 v47, v53, v38, 0
	v_dot4_i32_i8 v47, v204, v39, v47
	;; [unrolled: 1-line block ×28, first 2 shown]
	ds_read2_b32 v[47:48], v175 offset0:192 offset1:224
	ds_read_b128 v[34:37], v174 offset:6144
	ds_read_b128 v[38:41], v174 offset:6160
	v_add_u32_e32 v175, 4, v175
	s_waitcnt lgkmcnt(1)
	v_dot4_i32_i8 v223, v49, v34, 0
	v_dot4_i32_i8 v223, v50, v35, v223
	;; [unrolled: 1-line block ×4, first 2 shown]
	s_waitcnt lgkmcnt(0)
	v_dot4_i32_i8 v223, v53, v38, 0
	v_dot4_i32_i8 v223, v204, v39, v223
	;; [unrolled: 1-line block ×28, first 2 shown]
	ds_read_b128 v[38:41], v174 offset:7168
	ds_read_b128 v[34:37], v174 offset:7184
	v_add_u32_e32 v174, 32, v174
	s_waitcnt lgkmcnt(1)
	v_dot4_i32_i8 v49, v49, v38, 0
	v_dot4_i32_i8 v49, v50, v39, v49
	;; [unrolled: 1-line block ×4, first 2 shown]
	s_waitcnt lgkmcnt(0)
	v_dot4_i32_i8 v50, v53, v34, 0
	v_mul_lo_u32 v51, v49, v228
	v_mul_lo_u32 v49, v238, v227
	v_dot4_i32_i8 v50, v204, v35, v50
	v_mul_lo_u32 v52, v234, v227
	v_dot4_i32_i8 v50, v205, v36, v50
	;; [unrolled: 2-line block ×3, first 2 shown]
                                        ; kill: def $vgpr50 killed $sgpr0 killed $exec
	v_mul_f32_e32 v205, v176, v48
	v_mad_u64_u32 v[49:50], s[20:21], v237, v228, v[49:50]
	v_mad_u64_u32 v[50:51], s[20:21], v204, v227, v[51:52]
	;; [unrolled: 1-line block ×4, first 2 shown]
	v_cvt_f32_i32_e32 v49, v49
	v_mul_f32_e32 v53, v176, v46
	v_cvt_f32_i32_e32 v52, v52
	v_mul_f32_e32 v204, v176, v45
	v_mul_f32_e32 v176, v176, v47
	v_cvt_f32_i32_e32 v51, v51
	v_fma_f32 v17, v176, v49, v17
	v_fmac_f32_e32 v14, v53, v52
	v_dot4_i32_i8 v49, v177, v38, 0
	v_mul_lo_u32 v52, v232, v215
	v_cvt_f32_i32_e32 v50, v50
	v_dot4_i32_i8 v49, v178, v39, v49
	v_dot4_i32_i8 v49, v180, v40, v49
	v_fma_f32 v15, v204, v51, v15
	v_dot4_i32_i8 v51, v182, v41, v49
                                        ; kill: def $vgpr53 killed $sgpr0 killed $exec
	v_dot4_i32_i8 v49, v185, v34, 0
	v_mul_lo_u32 v51, v51, v216
	v_mad_u64_u32 v[52:53], s[20:21], v231, v216, v[52:53]
	v_fma_f32 v16, v205, v50, v16
	v_dot4_i32_i8 v49, v188, v35, v49
	v_mul_lo_u32 v50, v222, v215
	v_dot4_i32_i8 v49, v192, v36, v49
	v_dot4_i32_i8 v176, v195, v37, v49
	v_mad_u64_u32 v[176:177], s[20:21], v176, v215, v[51:52]
                                        ; kill: def $vgpr51 killed $sgpr0 killed $exec
	v_mul_lo_u32 v49, v226, v216
	v_mad_u64_u32 v[50:51], s[20:21], v221, v216, v[50:51]
	v_mul_f32_e32 v51, v179, v45
	v_cvt_f32_i32_e32 v176, v176
	v_mad_u64_u32 v[177:178], s[20:21], v225, v215, v[49:50]
	v_mul_f32_e32 v49, v179, v46
	v_cvt_f32_i32_e32 v50, v50
	v_cvt_f32_i32_e32 v177, v177
	;; [unrolled: 1-line block ×3, first 2 shown]
	v_mul_f32_e32 v53, v179, v48
	v_fma_f32 v11, v51, v50, v11
	v_fmac_f32_e32 v10, v49, v177
	v_dot4_i32_i8 v49, v181, v38, 0
	v_dot4_i32_i8 v49, v183, v39, v49
	;; [unrolled: 1-line block ×8, first 2 shown]
	v_mul_f32_e32 v178, v179, v47
	v_dot4_i32_i8 v49, v198, v36, v49
	v_dot4_i32_i8 v38, v187, v38, 0
	;; [unrolled: 1-line block ×3, first 2 shown]
	v_fma_f32 v13, v178, v52, v13
	v_fma_f32 v12, v53, v176, v12
	v_dot4_i32_i8 v176, v200, v37, v49
	v_mul_lo_u32 v52, v230, v209
	v_dot4_i32_i8 v38, v190, v39, v38
	v_dot4_i32_i8 v39, v203, v37, v34
	v_mul_lo_u32 v37, v224, v207
	v_dot4_i32_i8 v38, v194, v40, v38
	v_dot4_i32_i8 v38, v197, v41, v38
                                        ; kill: def $vgpr53 killed $sgpr0 killed $exec
	v_mul_lo_u32 v36, v38, v208
                                        ; kill: def $vgpr38 killed $sgpr0 killed $exec
	v_mul_lo_u32 v51, v51, v210
	v_mad_u64_u32 v[52:53], s[20:21], v229, v210, v[52:53]
	v_mad_u64_u32 v[37:38], s[20:21], v223, v208, v[37:38]
	v_mul_lo_u32 v50, v218, v209
	v_mul_lo_u32 v35, v212, v207
	v_mad_u64_u32 v[176:177], s[20:21], v176, v209, v[51:52]
                                        ; kill: def $vgpr51 killed $sgpr0 killed $exec
	v_mad_u64_u32 v[38:39], s[20:21], v39, v207, v[36:37]
                                        ; kill: def $vgpr36 killed $sgpr0 killed $exec
	v_mul_lo_u32 v49, v220, v210
	v_mad_u64_u32 v[50:51], s[20:21], v217, v210, v[50:51]
	v_mul_lo_u32 v34, v214, v208
	v_mad_u64_u32 v[35:36], s[20:21], v211, v208, v[35:36]
	v_mad_u64_u32 v[177:178], s[20:21], v219, v209, v[49:50]
	;; [unrolled: 1-line block ×3, first 2 shown]
	v_cvt_f32_i32_e32 v177, v177
	v_cvt_f32_i32_e32 v50, v50
	;; [unrolled: 1-line block ×8, first 2 shown]
	v_mul_f32_e32 v49, v184, v46
	v_mul_f32_e32 v51, v184, v45
	;; [unrolled: 1-line block ×8, first 2 shown]
	v_fma_f32 v9, v178, v52, v9
	v_fma_f32 v8, v53, v176, v8
	v_fma_f32 v7, v51, v50, v7
	v_fmac_f32_e32 v6, v49, v177
	v_fma_f32 v5, v41, v37, v5
	v_fma_f32 v4, v40, v38, v4
	;; [unrolled: 1-line block ×3, first 2 shown]
	v_fmac_f32_e32 v2, v34, v39
	s_mov_b32 s20, s19
	s_cbranch_scc1 .LBB129_9
; %bb.10:                               ;   in Loop: Header=BB129_6 Depth=1
	s_or_b32 s17, s7, 1
	s_cmp_ge_i32 s17, s4
	s_barrier
	s_cbranch_scc1 .LBB129_5
; %bb.11:                               ;   in Loop: Header=BB129_6 Depth=1
	v_add_u32_e32 v53, s16, v131
	v_add_u32_e32 v51, 8, v173
	;; [unrolled: 1-line block ×3, first 2 shown]
	v_mad_u64_u32 v[51:52], s[18:19], v51, 36, s[2:3]
	v_mad_i64_i32 v[34:35], s[18:19], v34, 36, v[43:44]
	v_add_u32_e32 v36, v53, v115
	v_mad_i64_i32 v[36:37], s[18:19], v36, 36, v[43:44]
	v_add_u32_e32 v38, v53, v116
	v_add_u32_e32 v40, v53, v117
	v_mad_i64_i32 v[38:39], s[18:19], v38, 36, v[43:44]
	v_mad_i64_i32 v[40:41], s[18:19], v40, 36, v[43:44]
	v_add_u32_e32 v45, v53, v118
	v_add_u32_e32 v47, v53, v119
	;; [unrolled: 1-line block ×4, first 2 shown]
	v_mad_i64_i32 v[45:46], s[18:19], v45, 36, v[43:44]
	v_mad_i64_i32 v[47:48], s[18:19], v47, 36, v[43:44]
	;; [unrolled: 1-line block ×4, first 2 shown]
	global_load_dword v51, v[51:52], off
	s_nop 0
	global_load_dword v34, v[34:35], off offset:4
	s_nop 0
	global_load_dword v35, v[36:37], off offset:4
	s_nop 0
	global_load_dword v36, v[38:39], off offset:4
	global_load_dword v37, v[40:41], off offset:4
	s_nop 0
	global_load_dword v38, v[45:46], off offset:4
	global_load_dword v39, v[47:48], off offset:4
	;; [unrolled: 1-line block ×4, first 2 shown]
	s_mov_b32 s17, 16
	s_mov_b32 s20, 14
	;; [unrolled: 1-line block ×3, first 2 shown]
	v_mov_b32_e32 v174, v142
	v_mov_b32_e32 v175, v141
	s_waitcnt vmcnt(8)
	v_cvt_f32_f16_e32 v45, v51
	s_waitcnt vmcnt(7)
	ds_write_b32 v155, v34
	s_waitcnt vmcnt(6)
	ds_write_b32 v156, v35
	;; [unrolled: 2-line block ×8, first 2 shown]
	ds_write_b32 v113, v45
	s_waitcnt lgkmcnt(0)
	s_barrier
.LBB129_12:                             ;   Parent Loop BB129_6 Depth=1
                                        ; =>  This Inner Loop Header: Depth=2
	s_add_i32 s19, s20, 2
	s_lshr_b32 s24, s19, 4
	s_and_b32 s22, s19, 0x3ffffff8
	v_lshl_add_u32 v203, s22, 2, v122
	s_lshl_b32 s22, s24, 5
	s_addk_i32 s22, 0x4200
	v_add3_u32 v178, s22, v170, v123
	ds_read2_b32 v[45:46], v175 offset1:32
	ds_read_b128 v[38:41], v174
	ds_read_b128 v[34:37], v174 offset:16
	ds_read2_b32 v[49:50], v178 offset1:1
	ds_read2_b32 v[47:48], v203 offset1:1
	v_add3_u32 v197, s22, v166, v126
	s_add_i32 s21, s20, -14
	ds_read2_b32 v[198:199], v197 offset0:6 offset1:7
	s_waitcnt lgkmcnt(2)
	v_ashrrev_i32_e32 v49, s18, v49
	s_waitcnt lgkmcnt(1)
	v_ashrrev_i32_e32 v47, s21, v47
	v_lshlrev_b32_e32 v49, 2, v49
	v_and_b32_e32 v51, 0x3030303, v47
	v_bfe_u32 v47, v47, 24, 2
	v_and_b32_e32 v49, 0x4040404, v49
	v_sub_u16_e32 v52, v51, v49
	v_sub_u16_sdwa v53, v51, v49 dst_sel:BYTE_1 dst_unused:UNUSED_PAD src0_sel:BYTE_1 src1_sel:BYTE_1
	v_sub_u16_sdwa v47, v47, v49 dst_sel:BYTE_1 dst_unused:UNUSED_PAD src0_sel:DWORD src1_sel:BYTE_3
	v_sub_u16_sdwa v49, v51, v49 dst_sel:DWORD dst_unused:UNUSED_PAD src0_sel:WORD_1 src1_sel:WORD_1
	v_or_b32_sdwa v52, v52, v53 dst_sel:DWORD dst_unused:UNUSED_PAD src0_sel:BYTE_0 src1_sel:DWORD
	v_or_b32_sdwa v47, v49, v47 dst_sel:WORD_1 dst_unused:UNUSED_PAD src0_sel:BYTE_0 src1_sel:DWORD
	v_ashrrev_i32_e32 v50, s18, v50
	v_or_b32_sdwa v49, v52, v47 dst_sel:DWORD dst_unused:UNUSED_PAD src0_sel:WORD_0 src1_sel:DWORD
	v_ashrrev_i32_e32 v47, s21, v48
	v_lshlrev_b32_e32 v50, 2, v50
	v_and_b32_e32 v48, 0x3030303, v47
	v_bfe_u32 v47, v47, 24, 2
	v_and_b32_e32 v50, 0x4040404, v50
	v_sub_u16_e32 v51, v48, v50
	v_sub_u16_sdwa v52, v48, v50 dst_sel:BYTE_1 dst_unused:UNUSED_PAD src0_sel:BYTE_1 src1_sel:BYTE_1
	v_sub_u16_sdwa v47, v47, v50 dst_sel:BYTE_1 dst_unused:UNUSED_PAD src0_sel:DWORD src1_sel:BYTE_3
	v_sub_u16_sdwa v48, v48, v50 dst_sel:DWORD dst_unused:UNUSED_PAD src0_sel:WORD_1 src1_sel:WORD_1
	v_or_b32_sdwa v51, v51, v52 dst_sel:DWORD dst_unused:UNUSED_PAD src0_sel:BYTE_0 src1_sel:DWORD
	v_or_b32_sdwa v47, v48, v47 dst_sel:WORD_1 dst_unused:UNUSED_PAD src0_sel:BYTE_0 src1_sel:DWORD
	v_or_b32_sdwa v50, v51, v47 dst_sel:DWORD dst_unused:UNUSED_PAD src0_sel:WORD_0 src1_sel:DWORD
	ds_read2_b32 v[47:48], v203 offset0:2 offset1:3
	ds_read2_b32 v[51:52], v178 offset0:2 offset1:3
	s_and_b32 s23, s17, -16
	s_add_i32 s20, s20, s23
	s_lshl_b32 s23, s24, 2
	s_waitcnt lgkmcnt(1)
	v_ashrrev_i32_e32 v47, s21, v47
	s_waitcnt lgkmcnt(0)
	v_ashrrev_i32_e32 v51, s18, v51
	v_lshlrev_b32_e32 v51, 2, v51
	v_and_b32_e32 v53, 0x3030303, v47
	v_bfe_u32 v47, v47, 24, 2
	v_and_b32_e32 v51, 0x4040404, v51
	v_sub_u16_e32 v176, v53, v51
	v_sub_u16_sdwa v177, v53, v51 dst_sel:BYTE_1 dst_unused:UNUSED_PAD src0_sel:BYTE_1 src1_sel:BYTE_1
	v_sub_u16_sdwa v47, v47, v51 dst_sel:BYTE_1 dst_unused:UNUSED_PAD src0_sel:DWORD src1_sel:BYTE_3
	v_sub_u16_sdwa v51, v53, v51 dst_sel:DWORD dst_unused:UNUSED_PAD src0_sel:WORD_1 src1_sel:WORD_1
	v_or_b32_sdwa v176, v176, v177 dst_sel:DWORD dst_unused:UNUSED_PAD src0_sel:BYTE_0 src1_sel:DWORD
	v_or_b32_sdwa v47, v51, v47 dst_sel:WORD_1 dst_unused:UNUSED_PAD src0_sel:BYTE_0 src1_sel:DWORD
	v_ashrrev_i32_e32 v52, s18, v52
	v_or_b32_sdwa v51, v176, v47 dst_sel:DWORD dst_unused:UNUSED_PAD src0_sel:WORD_0 src1_sel:DWORD
	v_ashrrev_i32_e32 v47, s21, v48
	v_lshlrev_b32_e32 v52, 2, v52
	v_and_b32_e32 v48, 0x3030303, v47
	v_bfe_u32 v47, v47, 24, 2
	v_and_b32_e32 v52, 0x4040404, v52
	v_sub_u16_e32 v53, v48, v52
	v_sub_u16_sdwa v176, v48, v52 dst_sel:BYTE_1 dst_unused:UNUSED_PAD src0_sel:BYTE_1 src1_sel:BYTE_1
	v_sub_u16_sdwa v47, v47, v52 dst_sel:BYTE_1 dst_unused:UNUSED_PAD src0_sel:DWORD src1_sel:BYTE_3
	v_sub_u16_sdwa v48, v48, v52 dst_sel:DWORD dst_unused:UNUSED_PAD src0_sel:WORD_1 src1_sel:WORD_1
	v_or_b32_sdwa v53, v53, v176 dst_sel:DWORD dst_unused:UNUSED_PAD src0_sel:BYTE_0 src1_sel:DWORD
	v_or_b32_sdwa v47, v48, v47 dst_sel:WORD_1 dst_unused:UNUSED_PAD src0_sel:BYTE_0 src1_sel:DWORD
	v_or_b32_sdwa v52, v53, v47 dst_sel:DWORD dst_unused:UNUSED_PAD src0_sel:WORD_0 src1_sel:DWORD
	ds_read2_b32 v[47:48], v203 offset0:4 offset1:5
	ds_read2_b32 v[176:177], v178 offset0:4 offset1:5
	s_add_i32 s23, s23, 0x9380
	v_add3_u32 v187, s22, v164, v124
	v_add3_u32 v216, s22, v168, v128
	s_waitcnt lgkmcnt(1)
	v_ashrrev_i32_e32 v47, s21, v47
	s_waitcnt lgkmcnt(0)
	v_ashrrev_i32_e32 v176, s18, v176
	v_lshlrev_b32_e32 v176, 2, v176
	v_and_b32_e32 v53, 0x3030303, v47
	v_bfe_u32 v47, v47, 24, 2
	v_and_b32_e32 v176, 0x4040404, v176
	v_sub_u16_e32 v179, v53, v176
	v_sub_u16_sdwa v180, v53, v176 dst_sel:BYTE_1 dst_unused:UNUSED_PAD src0_sel:BYTE_1 src1_sel:BYTE_1
	v_sub_u16_sdwa v47, v47, v176 dst_sel:BYTE_1 dst_unused:UNUSED_PAD src0_sel:DWORD src1_sel:BYTE_3
	v_sub_u16_sdwa v53, v53, v176 dst_sel:DWORD dst_unused:UNUSED_PAD src0_sel:WORD_1 src1_sel:WORD_1
	v_or_b32_sdwa v179, v179, v180 dst_sel:DWORD dst_unused:UNUSED_PAD src0_sel:BYTE_0 src1_sel:DWORD
	v_or_b32_sdwa v47, v53, v47 dst_sel:WORD_1 dst_unused:UNUSED_PAD src0_sel:BYTE_0 src1_sel:DWORD
	v_ashrrev_i32_e32 v176, s18, v177
	v_or_b32_sdwa v53, v179, v47 dst_sel:DWORD dst_unused:UNUSED_PAD src0_sel:WORD_0 src1_sel:DWORD
	v_ashrrev_i32_e32 v47, s21, v48
	v_lshlrev_b32_e32 v176, 2, v176
	v_and_b32_e32 v48, 0x3030303, v47
	v_bfe_u32 v47, v47, 24, 2
	v_and_b32_e32 v176, 0x4040404, v176
	v_sub_u16_e32 v177, v48, v176
	v_sub_u16_sdwa v179, v48, v176 dst_sel:BYTE_1 dst_unused:UNUSED_PAD src0_sel:BYTE_1 src1_sel:BYTE_1
	v_sub_u16_sdwa v47, v47, v176 dst_sel:BYTE_1 dst_unused:UNUSED_PAD src0_sel:DWORD src1_sel:BYTE_3
	v_sub_u16_sdwa v48, v48, v176 dst_sel:DWORD dst_unused:UNUSED_PAD src0_sel:WORD_1 src1_sel:WORD_1
	v_or_b32_sdwa v177, v177, v179 dst_sel:DWORD dst_unused:UNUSED_PAD src0_sel:BYTE_0 src1_sel:DWORD
	v_or_b32_sdwa v47, v48, v47 dst_sel:WORD_1 dst_unused:UNUSED_PAD src0_sel:BYTE_0 src1_sel:DWORD
	v_or_b32_sdwa v204, v177, v47 dst_sel:DWORD dst_unused:UNUSED_PAD src0_sel:WORD_0 src1_sel:DWORD
	ds_read2_b32 v[47:48], v203 offset0:6 offset1:7
	ds_read2_b32 v[176:177], v178 offset0:6 offset1:7
	;; [unrolled: 1-line block ×3, first 2 shown]
	v_add_u32_e32 v209, s20, v135
	v_add_u32_e32 v212, s20, v137
	s_waitcnt lgkmcnt(2)
	v_ashrrev_i32_e32 v47, s21, v47
	s_waitcnt lgkmcnt(1)
	v_ashrrev_i32_e32 v176, s18, v176
	v_lshlrev_b32_e32 v176, 2, v176
	v_and_b32_e32 v179, 0x3030303, v47
	v_bfe_u32 v47, v47, 24, 2
	v_and_b32_e32 v176, 0x4040404, v176
	v_sub_u16_e32 v178, v179, v176
	v_sub_u16_sdwa v180, v179, v176 dst_sel:BYTE_1 dst_unused:UNUSED_PAD src0_sel:BYTE_1 src1_sel:BYTE_1
	v_sub_u16_sdwa v47, v47, v176 dst_sel:BYTE_1 dst_unused:UNUSED_PAD src0_sel:DWORD src1_sel:BYTE_3
	v_sub_u16_sdwa v176, v179, v176 dst_sel:DWORD dst_unused:UNUSED_PAD src0_sel:WORD_1 src1_sel:WORD_1
	v_or_b32_sdwa v178, v178, v180 dst_sel:DWORD dst_unused:UNUSED_PAD src0_sel:BYTE_0 src1_sel:DWORD
	v_or_b32_sdwa v47, v176, v47 dst_sel:WORD_1 dst_unused:UNUSED_PAD src0_sel:BYTE_0 src1_sel:DWORD
	v_ashrrev_i32_e32 v176, s18, v177
	v_or_b32_sdwa v205, v178, v47 dst_sel:DWORD dst_unused:UNUSED_PAD src0_sel:WORD_0 src1_sel:DWORD
	v_ashrrev_i32_e32 v47, s21, v48
	v_lshlrev_b32_e32 v176, 2, v176
	v_and_b32_e32 v48, 0x3030303, v47
	v_bfe_u32 v47, v47, 24, 2
	v_and_b32_e32 v176, 0x4040404, v176
	v_sub_u16_e32 v177, v48, v176
	v_sub_u16_sdwa v178, v48, v176 dst_sel:BYTE_1 dst_unused:UNUSED_PAD src0_sel:BYTE_1 src1_sel:BYTE_1
	v_sub_u16_sdwa v47, v47, v176 dst_sel:BYTE_1 dst_unused:UNUSED_PAD src0_sel:DWORD src1_sel:BYTE_3
	v_sub_u16_sdwa v48, v48, v176 dst_sel:DWORD dst_unused:UNUSED_PAD src0_sel:WORD_1 src1_sel:WORD_1
	v_or_b32_sdwa v177, v177, v178 dst_sel:DWORD dst_unused:UNUSED_PAD src0_sel:BYTE_0 src1_sel:DWORD
	v_or_b32_sdwa v47, v48, v47 dst_sel:WORD_1 dst_unused:UNUSED_PAD src0_sel:BYTE_0 src1_sel:DWORD
	v_or_b32_sdwa v206, v177, v47 dst_sel:DWORD dst_unused:UNUSED_PAD src0_sel:WORD_0 src1_sel:DWORD
	v_dot4_i32_i8 v177, v53, v34, 0
	v_dot4_i32_i8 v177, v204, v35, v177
	;; [unrolled: 1-line block ×3, first 2 shown]
	v_add3_u32 v47, s23, v171, v172
	v_dot4_i32_i8 v207, v206, v37, v177
	v_add_u32_e32 v177, 0x1080, v203
	ds_read_b32 v176, v47
	ds_read2_b32 v[177:178], v177 offset1:1
	ds_read2_b32 v[179:180], v187 offset1:1
	v_dot4_i32_i8 v47, v49, v38, 0
	v_dot4_i32_i8 v47, v50, v39, v47
	;; [unrolled: 1-line block ×3, first 2 shown]
	s_waitcnt lgkmcnt(1)
	v_ashrrev_i32_e32 v177, s21, v177
	s_waitcnt lgkmcnt(0)
	v_ashrrev_i32_e32 v179, s18, v179
	v_lshlrev_b32_e32 v179, 2, v179
	v_and_b32_e32 v181, 0x3030303, v177
	v_bfe_u32 v177, v177, 24, 2
	v_and_b32_e32 v179, 0x4040404, v179
	v_ashrrev_i32_e32 v180, s18, v180
	v_sub_u16_e32 v182, v181, v179
	v_sub_u16_sdwa v183, v181, v179 dst_sel:BYTE_1 dst_unused:UNUSED_PAD src0_sel:BYTE_1 src1_sel:BYTE_1
	v_sub_u16_sdwa v177, v177, v179 dst_sel:BYTE_1 dst_unused:UNUSED_PAD src0_sel:DWORD src1_sel:BYTE_3
	v_sub_u16_sdwa v179, v181, v179 dst_sel:DWORD dst_unused:UNUSED_PAD src0_sel:WORD_1 src1_sel:WORD_1
	v_ashrrev_i32_e32 v178, s21, v178
	v_lshlrev_b32_e32 v180, 2, v180
	v_or_b32_sdwa v182, v182, v183 dst_sel:DWORD dst_unused:UNUSED_PAD src0_sel:BYTE_0 src1_sel:DWORD
	v_or_b32_sdwa v177, v179, v177 dst_sel:WORD_1 dst_unused:UNUSED_PAD src0_sel:BYTE_0 src1_sel:DWORD
	v_and_b32_e32 v179, 0x3030303, v178
	v_bfe_u32 v178, v178, 24, 2
	v_and_b32_e32 v180, 0x4040404, v180
	v_or_b32_sdwa v177, v182, v177 dst_sel:DWORD dst_unused:UNUSED_PAD src0_sel:WORD_0 src1_sel:DWORD
	v_sub_u16_e32 v181, v179, v180
	v_sub_u16_sdwa v182, v179, v180 dst_sel:BYTE_1 dst_unused:UNUSED_PAD src0_sel:BYTE_1 src1_sel:BYTE_1
	v_sub_u16_sdwa v178, v178, v180 dst_sel:BYTE_1 dst_unused:UNUSED_PAD src0_sel:DWORD src1_sel:BYTE_3
	v_sub_u16_sdwa v179, v179, v180 dst_sel:DWORD dst_unused:UNUSED_PAD src0_sel:WORD_1 src1_sel:WORD_1
	v_or_b32_sdwa v181, v181, v182 dst_sel:DWORD dst_unused:UNUSED_PAD src0_sel:BYTE_0 src1_sel:DWORD
	v_or_b32_sdwa v178, v179, v178 dst_sel:WORD_1 dst_unused:UNUSED_PAD src0_sel:BYTE_0 src1_sel:DWORD
	v_add_u32_e32 v179, 0x1088, v203
	v_or_b32_sdwa v178, v181, v178 dst_sel:DWORD dst_unused:UNUSED_PAD src0_sel:WORD_0 src1_sel:DWORD
	ds_read2_b32 v[180:181], v179 offset1:1
	ds_read2_b32 v[182:183], v187 offset0:2 offset1:3
	ds_read2_b32 v[201:202], v216 offset1:1
	v_dot4_i32_i8 v47, v52, v41, v47
	v_add_u32_e32 v48, s20, v133
	s_waitcnt lgkmcnt(2)
	v_ashrrev_i32_e32 v179, s21, v180
	s_waitcnt lgkmcnt(1)
	v_ashrrev_i32_e32 v182, s18, v182
	v_lshlrev_b32_e32 v182, 2, v182
	v_and_b32_e32 v180, 0x3030303, v179
	v_bfe_u32 v179, v179, 24, 2
	v_and_b32_e32 v182, 0x4040404, v182
	v_sub_u16_e32 v184, v180, v182
	v_sub_u16_sdwa v185, v180, v182 dst_sel:BYTE_1 dst_unused:UNUSED_PAD src0_sel:BYTE_1 src1_sel:BYTE_1
	v_sub_u16_sdwa v179, v179, v182 dst_sel:BYTE_1 dst_unused:UNUSED_PAD src0_sel:DWORD src1_sel:BYTE_3
	v_sub_u16_sdwa v180, v180, v182 dst_sel:DWORD dst_unused:UNUSED_PAD src0_sel:WORD_1 src1_sel:WORD_1
	v_or_b32_sdwa v184, v184, v185 dst_sel:DWORD dst_unused:UNUSED_PAD src0_sel:BYTE_0 src1_sel:DWORD
	v_or_b32_sdwa v179, v180, v179 dst_sel:WORD_1 dst_unused:UNUSED_PAD src0_sel:BYTE_0 src1_sel:DWORD
	v_ashrrev_i32_e32 v182, s18, v183
	v_or_b32_sdwa v180, v184, v179 dst_sel:DWORD dst_unused:UNUSED_PAD src0_sel:WORD_0 src1_sel:DWORD
	v_ashrrev_i32_e32 v179, s21, v181
	v_lshlrev_b32_e32 v182, 2, v182
	v_and_b32_e32 v181, 0x3030303, v179
	v_bfe_u32 v179, v179, 24, 2
	v_and_b32_e32 v182, 0x4040404, v182
	v_sub_u16_e32 v183, v181, v182
	v_sub_u16_sdwa v184, v181, v182 dst_sel:BYTE_1 dst_unused:UNUSED_PAD src0_sel:BYTE_1 src1_sel:BYTE_1
	v_sub_u16_sdwa v179, v179, v182 dst_sel:BYTE_1 dst_unused:UNUSED_PAD src0_sel:DWORD src1_sel:BYTE_3
	v_sub_u16_sdwa v181, v181, v182 dst_sel:DWORD dst_unused:UNUSED_PAD src0_sel:WORD_1 src1_sel:WORD_1
	v_or_b32_sdwa v183, v183, v184 dst_sel:DWORD dst_unused:UNUSED_PAD src0_sel:BYTE_0 src1_sel:DWORD
	v_or_b32_sdwa v179, v181, v179 dst_sel:WORD_1 dst_unused:UNUSED_PAD src0_sel:BYTE_0 src1_sel:DWORD
	v_or_b32_sdwa v182, v183, v179 dst_sel:DWORD dst_unused:UNUSED_PAD src0_sel:WORD_0 src1_sel:DWORD
	v_add_u32_e32 v179, 0x1090, v203
	ds_read2_b32 v[183:184], v179 offset1:1
	ds_read2_b32 v[185:186], v187 offset0:4 offset1:5
	s_add_i32 s17, s17, 2
	s_waitcnt lgkmcnt(1)
	v_ashrrev_i32_e32 v179, s21, v183
	s_waitcnt lgkmcnt(0)
	v_ashrrev_i32_e32 v183, s18, v185
	v_lshlrev_b32_e32 v183, 2, v183
	v_and_b32_e32 v181, 0x3030303, v179
	v_bfe_u32 v179, v179, 24, 2
	v_and_b32_e32 v183, 0x4040404, v183
	v_sub_u16_e32 v185, v181, v183
	v_sub_u16_sdwa v188, v181, v183 dst_sel:BYTE_1 dst_unused:UNUSED_PAD src0_sel:BYTE_1 src1_sel:BYTE_1
	v_sub_u16_sdwa v179, v179, v183 dst_sel:BYTE_1 dst_unused:UNUSED_PAD src0_sel:DWORD src1_sel:BYTE_3
	v_sub_u16_sdwa v181, v181, v183 dst_sel:DWORD dst_unused:UNUSED_PAD src0_sel:WORD_1 src1_sel:WORD_1
	v_or_b32_sdwa v185, v185, v188 dst_sel:DWORD dst_unused:UNUSED_PAD src0_sel:BYTE_0 src1_sel:DWORD
	v_or_b32_sdwa v179, v181, v179 dst_sel:WORD_1 dst_unused:UNUSED_PAD src0_sel:BYTE_0 src1_sel:DWORD
	v_ashrrev_i32_e32 v183, s18, v186
	v_or_b32_sdwa v185, v185, v179 dst_sel:DWORD dst_unused:UNUSED_PAD src0_sel:WORD_0 src1_sel:DWORD
	v_ashrrev_i32_e32 v179, s21, v184
	v_lshlrev_b32_e32 v183, 2, v183
	v_and_b32_e32 v181, 0x3030303, v179
	v_bfe_u32 v179, v179, 24, 2
	v_and_b32_e32 v183, 0x4040404, v183
	v_sub_u16_e32 v184, v181, v183
	v_sub_u16_sdwa v186, v181, v183 dst_sel:BYTE_1 dst_unused:UNUSED_PAD src0_sel:BYTE_1 src1_sel:BYTE_1
	v_sub_u16_sdwa v179, v179, v183 dst_sel:BYTE_1 dst_unused:UNUSED_PAD src0_sel:DWORD src1_sel:BYTE_3
	v_sub_u16_sdwa v181, v181, v183 dst_sel:DWORD dst_unused:UNUSED_PAD src0_sel:WORD_1 src1_sel:WORD_1
	v_or_b32_sdwa v184, v184, v186 dst_sel:DWORD dst_unused:UNUSED_PAD src0_sel:BYTE_0 src1_sel:DWORD
	v_or_b32_sdwa v179, v181, v179 dst_sel:WORD_1 dst_unused:UNUSED_PAD src0_sel:BYTE_0 src1_sel:DWORD
	v_or_b32_sdwa v188, v184, v179 dst_sel:DWORD dst_unused:UNUSED_PAD src0_sel:WORD_0 src1_sel:DWORD
	v_add_u32_e32 v179, 0x1098, v203
	ds_read2_b32 v[183:184], v179 offset1:1
	ds_read2_b32 v[186:187], v187 offset0:6 offset1:7
	s_waitcnt lgkmcnt(1)
	v_ashrrev_i32_e32 v179, s21, v183
	s_waitcnt lgkmcnt(0)
	v_ashrrev_i32_e32 v183, s18, v186
	v_lshlrev_b32_e32 v183, 2, v183
	v_and_b32_e32 v181, 0x3030303, v179
	v_bfe_u32 v179, v179, 24, 2
	v_and_b32_e32 v183, 0x4040404, v183
	v_sub_u16_e32 v186, v181, v183
	v_sub_u16_sdwa v189, v181, v183 dst_sel:BYTE_1 dst_unused:UNUSED_PAD src0_sel:BYTE_1 src1_sel:BYTE_1
	v_sub_u16_sdwa v179, v179, v183 dst_sel:BYTE_1 dst_unused:UNUSED_PAD src0_sel:DWORD src1_sel:BYTE_3
	v_sub_u16_sdwa v181, v181, v183 dst_sel:DWORD dst_unused:UNUSED_PAD src0_sel:WORD_1 src1_sel:WORD_1
	v_or_b32_sdwa v186, v186, v189 dst_sel:DWORD dst_unused:UNUSED_PAD src0_sel:BYTE_0 src1_sel:DWORD
	v_or_b32_sdwa v179, v181, v179 dst_sel:WORD_1 dst_unused:UNUSED_PAD src0_sel:BYTE_0 src1_sel:DWORD
	v_ashrrev_i32_e32 v183, s18, v187
	v_or_b32_sdwa v192, v186, v179 dst_sel:DWORD dst_unused:UNUSED_PAD src0_sel:WORD_0 src1_sel:DWORD
	v_ashrrev_i32_e32 v179, s21, v184
	v_lshlrev_b32_e32 v183, 2, v183
	v_and_b32_e32 v181, 0x3030303, v179
	v_bfe_u32 v179, v179, 24, 2
	v_and_b32_e32 v183, 0x4040404, v183
	v_sub_u16_e32 v184, v181, v183
	v_sub_u16_sdwa v186, v181, v183 dst_sel:BYTE_1 dst_unused:UNUSED_PAD src0_sel:BYTE_1 src1_sel:BYTE_1
	v_sub_u16_sdwa v179, v179, v183 dst_sel:BYTE_1 dst_unused:UNUSED_PAD src0_sel:DWORD src1_sel:BYTE_3
	v_sub_u16_sdwa v181, v181, v183 dst_sel:DWORD dst_unused:UNUSED_PAD src0_sel:WORD_1 src1_sel:WORD_1
	v_or_b32_sdwa v179, v181, v179 dst_sel:WORD_1 dst_unused:UNUSED_PAD src0_sel:BYTE_0 src1_sel:DWORD
	v_dot4_i32_i8 v181, v177, v38, 0
	v_dot4_i32_i8 v181, v178, v39, v181
	;; [unrolled: 1-line block ×5, first 2 shown]
	v_or_b32_sdwa v184, v184, v186 dst_sel:DWORD dst_unused:UNUSED_PAD src0_sel:BYTE_0 src1_sel:DWORD
	v_dot4_i32_i8 v181, v188, v35, v181
	v_or_b32_sdwa v195, v184, v179 dst_sel:DWORD dst_unused:UNUSED_PAD src0_sel:WORD_0 src1_sel:DWORD
	v_dot4_i32_i8 v181, v192, v36, v181
	v_add3_u32 v179, s23, v165, v125
	v_dot4_i32_i8 v210, v195, v37, v181
	v_add_u32_e32 v181, 0x2100, v203
	ds_read_b32 v179, v179
	ds_read2_b32 v[183:184], v181 offset1:1
	ds_read2_b32 v[186:187], v197 offset1:1
	s_waitcnt lgkmcnt(1)
	v_ashrrev_i32_e32 v181, s21, v183
	s_waitcnt lgkmcnt(0)
	v_ashrrev_i32_e32 v186, s18, v186
	v_lshlrev_b32_e32 v186, 2, v186
	v_and_b32_e32 v183, 0x3030303, v181
	v_bfe_u32 v181, v181, 24, 2
	v_and_b32_e32 v186, 0x4040404, v186
	v_sub_u16_e32 v189, v183, v186
	v_sub_u16_sdwa v190, v183, v186 dst_sel:BYTE_1 dst_unused:UNUSED_PAD src0_sel:BYTE_1 src1_sel:BYTE_1
	v_sub_u16_sdwa v181, v181, v186 dst_sel:BYTE_1 dst_unused:UNUSED_PAD src0_sel:DWORD src1_sel:BYTE_3
	v_sub_u16_sdwa v183, v183, v186 dst_sel:DWORD dst_unused:UNUSED_PAD src0_sel:WORD_1 src1_sel:WORD_1
	v_ashrrev_i32_e32 v186, s18, v187
	v_or_b32_sdwa v181, v183, v181 dst_sel:WORD_1 dst_unused:UNUSED_PAD src0_sel:BYTE_0 src1_sel:DWORD
	v_ashrrev_i32_e32 v183, s21, v184
	v_lshlrev_b32_e32 v186, 2, v186
	v_or_b32_sdwa v189, v189, v190 dst_sel:DWORD dst_unused:UNUSED_PAD src0_sel:BYTE_0 src1_sel:DWORD
	v_and_b32_e32 v184, 0x3030303, v183
	v_bfe_u32 v183, v183, 24, 2
	v_and_b32_e32 v186, 0x4040404, v186
	v_or_b32_sdwa v181, v189, v181 dst_sel:DWORD dst_unused:UNUSED_PAD src0_sel:WORD_0 src1_sel:DWORD
	v_sub_u16_e32 v187, v184, v186
	v_sub_u16_sdwa v189, v184, v186 dst_sel:BYTE_1 dst_unused:UNUSED_PAD src0_sel:BYTE_1 src1_sel:BYTE_1
	v_sub_u16_sdwa v183, v183, v186 dst_sel:BYTE_1 dst_unused:UNUSED_PAD src0_sel:DWORD src1_sel:BYTE_3
	v_sub_u16_sdwa v184, v184, v186 dst_sel:DWORD dst_unused:UNUSED_PAD src0_sel:WORD_1 src1_sel:WORD_1
	v_or_b32_sdwa v187, v187, v189 dst_sel:DWORD dst_unused:UNUSED_PAD src0_sel:BYTE_0 src1_sel:DWORD
	v_or_b32_sdwa v183, v184, v183 dst_sel:WORD_1 dst_unused:UNUSED_PAD src0_sel:BYTE_0 src1_sel:DWORD
	v_add_u32_e32 v184, 0x2108, v203
	v_or_b32_sdwa v183, v187, v183 dst_sel:DWORD dst_unused:UNUSED_PAD src0_sel:WORD_0 src1_sel:DWORD
	ds_read2_b32 v[186:187], v184 offset1:1
	ds_read2_b32 v[189:190], v197 offset0:2 offset1:3
	s_waitcnt lgkmcnt(1)
	v_ashrrev_i32_e32 v184, s21, v186
	s_waitcnt lgkmcnt(0)
	v_ashrrev_i32_e32 v189, s18, v189
	v_lshlrev_b32_e32 v189, 2, v189
	v_and_b32_e32 v186, 0x3030303, v184
	v_bfe_u32 v184, v184, 24, 2
	v_and_b32_e32 v189, 0x4040404, v189
	v_sub_u16_e32 v191, v186, v189
	v_sub_u16_sdwa v193, v186, v189 dst_sel:BYTE_1 dst_unused:UNUSED_PAD src0_sel:BYTE_1 src1_sel:BYTE_1
	v_sub_u16_sdwa v184, v184, v189 dst_sel:BYTE_1 dst_unused:UNUSED_PAD src0_sel:DWORD src1_sel:BYTE_3
	v_sub_u16_sdwa v186, v186, v189 dst_sel:DWORD dst_unused:UNUSED_PAD src0_sel:WORD_1 src1_sel:WORD_1
	v_or_b32_sdwa v191, v191, v193 dst_sel:DWORD dst_unused:UNUSED_PAD src0_sel:BYTE_0 src1_sel:DWORD
	v_or_b32_sdwa v184, v186, v184 dst_sel:WORD_1 dst_unused:UNUSED_PAD src0_sel:BYTE_0 src1_sel:DWORD
	v_ashrrev_i32_e32 v189, s18, v190
	v_or_b32_sdwa v186, v191, v184 dst_sel:DWORD dst_unused:UNUSED_PAD src0_sel:WORD_0 src1_sel:DWORD
	v_ashrrev_i32_e32 v184, s21, v187
	v_lshlrev_b32_e32 v189, 2, v189
	v_and_b32_e32 v187, 0x3030303, v184
	v_bfe_u32 v184, v184, 24, 2
	v_and_b32_e32 v189, 0x4040404, v189
	v_sub_u16_e32 v190, v187, v189
	v_sub_u16_sdwa v191, v187, v189 dst_sel:BYTE_1 dst_unused:UNUSED_PAD src0_sel:BYTE_1 src1_sel:BYTE_1
	v_sub_u16_sdwa v184, v184, v189 dst_sel:BYTE_1 dst_unused:UNUSED_PAD src0_sel:DWORD src1_sel:BYTE_3
	v_sub_u16_sdwa v187, v187, v189 dst_sel:DWORD dst_unused:UNUSED_PAD src0_sel:WORD_1 src1_sel:WORD_1
	v_or_b32_sdwa v190, v190, v191 dst_sel:DWORD dst_unused:UNUSED_PAD src0_sel:BYTE_0 src1_sel:DWORD
	v_or_b32_sdwa v184, v187, v184 dst_sel:WORD_1 dst_unused:UNUSED_PAD src0_sel:BYTE_0 src1_sel:DWORD
	v_or_b32_sdwa v189, v190, v184 dst_sel:DWORD dst_unused:UNUSED_PAD src0_sel:WORD_0 src1_sel:DWORD
	v_add_u32_e32 v184, 0x2110, v203
	ds_read2_b32 v[190:191], v184 offset1:1
	ds_read2_b32 v[193:194], v197 offset0:4 offset1:5
	s_waitcnt lgkmcnt(1)
	v_ashrrev_i32_e32 v184, s21, v190
	s_waitcnt lgkmcnt(0)
	v_ashrrev_i32_e32 v190, s18, v193
	v_lshlrev_b32_e32 v190, 2, v190
	v_and_b32_e32 v187, 0x3030303, v184
	v_bfe_u32 v184, v184, 24, 2
	v_and_b32_e32 v190, 0x4040404, v190
	v_sub_u16_e32 v193, v187, v190
	v_sub_u16_sdwa v196, v187, v190 dst_sel:BYTE_1 dst_unused:UNUSED_PAD src0_sel:BYTE_1 src1_sel:BYTE_1
	v_sub_u16_sdwa v184, v184, v190 dst_sel:BYTE_1 dst_unused:UNUSED_PAD src0_sel:DWORD src1_sel:BYTE_3
	v_sub_u16_sdwa v187, v187, v190 dst_sel:DWORD dst_unused:UNUSED_PAD src0_sel:WORD_1 src1_sel:WORD_1
	v_or_b32_sdwa v193, v193, v196 dst_sel:DWORD dst_unused:UNUSED_PAD src0_sel:BYTE_0 src1_sel:DWORD
	v_or_b32_sdwa v184, v187, v184 dst_sel:WORD_1 dst_unused:UNUSED_PAD src0_sel:BYTE_0 src1_sel:DWORD
	v_ashrrev_i32_e32 v190, s18, v194
	v_or_b32_sdwa v193, v193, v184 dst_sel:DWORD dst_unused:UNUSED_PAD src0_sel:WORD_0 src1_sel:DWORD
	v_ashrrev_i32_e32 v184, s21, v191
	v_lshlrev_b32_e32 v190, 2, v190
	v_and_b32_e32 v187, 0x3030303, v184
	v_bfe_u32 v184, v184, 24, 2
	v_and_b32_e32 v190, 0x4040404, v190
	v_sub_u16_e32 v191, v187, v190
	v_sub_u16_sdwa v194, v187, v190 dst_sel:BYTE_1 dst_unused:UNUSED_PAD src0_sel:BYTE_1 src1_sel:BYTE_1
	v_sub_u16_sdwa v184, v184, v190 dst_sel:BYTE_1 dst_unused:UNUSED_PAD src0_sel:DWORD src1_sel:BYTE_3
	v_sub_u16_sdwa v187, v187, v190 dst_sel:DWORD dst_unused:UNUSED_PAD src0_sel:WORD_1 src1_sel:WORD_1
	v_or_b32_sdwa v191, v191, v194 dst_sel:DWORD dst_unused:UNUSED_PAD src0_sel:BYTE_0 src1_sel:DWORD
	v_or_b32_sdwa v184, v187, v184 dst_sel:WORD_1 dst_unused:UNUSED_PAD src0_sel:BYTE_0 src1_sel:DWORD
	v_or_b32_sdwa v196, v191, v184 dst_sel:DWORD dst_unused:UNUSED_PAD src0_sel:WORD_0 src1_sel:DWORD
	v_add_u32_e32 v184, 0x2118, v203
	ds_read2_b32 v[190:191], v184 offset1:1
	s_waitcnt lgkmcnt(0)
	v_ashrrev_i32_e32 v184, s21, v190
	v_ashrrev_i32_e32 v190, s18, v198
	v_lshlrev_b32_e32 v190, 2, v190
	v_and_b32_e32 v187, 0x3030303, v184
	v_bfe_u32 v184, v184, 24, 2
	v_and_b32_e32 v190, 0x4040404, v190
	v_sub_u16_e32 v194, v187, v190
	v_sub_u16_sdwa v197, v187, v190 dst_sel:BYTE_1 dst_unused:UNUSED_PAD src0_sel:BYTE_1 src1_sel:BYTE_1
	v_sub_u16_sdwa v184, v184, v190 dst_sel:BYTE_1 dst_unused:UNUSED_PAD src0_sel:DWORD src1_sel:BYTE_3
	v_sub_u16_sdwa v187, v187, v190 dst_sel:DWORD dst_unused:UNUSED_PAD src0_sel:WORD_1 src1_sel:WORD_1
	v_or_b32_sdwa v194, v194, v197 dst_sel:DWORD dst_unused:UNUSED_PAD src0_sel:BYTE_0 src1_sel:DWORD
	v_or_b32_sdwa v184, v187, v184 dst_sel:WORD_1 dst_unused:UNUSED_PAD src0_sel:BYTE_0 src1_sel:DWORD
	v_ashrrev_i32_e32 v190, s18, v199
	v_or_b32_sdwa v198, v194, v184 dst_sel:DWORD dst_unused:UNUSED_PAD src0_sel:WORD_0 src1_sel:DWORD
	v_ashrrev_i32_e32 v184, s21, v191
	v_lshlrev_b32_e32 v190, 2, v190
	v_and_b32_e32 v187, 0x3030303, v184
	v_bfe_u32 v184, v184, 24, 2
	v_and_b32_e32 v190, 0x4040404, v190
	v_sub_u16_e32 v191, v187, v190
	v_sub_u16_sdwa v194, v187, v190 dst_sel:BYTE_1 dst_unused:UNUSED_PAD src0_sel:BYTE_1 src1_sel:BYTE_1
	v_sub_u16_sdwa v184, v184, v190 dst_sel:BYTE_1 dst_unused:UNUSED_PAD src0_sel:DWORD src1_sel:BYTE_3
	v_sub_u16_sdwa v187, v187, v190 dst_sel:DWORD dst_unused:UNUSED_PAD src0_sel:WORD_1 src1_sel:WORD_1
	v_or_b32_sdwa v184, v187, v184 dst_sel:WORD_1 dst_unused:UNUSED_PAD src0_sel:BYTE_0 src1_sel:DWORD
	v_dot4_i32_i8 v187, v181, v38, 0
	v_dot4_i32_i8 v187, v183, v39, v187
	;; [unrolled: 1-line block ×5, first 2 shown]
	v_or_b32_sdwa v191, v191, v194 dst_sel:DWORD dst_unused:UNUSED_PAD src0_sel:BYTE_0 src1_sel:DWORD
	v_dot4_i32_i8 v187, v196, v35, v187
	v_or_b32_sdwa v200, v191, v184 dst_sel:DWORD dst_unused:UNUSED_PAD src0_sel:WORD_0 src1_sel:DWORD
	v_dot4_i32_i8 v187, v198, v36, v187
	v_add3_u32 v184, s23, v167, v127
	v_dot4_i32_i8 v213, v200, v37, v187
	v_add_u32_e32 v187, 0x3180, v203
	ds_read_b32 v184, v184
	ds_read2_b32 v[190:191], v187 offset1:1
	v_ashrrev_i32_e32 v194, s18, v201
	v_lshlrev_b32_e32 v194, 2, v194
	v_and_b32_e32 v194, 0x4040404, v194
	s_waitcnt lgkmcnt(0)
	v_ashrrev_i32_e32 v187, s21, v190
	v_and_b32_e32 v190, 0x3030303, v187
	v_bfe_u32 v187, v187, 24, 2
	v_sub_u16_e32 v197, v190, v194
	v_sub_u16_sdwa v199, v190, v194 dst_sel:BYTE_1 dst_unused:UNUSED_PAD src0_sel:BYTE_1 src1_sel:BYTE_1
	v_sub_u16_sdwa v187, v187, v194 dst_sel:BYTE_1 dst_unused:UNUSED_PAD src0_sel:DWORD src1_sel:BYTE_3
	v_sub_u16_sdwa v190, v190, v194 dst_sel:DWORD dst_unused:UNUSED_PAD src0_sel:WORD_1 src1_sel:WORD_1
	v_ashrrev_i32_e32 v194, s18, v202
	v_or_b32_sdwa v187, v190, v187 dst_sel:WORD_1 dst_unused:UNUSED_PAD src0_sel:BYTE_0 src1_sel:DWORD
	v_ashrrev_i32_e32 v190, s21, v191
	v_lshlrev_b32_e32 v194, 2, v194
	v_or_b32_sdwa v197, v197, v199 dst_sel:DWORD dst_unused:UNUSED_PAD src0_sel:BYTE_0 src1_sel:DWORD
	v_and_b32_e32 v191, 0x3030303, v190
	v_bfe_u32 v190, v190, 24, 2
	v_and_b32_e32 v194, 0x4040404, v194
	v_or_b32_sdwa v187, v197, v187 dst_sel:DWORD dst_unused:UNUSED_PAD src0_sel:WORD_0 src1_sel:DWORD
	v_sub_u16_e32 v197, v191, v194
	v_sub_u16_sdwa v199, v191, v194 dst_sel:BYTE_1 dst_unused:UNUSED_PAD src0_sel:BYTE_1 src1_sel:BYTE_1
	v_sub_u16_sdwa v190, v190, v194 dst_sel:BYTE_1 dst_unused:UNUSED_PAD src0_sel:DWORD src1_sel:BYTE_3
	v_sub_u16_sdwa v191, v191, v194 dst_sel:DWORD dst_unused:UNUSED_PAD src0_sel:WORD_1 src1_sel:WORD_1
	v_or_b32_sdwa v190, v191, v190 dst_sel:WORD_1 dst_unused:UNUSED_PAD src0_sel:BYTE_0 src1_sel:DWORD
	v_add_u32_e32 v191, 0x3188, v203
	ds_read2_b32 v[201:202], v191 offset1:1
	v_or_b32_sdwa v197, v197, v199 dst_sel:DWORD dst_unused:UNUSED_PAD src0_sel:BYTE_0 src1_sel:DWORD
	v_or_b32_sdwa v190, v197, v190 dst_sel:DWORD dst_unused:UNUSED_PAD src0_sel:WORD_0 src1_sel:DWORD
	v_ashrrev_i32_e32 v197, s18, v214
	v_lshlrev_b32_e32 v197, 2, v197
	s_waitcnt lgkmcnt(0)
	v_ashrrev_i32_e32 v191, s21, v201
	v_and_b32_e32 v194, 0x3030303, v191
	v_bfe_u32 v191, v191, 24, 2
	v_and_b32_e32 v197, 0x4040404, v197
	v_sub_u16_e32 v199, v194, v197
	v_sub_u16_sdwa v201, v194, v197 dst_sel:BYTE_1 dst_unused:UNUSED_PAD src0_sel:BYTE_1 src1_sel:BYTE_1
	v_sub_u16_sdwa v191, v191, v197 dst_sel:BYTE_1 dst_unused:UNUSED_PAD src0_sel:DWORD src1_sel:BYTE_3
	v_sub_u16_sdwa v194, v194, v197 dst_sel:DWORD dst_unused:UNUSED_PAD src0_sel:WORD_1 src1_sel:WORD_1
	v_or_b32_sdwa v199, v199, v201 dst_sel:DWORD dst_unused:UNUSED_PAD src0_sel:BYTE_0 src1_sel:DWORD
	v_or_b32_sdwa v191, v194, v191 dst_sel:WORD_1 dst_unused:UNUSED_PAD src0_sel:BYTE_0 src1_sel:DWORD
	v_or_b32_sdwa v194, v199, v191 dst_sel:DWORD dst_unused:UNUSED_PAD src0_sel:WORD_0 src1_sel:DWORD
	v_ashrrev_i32_e32 v199, s18, v215
	v_ashrrev_i32_e32 v191, s21, v202
	v_lshlrev_b32_e32 v199, 2, v199
	v_and_b32_e32 v197, 0x3030303, v191
	v_bfe_u32 v191, v191, 24, 2
	v_and_b32_e32 v199, 0x4040404, v199
	v_sub_u16_e32 v201, v197, v199
	v_sub_u16_sdwa v202, v197, v199 dst_sel:BYTE_1 dst_unused:UNUSED_PAD src0_sel:BYTE_1 src1_sel:BYTE_1
	v_sub_u16_sdwa v191, v191, v199 dst_sel:BYTE_1 dst_unused:UNUSED_PAD src0_sel:DWORD src1_sel:BYTE_3
	v_sub_u16_sdwa v197, v197, v199 dst_sel:DWORD dst_unused:UNUSED_PAD src0_sel:WORD_1 src1_sel:WORD_1
	v_or_b32_sdwa v201, v201, v202 dst_sel:DWORD dst_unused:UNUSED_PAD src0_sel:BYTE_0 src1_sel:DWORD
	v_or_b32_sdwa v191, v197, v191 dst_sel:WORD_1 dst_unused:UNUSED_PAD src0_sel:BYTE_0 src1_sel:DWORD
	v_or_b32_sdwa v197, v201, v191 dst_sel:DWORD dst_unused:UNUSED_PAD src0_sel:WORD_0 src1_sel:DWORD
	v_add_u32_e32 v191, 0x3190, v203
	ds_read2_b32 v[201:202], v191 offset1:1
	ds_read2_b32 v[214:215], v216 offset0:4 offset1:5
	v_dot4_i32_i8 v38, v187, v38, 0
	v_dot4_i32_i8 v38, v190, v39, v38
	v_dot4_i32_i8 v38, v194, v40, v38
	s_waitcnt lgkmcnt(1)
	v_ashrrev_i32_e32 v191, s21, v201
	s_waitcnt lgkmcnt(0)
	v_ashrrev_i32_e32 v201, s18, v214
	v_lshlrev_b32_e32 v201, 2, v201
	v_and_b32_e32 v199, 0x3030303, v191
	v_bfe_u32 v191, v191, 24, 2
	v_and_b32_e32 v201, 0x4040404, v201
	v_sub_u16_e32 v214, v199, v201
	v_sub_u16_sdwa v217, v199, v201 dst_sel:BYTE_1 dst_unused:UNUSED_PAD src0_sel:BYTE_1 src1_sel:BYTE_1
	v_sub_u16_sdwa v191, v191, v201 dst_sel:BYTE_1 dst_unused:UNUSED_PAD src0_sel:DWORD src1_sel:BYTE_3
	v_sub_u16_sdwa v199, v199, v201 dst_sel:DWORD dst_unused:UNUSED_PAD src0_sel:WORD_1 src1_sel:WORD_1
	v_or_b32_sdwa v214, v214, v217 dst_sel:DWORD dst_unused:UNUSED_PAD src0_sel:BYTE_0 src1_sel:DWORD
	v_or_b32_sdwa v191, v199, v191 dst_sel:WORD_1 dst_unused:UNUSED_PAD src0_sel:BYTE_0 src1_sel:DWORD
	v_or_b32_sdwa v199, v214, v191 dst_sel:DWORD dst_unused:UNUSED_PAD src0_sel:WORD_0 src1_sel:DWORD
	v_ashrrev_i32_e32 v191, s21, v202
	v_ashrrev_i32_e32 v202, s18, v215
	v_lshlrev_b32_e32 v202, 2, v202
	v_and_b32_e32 v201, 0x3030303, v191
	v_bfe_u32 v191, v191, 24, 2
	v_and_b32_e32 v202, 0x4040404, v202
	v_sub_u16_e32 v214, v201, v202
	v_sub_u16_sdwa v215, v201, v202 dst_sel:BYTE_1 dst_unused:UNUSED_PAD src0_sel:BYTE_1 src1_sel:BYTE_1
	v_sub_u16_sdwa v191, v191, v202 dst_sel:BYTE_1 dst_unused:UNUSED_PAD src0_sel:DWORD src1_sel:BYTE_3
	v_sub_u16_sdwa v201, v201, v202 dst_sel:DWORD dst_unused:UNUSED_PAD src0_sel:WORD_1 src1_sel:WORD_1
	v_or_b32_sdwa v214, v214, v215 dst_sel:DWORD dst_unused:UNUSED_PAD src0_sel:BYTE_0 src1_sel:DWORD
	v_or_b32_sdwa v191, v201, v191 dst_sel:WORD_1 dst_unused:UNUSED_PAD src0_sel:BYTE_0 src1_sel:DWORD
	v_or_b32_sdwa v201, v214, v191 dst_sel:DWORD dst_unused:UNUSED_PAD src0_sel:WORD_0 src1_sel:DWORD
	v_add_u32_e32 v191, 0x3198, v203
	ds_read2_b32 v[202:203], v191 offset1:1
	ds_read2_b32 v[214:215], v216 offset0:6 offset1:7
	v_dot4_i32_i8 v34, v199, v34, 0
	v_dot4_i32_i8 v34, v201, v35, v34
	;; [unrolled: 1-line block ×3, first 2 shown]
	s_waitcnt lgkmcnt(1)
	v_ashrrev_i32_e32 v191, s21, v202
	s_waitcnt lgkmcnt(0)
	v_ashrrev_i32_e32 v214, s18, v214
	v_lshlrev_b32_e32 v214, 2, v214
	v_and_b32_e32 v202, 0x3030303, v191
	v_bfe_u32 v191, v191, 24, 2
	v_and_b32_e32 v214, 0x4040404, v214
	v_sub_u16_e32 v216, v202, v214
	v_sub_u16_sdwa v217, v202, v214 dst_sel:BYTE_1 dst_unused:UNUSED_PAD src0_sel:BYTE_1 src1_sel:BYTE_1
	v_sub_u16_sdwa v191, v191, v214 dst_sel:BYTE_1 dst_unused:UNUSED_PAD src0_sel:DWORD src1_sel:BYTE_3
	v_sub_u16_sdwa v202, v202, v214 dst_sel:DWORD dst_unused:UNUSED_PAD src0_sel:WORD_1 src1_sel:WORD_1
	v_or_b32_sdwa v216, v216, v217 dst_sel:DWORD dst_unused:UNUSED_PAD src0_sel:BYTE_0 src1_sel:DWORD
	v_or_b32_sdwa v191, v202, v191 dst_sel:WORD_1 dst_unused:UNUSED_PAD src0_sel:BYTE_0 src1_sel:DWORD
	v_ashrrev_i32_e32 v214, s18, v215
	v_or_b32_sdwa v202, v216, v191 dst_sel:DWORD dst_unused:UNUSED_PAD src0_sel:WORD_0 src1_sel:DWORD
	v_ashrrev_i32_e32 v191, s21, v203
	v_lshlrev_b32_e32 v214, 2, v214
	v_and_b32_e32 v203, 0x3030303, v191
	v_bfe_u32 v191, v191, 24, 2
	v_and_b32_e32 v214, 0x4040404, v214
	v_sub_u16_e32 v215, v203, v214
	v_sub_u16_sdwa v216, v203, v214 dst_sel:BYTE_1 dst_unused:UNUSED_PAD src0_sel:BYTE_1 src1_sel:BYTE_1
	v_sub_u16_sdwa v191, v191, v214 dst_sel:BYTE_1 dst_unused:UNUSED_PAD src0_sel:DWORD src1_sel:BYTE_3
	v_sub_u16_sdwa v203, v203, v214 dst_sel:DWORD dst_unused:UNUSED_PAD src0_sel:WORD_1 src1_sel:WORD_1
	v_or_b32_sdwa v215, v215, v216 dst_sel:DWORD dst_unused:UNUSED_PAD src0_sel:BYTE_0 src1_sel:DWORD
	v_or_b32_sdwa v191, v203, v191 dst_sel:WORD_1 dst_unused:UNUSED_PAD src0_sel:BYTE_0 src1_sel:DWORD
	v_or_b32_sdwa v203, v215, v191 dst_sel:DWORD dst_unused:UNUSED_PAD src0_sel:WORD_0 src1_sel:DWORD
	v_add3_u32 v191, s23, v169, v129
	ds_read_b32 v191, v191
	ds_read_b128 v[215:218], v174 offset:1024
	ds_read_b128 v[219:222], v174 offset:1040
	v_dot4_i32_i8 v34, v202, v36, v34
	v_dot4_i32_i8 v34, v203, v37, v34
	v_add_u32_e32 v214, s20, v139
	s_waitcnt lgkmcnt(1)
	v_dot4_i32_i8 v35, v49, v215, 0
	v_dot4_i32_i8 v35, v50, v216, v35
	;; [unrolled: 1-line block ×4, first 2 shown]
	s_waitcnt lgkmcnt(0)
	v_dot4_i32_i8 v35, v53, v219, 0
	v_dot4_i32_i8 v35, v204, v220, v35
	;; [unrolled: 1-line block ×28, first 2 shown]
	ds_read2_b32 v[35:36], v175 offset0:64 offset1:96
	ds_read_b128 v[215:218], v174 offset:2048
	ds_read_b128 v[219:222], v174 offset:2064
	s_add_i32 s18, s18, 1
	s_cmp_lt_u32 s19, 22
	s_waitcnt lgkmcnt(1)
	v_dot4_i32_i8 v39, v49, v215, 0
	v_dot4_i32_i8 v39, v50, v216, v39
	v_dot4_i32_i8 v39, v51, v217, v39
	v_dot4_i32_i8 v226, v52, v218, v39
	s_waitcnt lgkmcnt(0)
	v_dot4_i32_i8 v39, v53, v219, 0
	v_dot4_i32_i8 v39, v204, v220, v39
	;; [unrolled: 1-line block ×28, first 2 shown]
	ds_read_b128 v[217:220], v174 offset:3072
	ds_read_b128 v[221:224], v174 offset:3088
	s_waitcnt lgkmcnt(1)
	v_dot4_i32_i8 v39, v49, v217, 0
	v_dot4_i32_i8 v39, v50, v218, v39
	;; [unrolled: 1-line block ×4, first 2 shown]
	s_waitcnt lgkmcnt(0)
	v_dot4_i32_i8 v39, v53, v221, 0
	v_dot4_i32_i8 v39, v204, v222, v39
	;; [unrolled: 1-line block ×4, first 2 shown]
	ds_read_u16 v39, v48 offset:33522
	s_waitcnt lgkmcnt(0)
	v_lshrrev_b16_e32 v48, 8, v39
	v_bfe_i32 v227, v48, 0, 8
	v_bfe_i32 v228, v39, 0, 8
	v_mul_lo_u32 v37, v37, v228
	v_mul_lo_u32 v41, v41, v227
	;; [unrolled: 1-line block ×4, first 2 shown]
	v_mad_u64_u32 v[215:216], s[20:21], v226, v228, v[41:42]
	v_mad_u64_u32 v[225:226], s[20:21], v225, v227, v[37:38]
                                        ; kill: def $vgpr41 killed $sgpr0 killed $exec
	v_mul_f32_e32 v37, v176, v46
	v_mad_u64_u32 v[40:41], s[20:21], v241, v227, v[40:41]
	v_cvt_f32_i32_e32 v207, v225
	v_mul_f32_e32 v41, v176, v36
	v_mad_u64_u32 v[47:48], s[20:21], v47, v228, v[39:40]
	v_cvt_f32_i32_e32 v40, v40
	v_fmac_f32_e32 v18, v37, v207
	v_dot4_i32_i8 v37, v177, v217, 0
	v_dot4_i32_i8 v37, v178, v218, v37
	;; [unrolled: 1-line block ×3, first 2 shown]
	v_fma_f32 v20, v41, v40, v20
	v_dot4_i32_i8 v40, v182, v220, v37
	v_dot4_i32_i8 v37, v185, v221, 0
	;; [unrolled: 1-line block ×5, first 2 shown]
	ds_read_u16 v37, v209 offset:34546
	v_cvt_f32_i32_e32 v47, v47
	v_cvt_f32_i32_e32 v215, v215
	v_mul_f32_e32 v39, v176, v45
	v_mul_f32_e32 v48, v176, v35
	v_fma_f32 v19, v39, v47, v19
	s_waitcnt lgkmcnt(0)
	v_lshrrev_b16_e32 v39, 8, v37
	v_fma_f32 v21, v48, v215, v21
	v_bfe_i32 v215, v39, 0, 8
	v_bfe_i32 v216, v37, 0, 8
	v_mul_lo_u32 v41, v236, v215
	v_mul_lo_u32 v40, v40, v216
	;; [unrolled: 1-line block ×4, first 2 shown]
	v_mad_u64_u32 v[47:48], s[20:21], v235, v216, v[41:42]
                                        ; kill: def $vgpr41 killed $sgpr0 killed $exec
	v_mul_f32_e32 v48, v179, v35
	v_mad_u64_u32 v[40:41], s[20:21], v207, v215, v[40:41]
	v_mul_f32_e32 v41, v179, v36
	v_cvt_f32_i32_e32 v47, v47
	v_mad_u64_u32 v[207:208], s[20:21], v208, v216, v[39:40]
	v_mad_u64_u32 v[208:209], s[20:21], v230, v215, v[37:38]
	v_mul_f32_e32 v37, v179, v46
	v_cvt_f32_i32_e32 v40, v40
	v_cvt_f32_i32_e32 v208, v208
	;; [unrolled: 1-line block ×3, first 2 shown]
	v_mul_f32_e32 v39, v179, v45
	v_fma_f32 v32, v41, v40, v32
	v_fmac_f32_e32 v30, v37, v208
	v_dot4_i32_i8 v37, v181, v217, 0
	v_dot4_i32_i8 v37, v183, v218, v37
	;; [unrolled: 1-line block ×7, first 2 shown]
	v_fma_f32 v31, v39, v207, v31
	v_dot4_i32_i8 v207, v200, v224, v37
	ds_read_u16 v37, v212 offset:35570
	v_fma_f32 v33, v48, v47, v33
	s_waitcnt lgkmcnt(0)
	v_lshrrev_b16_e32 v39, 8, v37
	v_bfe_i32 v209, v39, 0, 8
	v_bfe_i32 v210, v37, 0, 8
	v_mul_lo_u32 v41, v238, v209
	v_mul_lo_u32 v40, v40, v210
	;; [unrolled: 1-line block ×4, first 2 shown]
	v_mad_u64_u32 v[47:48], s[20:21], v237, v210, v[41:42]
                                        ; kill: def $vgpr41 killed $sgpr0 killed $exec
	v_mul_f32_e32 v48, v184, v35
	v_mad_u64_u32 v[40:41], s[20:21], v207, v209, v[40:41]
	v_cvt_f32_i32_e32 v47, v47
	v_mul_f32_e32 v41, v184, v36
	v_mad_u64_u32 v[207:208], s[20:21], v211, v210, v[39:40]
	v_mad_u64_u32 v[211:212], s[20:21], v232, v209, v[37:38]
	v_mul_f32_e32 v37, v184, v46
	v_cvt_f32_i32_e32 v207, v207
	v_cvt_f32_i32_e32 v208, v211
	v_mul_f32_e32 v39, v184, v45
	v_fma_f32 v29, v48, v47, v29
	v_fma_f32 v27, v39, v207, v27
	v_fmac_f32_e32 v26, v37, v208
	v_dot4_i32_i8 v37, v187, v217, 0
	v_dot4_i32_i8 v37, v190, v218, v37
	v_dot4_i32_i8 v37, v194, v219, v37
	v_dot4_i32_i8 v39, v197, v220, v37
	v_dot4_i32_i8 v37, v199, v221, 0
	v_dot4_i32_i8 v37, v201, v222, v37
	v_dot4_i32_i8 v37, v202, v223, v37
	v_dot4_i32_i8 v47, v203, v224, v37
	ds_read_u16 v37, v214 offset:36594
	v_cvt_f32_i32_e32 v40, v40
	v_mul_f32_e32 v36, v191, v36
	v_fma_f32 v28, v41, v40, v28
	s_waitcnt lgkmcnt(0)
	v_lshrrev_b16_e32 v40, 8, v37
	v_bfe_i32 v207, v40, 0, 8
	v_mul_lo_u32 v40, v240, v207
	v_bfe_i32 v208, v37, 0, 8
                                        ; kill: def $vgpr41 killed $sgpr0 killed $exec
	v_mul_lo_u32 v34, v34, v207
	v_mul_lo_u32 v39, v39, v208
	v_mad_u64_u32 v[40:41], s[20:21], v239, v208, v[40:41]
	v_mul_lo_u32 v37, v233, v208
	v_mad_u64_u32 v[47:48], s[20:21], v47, v207, v[39:40]
	v_mad_u64_u32 v[38:39], s[20:21], v38, v208, v[34:35]
	v_cvt_f32_i32_e32 v41, v47
	v_cvt_f32_i32_e32 v40, v40
	v_mad_u64_u32 v[211:212], s[20:21], v234, v207, v[37:38]
	v_cvt_f32_i32_e32 v38, v38
	v_mul_f32_e32 v34, v191, v46
	v_cvt_f32_i32_e32 v39, v211
	v_mul_f32_e32 v37, v191, v45
	v_mul_f32_e32 v35, v191, v35
	v_fma_f32 v25, v35, v40, v25
	v_fma_f32 v24, v36, v41, v24
	;; [unrolled: 1-line block ×3, first 2 shown]
	v_fmac_f32_e32 v22, v34, v39
	ds_read2_b32 v[45:46], v175 offset0:128 offset1:160
	ds_read_b128 v[34:37], v174 offset:4096
	ds_read_b128 v[38:41], v174 offset:4112
	s_waitcnt lgkmcnt(1)
	v_dot4_i32_i8 v47, v49, v34, 0
	v_dot4_i32_i8 v47, v50, v35, v47
	;; [unrolled: 1-line block ×4, first 2 shown]
	s_waitcnt lgkmcnt(0)
	v_dot4_i32_i8 v47, v53, v38, 0
	v_dot4_i32_i8 v47, v204, v39, v47
	;; [unrolled: 1-line block ×28, first 2 shown]
	ds_read_b128 v[34:37], v174 offset:5120
	ds_read_b128 v[38:41], v174 offset:5136
	s_waitcnt lgkmcnt(1)
	v_dot4_i32_i8 v47, v49, v34, 0
	v_dot4_i32_i8 v47, v50, v35, v47
	;; [unrolled: 1-line block ×4, first 2 shown]
	s_waitcnt lgkmcnt(0)
	v_dot4_i32_i8 v47, v53, v38, 0
	v_dot4_i32_i8 v47, v204, v39, v47
	;; [unrolled: 1-line block ×28, first 2 shown]
	ds_read2_b32 v[47:48], v175 offset0:192 offset1:224
	ds_read_b128 v[34:37], v174 offset:6144
	ds_read_b128 v[38:41], v174 offset:6160
	v_add_u32_e32 v175, 4, v175
	s_waitcnt lgkmcnt(1)
	v_dot4_i32_i8 v223, v49, v34, 0
	v_dot4_i32_i8 v223, v50, v35, v223
	;; [unrolled: 1-line block ×4, first 2 shown]
	s_waitcnt lgkmcnt(0)
	v_dot4_i32_i8 v223, v53, v38, 0
	v_dot4_i32_i8 v223, v204, v39, v223
	;; [unrolled: 1-line block ×28, first 2 shown]
	ds_read_b128 v[38:41], v174 offset:7168
	ds_read_b128 v[34:37], v174 offset:7184
	v_add_u32_e32 v174, 32, v174
	s_waitcnt lgkmcnt(1)
	v_dot4_i32_i8 v49, v49, v38, 0
	v_dot4_i32_i8 v49, v50, v39, v49
	;; [unrolled: 1-line block ×4, first 2 shown]
	s_waitcnt lgkmcnt(0)
	v_dot4_i32_i8 v50, v53, v34, 0
	v_mul_lo_u32 v51, v49, v228
	v_mul_lo_u32 v49, v238, v227
	v_dot4_i32_i8 v50, v204, v35, v50
	v_mul_lo_u32 v52, v234, v227
	v_dot4_i32_i8 v50, v205, v36, v50
	v_mul_lo_u32 v53, v235, v228
	v_dot4_i32_i8 v204, v206, v37, v50
                                        ; kill: def $vgpr50 killed $sgpr0 killed $exec
	v_mul_f32_e32 v205, v176, v48
	v_mad_u64_u32 v[49:50], s[20:21], v237, v228, v[49:50]
	v_mad_u64_u32 v[50:51], s[20:21], v204, v227, v[51:52]
	;; [unrolled: 1-line block ×4, first 2 shown]
	v_cvt_f32_i32_e32 v49, v49
	v_mul_f32_e32 v53, v176, v46
	v_cvt_f32_i32_e32 v52, v52
	v_mul_f32_e32 v204, v176, v45
	v_mul_f32_e32 v176, v176, v47
	v_cvt_f32_i32_e32 v51, v51
	v_fma_f32 v17, v176, v49, v17
	v_fmac_f32_e32 v14, v53, v52
	v_dot4_i32_i8 v49, v177, v38, 0
	v_mul_lo_u32 v52, v232, v215
	v_cvt_f32_i32_e32 v50, v50
	v_dot4_i32_i8 v49, v178, v39, v49
	v_dot4_i32_i8 v49, v180, v40, v49
	v_fma_f32 v15, v204, v51, v15
	v_dot4_i32_i8 v51, v182, v41, v49
                                        ; kill: def $vgpr53 killed $sgpr0 killed $exec
	v_dot4_i32_i8 v49, v185, v34, 0
	v_mul_lo_u32 v51, v51, v216
	v_mad_u64_u32 v[52:53], s[20:21], v231, v216, v[52:53]
	v_fma_f32 v16, v205, v50, v16
	v_dot4_i32_i8 v49, v188, v35, v49
	v_mul_lo_u32 v50, v222, v215
	v_dot4_i32_i8 v49, v192, v36, v49
	v_dot4_i32_i8 v176, v195, v37, v49
	v_mad_u64_u32 v[176:177], s[20:21], v176, v215, v[51:52]
                                        ; kill: def $vgpr51 killed $sgpr0 killed $exec
	v_mul_lo_u32 v49, v226, v216
	v_mad_u64_u32 v[50:51], s[20:21], v221, v216, v[50:51]
	v_mul_f32_e32 v51, v179, v45
	v_cvt_f32_i32_e32 v176, v176
	v_mad_u64_u32 v[177:178], s[20:21], v225, v215, v[49:50]
	v_mul_f32_e32 v49, v179, v46
	v_cvt_f32_i32_e32 v50, v50
	v_cvt_f32_i32_e32 v177, v177
	;; [unrolled: 1-line block ×3, first 2 shown]
	v_mul_f32_e32 v53, v179, v48
	v_fma_f32 v11, v51, v50, v11
	v_fmac_f32_e32 v10, v49, v177
	v_dot4_i32_i8 v49, v181, v38, 0
	v_dot4_i32_i8 v49, v183, v39, v49
	;; [unrolled: 1-line block ×8, first 2 shown]
	v_mul_f32_e32 v178, v179, v47
	v_dot4_i32_i8 v49, v198, v36, v49
	v_dot4_i32_i8 v38, v187, v38, 0
	;; [unrolled: 1-line block ×3, first 2 shown]
	v_fma_f32 v13, v178, v52, v13
	v_fma_f32 v12, v53, v176, v12
	v_dot4_i32_i8 v176, v200, v37, v49
	v_mul_lo_u32 v52, v230, v209
	v_dot4_i32_i8 v38, v190, v39, v38
	v_dot4_i32_i8 v39, v203, v37, v34
	v_mul_lo_u32 v37, v224, v207
	v_dot4_i32_i8 v38, v194, v40, v38
	v_dot4_i32_i8 v38, v197, v41, v38
                                        ; kill: def $vgpr53 killed $sgpr0 killed $exec
	v_mul_lo_u32 v36, v38, v208
                                        ; kill: def $vgpr38 killed $sgpr0 killed $exec
	v_mul_lo_u32 v51, v51, v210
	v_mad_u64_u32 v[52:53], s[20:21], v229, v210, v[52:53]
	v_mad_u64_u32 v[37:38], s[20:21], v223, v208, v[37:38]
	v_mul_lo_u32 v50, v218, v209
	v_mul_lo_u32 v35, v212, v207
	v_mad_u64_u32 v[176:177], s[20:21], v176, v209, v[51:52]
                                        ; kill: def $vgpr51 killed $sgpr0 killed $exec
	v_mad_u64_u32 v[38:39], s[20:21], v39, v207, v[36:37]
                                        ; kill: def $vgpr36 killed $sgpr0 killed $exec
	v_mul_lo_u32 v49, v220, v210
	v_mad_u64_u32 v[50:51], s[20:21], v217, v210, v[50:51]
	v_mul_lo_u32 v34, v214, v208
	v_mad_u64_u32 v[35:36], s[20:21], v211, v208, v[35:36]
	v_mad_u64_u32 v[177:178], s[20:21], v219, v209, v[49:50]
	;; [unrolled: 1-line block ×3, first 2 shown]
	v_cvt_f32_i32_e32 v177, v177
	v_cvt_f32_i32_e32 v50, v50
	;; [unrolled: 1-line block ×8, first 2 shown]
	v_mul_f32_e32 v49, v184, v46
	v_mul_f32_e32 v51, v184, v45
	;; [unrolled: 1-line block ×8, first 2 shown]
	v_fma_f32 v9, v178, v52, v9
	v_fma_f32 v8, v53, v176, v8
	;; [unrolled: 1-line block ×3, first 2 shown]
	v_fmac_f32_e32 v6, v49, v177
	v_fma_f32 v5, v41, v37, v5
	v_fma_f32 v4, v40, v38, v4
	;; [unrolled: 1-line block ×3, first 2 shown]
	v_fmac_f32_e32 v2, v34, v39
	s_mov_b32 s20, s19
	s_cbranch_scc1 .LBB129_12
; %bb.13:                               ;   in Loop: Header=BB129_6 Depth=1
	v_add_u32_e32 v53, s16, v132
	v_add_u32_e32 v51, 12, v173
	;; [unrolled: 1-line block ×3, first 2 shown]
	v_mad_u64_u32 v[51:52], s[16:17], v51, 36, s[2:3]
	v_mad_i64_i32 v[34:35], s[16:17], v34, 36, v[43:44]
	v_add_u32_e32 v36, v53, v115
	v_mad_i64_i32 v[36:37], s[16:17], v36, 36, v[43:44]
	v_add_u32_e32 v38, v53, v116
	v_add_u32_e32 v40, v53, v117
	v_mad_i64_i32 v[38:39], s[16:17], v38, 36, v[43:44]
	v_mad_i64_i32 v[40:41], s[16:17], v40, 36, v[43:44]
	v_add_u32_e32 v45, v53, v118
	v_add_u32_e32 v47, v53, v119
	;; [unrolled: 1-line block ×4, first 2 shown]
	s_barrier
	v_mad_i64_i32 v[45:46], s[16:17], v45, 36, v[43:44]
	v_mad_i64_i32 v[47:48], s[16:17], v47, 36, v[43:44]
	;; [unrolled: 1-line block ×4, first 2 shown]
	global_load_dword v51, v[51:52], off
	s_nop 0
	global_load_dword v34, v[34:35], off offset:4
	s_nop 0
	global_load_dword v35, v[36:37], off offset:4
	;; [unrolled: 2-line block ×3, first 2 shown]
	global_load_dword v37, v[40:41], off offset:4
	s_nop 0
	global_load_dword v38, v[45:46], off offset:4
	global_load_dword v39, v[47:48], off offset:4
	;; [unrolled: 1-line block ×4, first 2 shown]
	s_mov_b32 s16, 24
	s_mov_b32 s19, 22
	s_mov_b32 s17, 4
	v_mov_b32_e32 v173, v142
	v_mov_b32_e32 v174, v141
	s_waitcnt vmcnt(8)
	v_cvt_f32_f16_e32 v45, v51
	s_waitcnt vmcnt(7)
	ds_write_b32 v155, v34
	s_waitcnt vmcnt(6)
	ds_write_b32 v156, v35
	;; [unrolled: 2-line block ×8, first 2 shown]
	ds_write_b32 v113, v45
	s_waitcnt lgkmcnt(0)
	s_barrier
.LBB129_14:                             ;   Parent Loop BB129_6 Depth=1
                                        ; =>  This Inner Loop Header: Depth=2
	s_add_i32 s18, s19, 2
	s_lshr_b32 s23, s18, 4
	s_and_b32 s21, s18, 0x3ffffff8
	v_lshl_add_u32 v202, s21, 2, v122
	s_lshl_b32 s21, s23, 5
	s_addk_i32 s21, 0x4200
	v_add3_u32 v177, s21, v170, v123
	ds_read2_b32 v[45:46], v174 offset1:32
	ds_read_b128 v[38:41], v173
	ds_read_b128 v[34:37], v173 offset:16
	ds_read2_b32 v[49:50], v177 offset1:1
	ds_read2_b32 v[47:48], v202 offset1:1
	v_add3_u32 v196, s21, v166, v126
	s_sub_i32 s20, s19, 22
	ds_read2_b32 v[197:198], v196 offset0:6 offset1:7
	s_waitcnt lgkmcnt(2)
	v_ashrrev_i32_e32 v49, s17, v49
	s_waitcnt lgkmcnt(1)
	v_ashrrev_i32_e32 v47, s20, v47
	v_lshlrev_b32_e32 v49, 2, v49
	v_and_b32_e32 v51, 0x3030303, v47
	v_bfe_u32 v47, v47, 24, 2
	v_and_b32_e32 v49, 0x4040404, v49
	v_sub_u16_e32 v52, v51, v49
	v_sub_u16_sdwa v53, v51, v49 dst_sel:BYTE_1 dst_unused:UNUSED_PAD src0_sel:BYTE_1 src1_sel:BYTE_1
	v_sub_u16_sdwa v47, v47, v49 dst_sel:BYTE_1 dst_unused:UNUSED_PAD src0_sel:DWORD src1_sel:BYTE_3
	v_sub_u16_sdwa v49, v51, v49 dst_sel:DWORD dst_unused:UNUSED_PAD src0_sel:WORD_1 src1_sel:WORD_1
	v_or_b32_sdwa v52, v52, v53 dst_sel:DWORD dst_unused:UNUSED_PAD src0_sel:BYTE_0 src1_sel:DWORD
	v_or_b32_sdwa v47, v49, v47 dst_sel:WORD_1 dst_unused:UNUSED_PAD src0_sel:BYTE_0 src1_sel:DWORD
	v_ashrrev_i32_e32 v50, s17, v50
	v_or_b32_sdwa v49, v52, v47 dst_sel:DWORD dst_unused:UNUSED_PAD src0_sel:WORD_0 src1_sel:DWORD
	v_ashrrev_i32_e32 v47, s20, v48
	v_lshlrev_b32_e32 v50, 2, v50
	v_and_b32_e32 v48, 0x3030303, v47
	v_bfe_u32 v47, v47, 24, 2
	v_and_b32_e32 v50, 0x4040404, v50
	v_sub_u16_e32 v51, v48, v50
	v_sub_u16_sdwa v52, v48, v50 dst_sel:BYTE_1 dst_unused:UNUSED_PAD src0_sel:BYTE_1 src1_sel:BYTE_1
	v_sub_u16_sdwa v47, v47, v50 dst_sel:BYTE_1 dst_unused:UNUSED_PAD src0_sel:DWORD src1_sel:BYTE_3
	v_sub_u16_sdwa v48, v48, v50 dst_sel:DWORD dst_unused:UNUSED_PAD src0_sel:WORD_1 src1_sel:WORD_1
	v_or_b32_sdwa v51, v51, v52 dst_sel:DWORD dst_unused:UNUSED_PAD src0_sel:BYTE_0 src1_sel:DWORD
	v_or_b32_sdwa v47, v48, v47 dst_sel:WORD_1 dst_unused:UNUSED_PAD src0_sel:BYTE_0 src1_sel:DWORD
	v_or_b32_sdwa v50, v51, v47 dst_sel:DWORD dst_unused:UNUSED_PAD src0_sel:WORD_0 src1_sel:DWORD
	ds_read2_b32 v[47:48], v202 offset0:2 offset1:3
	ds_read2_b32 v[51:52], v177 offset0:2 offset1:3
	s_and_b32 s22, s16, -16
	s_add_i32 s19, s19, s22
	s_lshl_b32 s22, s23, 2
	s_waitcnt lgkmcnt(1)
	v_ashrrev_i32_e32 v47, s20, v47
	s_waitcnt lgkmcnt(0)
	v_ashrrev_i32_e32 v51, s17, v51
	v_lshlrev_b32_e32 v51, 2, v51
	v_and_b32_e32 v53, 0x3030303, v47
	v_bfe_u32 v47, v47, 24, 2
	v_and_b32_e32 v51, 0x4040404, v51
	v_sub_u16_e32 v175, v53, v51
	v_sub_u16_sdwa v176, v53, v51 dst_sel:BYTE_1 dst_unused:UNUSED_PAD src0_sel:BYTE_1 src1_sel:BYTE_1
	v_sub_u16_sdwa v47, v47, v51 dst_sel:BYTE_1 dst_unused:UNUSED_PAD src0_sel:DWORD src1_sel:BYTE_3
	v_sub_u16_sdwa v51, v53, v51 dst_sel:DWORD dst_unused:UNUSED_PAD src0_sel:WORD_1 src1_sel:WORD_1
	v_or_b32_sdwa v175, v175, v176 dst_sel:DWORD dst_unused:UNUSED_PAD src0_sel:BYTE_0 src1_sel:DWORD
	v_or_b32_sdwa v47, v51, v47 dst_sel:WORD_1 dst_unused:UNUSED_PAD src0_sel:BYTE_0 src1_sel:DWORD
	v_ashrrev_i32_e32 v52, s17, v52
	v_or_b32_sdwa v51, v175, v47 dst_sel:DWORD dst_unused:UNUSED_PAD src0_sel:WORD_0 src1_sel:DWORD
	v_ashrrev_i32_e32 v47, s20, v48
	v_lshlrev_b32_e32 v52, 2, v52
	v_and_b32_e32 v48, 0x3030303, v47
	v_bfe_u32 v47, v47, 24, 2
	v_and_b32_e32 v52, 0x4040404, v52
	v_sub_u16_e32 v53, v48, v52
	v_sub_u16_sdwa v175, v48, v52 dst_sel:BYTE_1 dst_unused:UNUSED_PAD src0_sel:BYTE_1 src1_sel:BYTE_1
	v_sub_u16_sdwa v47, v47, v52 dst_sel:BYTE_1 dst_unused:UNUSED_PAD src0_sel:DWORD src1_sel:BYTE_3
	v_sub_u16_sdwa v48, v48, v52 dst_sel:DWORD dst_unused:UNUSED_PAD src0_sel:WORD_1 src1_sel:WORD_1
	v_or_b32_sdwa v53, v53, v175 dst_sel:DWORD dst_unused:UNUSED_PAD src0_sel:BYTE_0 src1_sel:DWORD
	v_or_b32_sdwa v47, v48, v47 dst_sel:WORD_1 dst_unused:UNUSED_PAD src0_sel:BYTE_0 src1_sel:DWORD
	v_or_b32_sdwa v52, v53, v47 dst_sel:DWORD dst_unused:UNUSED_PAD src0_sel:WORD_0 src1_sel:DWORD
	ds_read2_b32 v[47:48], v202 offset0:4 offset1:5
	ds_read2_b32 v[175:176], v177 offset0:4 offset1:5
	s_add_i32 s22, s22, 0x9380
	v_add3_u32 v186, s21, v164, v124
	v_add3_u32 v215, s21, v168, v128
	s_waitcnt lgkmcnt(1)
	v_ashrrev_i32_e32 v47, s20, v47
	s_waitcnt lgkmcnt(0)
	v_ashrrev_i32_e32 v175, s17, v175
	v_lshlrev_b32_e32 v175, 2, v175
	v_and_b32_e32 v53, 0x3030303, v47
	v_bfe_u32 v47, v47, 24, 2
	v_and_b32_e32 v175, 0x4040404, v175
	v_sub_u16_e32 v178, v53, v175
	v_sub_u16_sdwa v179, v53, v175 dst_sel:BYTE_1 dst_unused:UNUSED_PAD src0_sel:BYTE_1 src1_sel:BYTE_1
	v_sub_u16_sdwa v47, v47, v175 dst_sel:BYTE_1 dst_unused:UNUSED_PAD src0_sel:DWORD src1_sel:BYTE_3
	v_sub_u16_sdwa v53, v53, v175 dst_sel:DWORD dst_unused:UNUSED_PAD src0_sel:WORD_1 src1_sel:WORD_1
	v_or_b32_sdwa v178, v178, v179 dst_sel:DWORD dst_unused:UNUSED_PAD src0_sel:BYTE_0 src1_sel:DWORD
	v_or_b32_sdwa v47, v53, v47 dst_sel:WORD_1 dst_unused:UNUSED_PAD src0_sel:BYTE_0 src1_sel:DWORD
	v_ashrrev_i32_e32 v175, s17, v176
	v_or_b32_sdwa v53, v178, v47 dst_sel:DWORD dst_unused:UNUSED_PAD src0_sel:WORD_0 src1_sel:DWORD
	v_ashrrev_i32_e32 v47, s20, v48
	v_lshlrev_b32_e32 v175, 2, v175
	v_and_b32_e32 v48, 0x3030303, v47
	v_bfe_u32 v47, v47, 24, 2
	v_and_b32_e32 v175, 0x4040404, v175
	v_sub_u16_e32 v176, v48, v175
	v_sub_u16_sdwa v178, v48, v175 dst_sel:BYTE_1 dst_unused:UNUSED_PAD src0_sel:BYTE_1 src1_sel:BYTE_1
	v_sub_u16_sdwa v47, v47, v175 dst_sel:BYTE_1 dst_unused:UNUSED_PAD src0_sel:DWORD src1_sel:BYTE_3
	v_sub_u16_sdwa v48, v48, v175 dst_sel:DWORD dst_unused:UNUSED_PAD src0_sel:WORD_1 src1_sel:WORD_1
	v_or_b32_sdwa v176, v176, v178 dst_sel:DWORD dst_unused:UNUSED_PAD src0_sel:BYTE_0 src1_sel:DWORD
	v_or_b32_sdwa v47, v48, v47 dst_sel:WORD_1 dst_unused:UNUSED_PAD src0_sel:BYTE_0 src1_sel:DWORD
	v_or_b32_sdwa v203, v176, v47 dst_sel:DWORD dst_unused:UNUSED_PAD src0_sel:WORD_0 src1_sel:DWORD
	ds_read2_b32 v[47:48], v202 offset0:6 offset1:7
	ds_read2_b32 v[175:176], v177 offset0:6 offset1:7
	;; [unrolled: 1-line block ×3, first 2 shown]
	v_add_u32_e32 v208, s19, v135
	v_add_u32_e32 v211, s19, v137
	s_waitcnt lgkmcnt(2)
	v_ashrrev_i32_e32 v47, s20, v47
	s_waitcnt lgkmcnt(1)
	v_ashrrev_i32_e32 v175, s17, v175
	v_lshlrev_b32_e32 v175, 2, v175
	v_and_b32_e32 v178, 0x3030303, v47
	v_bfe_u32 v47, v47, 24, 2
	v_and_b32_e32 v175, 0x4040404, v175
	v_sub_u16_e32 v177, v178, v175
	v_sub_u16_sdwa v179, v178, v175 dst_sel:BYTE_1 dst_unused:UNUSED_PAD src0_sel:BYTE_1 src1_sel:BYTE_1
	v_sub_u16_sdwa v47, v47, v175 dst_sel:BYTE_1 dst_unused:UNUSED_PAD src0_sel:DWORD src1_sel:BYTE_3
	v_sub_u16_sdwa v175, v178, v175 dst_sel:DWORD dst_unused:UNUSED_PAD src0_sel:WORD_1 src1_sel:WORD_1
	v_or_b32_sdwa v177, v177, v179 dst_sel:DWORD dst_unused:UNUSED_PAD src0_sel:BYTE_0 src1_sel:DWORD
	v_or_b32_sdwa v47, v175, v47 dst_sel:WORD_1 dst_unused:UNUSED_PAD src0_sel:BYTE_0 src1_sel:DWORD
	v_ashrrev_i32_e32 v175, s17, v176
	v_or_b32_sdwa v204, v177, v47 dst_sel:DWORD dst_unused:UNUSED_PAD src0_sel:WORD_0 src1_sel:DWORD
	v_ashrrev_i32_e32 v47, s20, v48
	v_lshlrev_b32_e32 v175, 2, v175
	v_and_b32_e32 v48, 0x3030303, v47
	v_bfe_u32 v47, v47, 24, 2
	v_and_b32_e32 v175, 0x4040404, v175
	v_sub_u16_e32 v176, v48, v175
	v_sub_u16_sdwa v177, v48, v175 dst_sel:BYTE_1 dst_unused:UNUSED_PAD src0_sel:BYTE_1 src1_sel:BYTE_1
	v_sub_u16_sdwa v47, v47, v175 dst_sel:BYTE_1 dst_unused:UNUSED_PAD src0_sel:DWORD src1_sel:BYTE_3
	v_sub_u16_sdwa v48, v48, v175 dst_sel:DWORD dst_unused:UNUSED_PAD src0_sel:WORD_1 src1_sel:WORD_1
	v_or_b32_sdwa v176, v176, v177 dst_sel:DWORD dst_unused:UNUSED_PAD src0_sel:BYTE_0 src1_sel:DWORD
	v_or_b32_sdwa v47, v48, v47 dst_sel:WORD_1 dst_unused:UNUSED_PAD src0_sel:BYTE_0 src1_sel:DWORD
	v_or_b32_sdwa v205, v176, v47 dst_sel:DWORD dst_unused:UNUSED_PAD src0_sel:WORD_0 src1_sel:DWORD
	v_dot4_i32_i8 v176, v53, v34, 0
	v_dot4_i32_i8 v176, v203, v35, v176
	;; [unrolled: 1-line block ×3, first 2 shown]
	v_add3_u32 v47, s22, v171, v172
	v_dot4_i32_i8 v206, v205, v37, v176
	v_add_u32_e32 v176, 0x1080, v202
	ds_read_b32 v175, v47
	ds_read2_b32 v[176:177], v176 offset1:1
	ds_read2_b32 v[178:179], v186 offset1:1
	v_dot4_i32_i8 v47, v49, v38, 0
	v_dot4_i32_i8 v47, v50, v39, v47
	;; [unrolled: 1-line block ×3, first 2 shown]
	s_waitcnt lgkmcnt(1)
	v_ashrrev_i32_e32 v176, s20, v176
	s_waitcnt lgkmcnt(0)
	v_ashrrev_i32_e32 v178, s17, v178
	v_lshlrev_b32_e32 v178, 2, v178
	v_and_b32_e32 v180, 0x3030303, v176
	v_bfe_u32 v176, v176, 24, 2
	v_and_b32_e32 v178, 0x4040404, v178
	v_ashrrev_i32_e32 v179, s17, v179
	v_sub_u16_e32 v181, v180, v178
	v_sub_u16_sdwa v182, v180, v178 dst_sel:BYTE_1 dst_unused:UNUSED_PAD src0_sel:BYTE_1 src1_sel:BYTE_1
	v_sub_u16_sdwa v176, v176, v178 dst_sel:BYTE_1 dst_unused:UNUSED_PAD src0_sel:DWORD src1_sel:BYTE_3
	v_sub_u16_sdwa v178, v180, v178 dst_sel:DWORD dst_unused:UNUSED_PAD src0_sel:WORD_1 src1_sel:WORD_1
	v_ashrrev_i32_e32 v177, s20, v177
	v_lshlrev_b32_e32 v179, 2, v179
	v_or_b32_sdwa v181, v181, v182 dst_sel:DWORD dst_unused:UNUSED_PAD src0_sel:BYTE_0 src1_sel:DWORD
	v_or_b32_sdwa v176, v178, v176 dst_sel:WORD_1 dst_unused:UNUSED_PAD src0_sel:BYTE_0 src1_sel:DWORD
	v_and_b32_e32 v178, 0x3030303, v177
	v_bfe_u32 v177, v177, 24, 2
	v_and_b32_e32 v179, 0x4040404, v179
	v_or_b32_sdwa v176, v181, v176 dst_sel:DWORD dst_unused:UNUSED_PAD src0_sel:WORD_0 src1_sel:DWORD
	v_sub_u16_e32 v180, v178, v179
	v_sub_u16_sdwa v181, v178, v179 dst_sel:BYTE_1 dst_unused:UNUSED_PAD src0_sel:BYTE_1 src1_sel:BYTE_1
	v_sub_u16_sdwa v177, v177, v179 dst_sel:BYTE_1 dst_unused:UNUSED_PAD src0_sel:DWORD src1_sel:BYTE_3
	v_sub_u16_sdwa v178, v178, v179 dst_sel:DWORD dst_unused:UNUSED_PAD src0_sel:WORD_1 src1_sel:WORD_1
	v_or_b32_sdwa v180, v180, v181 dst_sel:DWORD dst_unused:UNUSED_PAD src0_sel:BYTE_0 src1_sel:DWORD
	v_or_b32_sdwa v177, v178, v177 dst_sel:WORD_1 dst_unused:UNUSED_PAD src0_sel:BYTE_0 src1_sel:DWORD
	v_add_u32_e32 v178, 0x1088, v202
	v_or_b32_sdwa v177, v180, v177 dst_sel:DWORD dst_unused:UNUSED_PAD src0_sel:WORD_0 src1_sel:DWORD
	ds_read2_b32 v[179:180], v178 offset1:1
	ds_read2_b32 v[181:182], v186 offset0:2 offset1:3
	ds_read2_b32 v[200:201], v215 offset1:1
	v_dot4_i32_i8 v47, v52, v41, v47
	v_add_u32_e32 v48, s19, v133
	s_waitcnt lgkmcnt(2)
	v_ashrrev_i32_e32 v178, s20, v179
	s_waitcnt lgkmcnt(1)
	v_ashrrev_i32_e32 v181, s17, v181
	v_lshlrev_b32_e32 v181, 2, v181
	v_and_b32_e32 v179, 0x3030303, v178
	v_bfe_u32 v178, v178, 24, 2
	v_and_b32_e32 v181, 0x4040404, v181
	v_sub_u16_e32 v183, v179, v181
	v_sub_u16_sdwa v184, v179, v181 dst_sel:BYTE_1 dst_unused:UNUSED_PAD src0_sel:BYTE_1 src1_sel:BYTE_1
	v_sub_u16_sdwa v178, v178, v181 dst_sel:BYTE_1 dst_unused:UNUSED_PAD src0_sel:DWORD src1_sel:BYTE_3
	v_sub_u16_sdwa v179, v179, v181 dst_sel:DWORD dst_unused:UNUSED_PAD src0_sel:WORD_1 src1_sel:WORD_1
	v_or_b32_sdwa v183, v183, v184 dst_sel:DWORD dst_unused:UNUSED_PAD src0_sel:BYTE_0 src1_sel:DWORD
	v_or_b32_sdwa v178, v179, v178 dst_sel:WORD_1 dst_unused:UNUSED_PAD src0_sel:BYTE_0 src1_sel:DWORD
	v_ashrrev_i32_e32 v181, s17, v182
	v_or_b32_sdwa v179, v183, v178 dst_sel:DWORD dst_unused:UNUSED_PAD src0_sel:WORD_0 src1_sel:DWORD
	v_ashrrev_i32_e32 v178, s20, v180
	v_lshlrev_b32_e32 v181, 2, v181
	v_and_b32_e32 v180, 0x3030303, v178
	v_bfe_u32 v178, v178, 24, 2
	v_and_b32_e32 v181, 0x4040404, v181
	v_sub_u16_e32 v182, v180, v181
	v_sub_u16_sdwa v183, v180, v181 dst_sel:BYTE_1 dst_unused:UNUSED_PAD src0_sel:BYTE_1 src1_sel:BYTE_1
	v_sub_u16_sdwa v178, v178, v181 dst_sel:BYTE_1 dst_unused:UNUSED_PAD src0_sel:DWORD src1_sel:BYTE_3
	v_sub_u16_sdwa v180, v180, v181 dst_sel:DWORD dst_unused:UNUSED_PAD src0_sel:WORD_1 src1_sel:WORD_1
	v_or_b32_sdwa v182, v182, v183 dst_sel:DWORD dst_unused:UNUSED_PAD src0_sel:BYTE_0 src1_sel:DWORD
	v_or_b32_sdwa v178, v180, v178 dst_sel:WORD_1 dst_unused:UNUSED_PAD src0_sel:BYTE_0 src1_sel:DWORD
	v_or_b32_sdwa v181, v182, v178 dst_sel:DWORD dst_unused:UNUSED_PAD src0_sel:WORD_0 src1_sel:DWORD
	v_add_u32_e32 v178, 0x1090, v202
	ds_read2_b32 v[182:183], v178 offset1:1
	ds_read2_b32 v[184:185], v186 offset0:4 offset1:5
	s_add_i32 s16, s16, 2
	s_waitcnt lgkmcnt(1)
	v_ashrrev_i32_e32 v178, s20, v182
	s_waitcnt lgkmcnt(0)
	v_ashrrev_i32_e32 v182, s17, v184
	v_lshlrev_b32_e32 v182, 2, v182
	v_and_b32_e32 v180, 0x3030303, v178
	v_bfe_u32 v178, v178, 24, 2
	v_and_b32_e32 v182, 0x4040404, v182
	v_sub_u16_e32 v184, v180, v182
	v_sub_u16_sdwa v187, v180, v182 dst_sel:BYTE_1 dst_unused:UNUSED_PAD src0_sel:BYTE_1 src1_sel:BYTE_1
	v_sub_u16_sdwa v178, v178, v182 dst_sel:BYTE_1 dst_unused:UNUSED_PAD src0_sel:DWORD src1_sel:BYTE_3
	v_sub_u16_sdwa v180, v180, v182 dst_sel:DWORD dst_unused:UNUSED_PAD src0_sel:WORD_1 src1_sel:WORD_1
	v_or_b32_sdwa v184, v184, v187 dst_sel:DWORD dst_unused:UNUSED_PAD src0_sel:BYTE_0 src1_sel:DWORD
	v_or_b32_sdwa v178, v180, v178 dst_sel:WORD_1 dst_unused:UNUSED_PAD src0_sel:BYTE_0 src1_sel:DWORD
	v_ashrrev_i32_e32 v182, s17, v185
	v_or_b32_sdwa v184, v184, v178 dst_sel:DWORD dst_unused:UNUSED_PAD src0_sel:WORD_0 src1_sel:DWORD
	v_ashrrev_i32_e32 v178, s20, v183
	v_lshlrev_b32_e32 v182, 2, v182
	v_and_b32_e32 v180, 0x3030303, v178
	v_bfe_u32 v178, v178, 24, 2
	v_and_b32_e32 v182, 0x4040404, v182
	v_sub_u16_e32 v183, v180, v182
	v_sub_u16_sdwa v185, v180, v182 dst_sel:BYTE_1 dst_unused:UNUSED_PAD src0_sel:BYTE_1 src1_sel:BYTE_1
	v_sub_u16_sdwa v178, v178, v182 dst_sel:BYTE_1 dst_unused:UNUSED_PAD src0_sel:DWORD src1_sel:BYTE_3
	v_sub_u16_sdwa v180, v180, v182 dst_sel:DWORD dst_unused:UNUSED_PAD src0_sel:WORD_1 src1_sel:WORD_1
	v_or_b32_sdwa v183, v183, v185 dst_sel:DWORD dst_unused:UNUSED_PAD src0_sel:BYTE_0 src1_sel:DWORD
	v_or_b32_sdwa v178, v180, v178 dst_sel:WORD_1 dst_unused:UNUSED_PAD src0_sel:BYTE_0 src1_sel:DWORD
	v_or_b32_sdwa v187, v183, v178 dst_sel:DWORD dst_unused:UNUSED_PAD src0_sel:WORD_0 src1_sel:DWORD
	v_add_u32_e32 v178, 0x1098, v202
	ds_read2_b32 v[182:183], v178 offset1:1
	ds_read2_b32 v[185:186], v186 offset0:6 offset1:7
	s_waitcnt lgkmcnt(1)
	v_ashrrev_i32_e32 v178, s20, v182
	s_waitcnt lgkmcnt(0)
	v_ashrrev_i32_e32 v182, s17, v185
	v_lshlrev_b32_e32 v182, 2, v182
	v_and_b32_e32 v180, 0x3030303, v178
	v_bfe_u32 v178, v178, 24, 2
	v_and_b32_e32 v182, 0x4040404, v182
	v_sub_u16_e32 v185, v180, v182
	v_sub_u16_sdwa v188, v180, v182 dst_sel:BYTE_1 dst_unused:UNUSED_PAD src0_sel:BYTE_1 src1_sel:BYTE_1
	v_sub_u16_sdwa v178, v178, v182 dst_sel:BYTE_1 dst_unused:UNUSED_PAD src0_sel:DWORD src1_sel:BYTE_3
	v_sub_u16_sdwa v180, v180, v182 dst_sel:DWORD dst_unused:UNUSED_PAD src0_sel:WORD_1 src1_sel:WORD_1
	v_or_b32_sdwa v185, v185, v188 dst_sel:DWORD dst_unused:UNUSED_PAD src0_sel:BYTE_0 src1_sel:DWORD
	v_or_b32_sdwa v178, v180, v178 dst_sel:WORD_1 dst_unused:UNUSED_PAD src0_sel:BYTE_0 src1_sel:DWORD
	v_ashrrev_i32_e32 v182, s17, v186
	v_or_b32_sdwa v191, v185, v178 dst_sel:DWORD dst_unused:UNUSED_PAD src0_sel:WORD_0 src1_sel:DWORD
	v_ashrrev_i32_e32 v178, s20, v183
	v_lshlrev_b32_e32 v182, 2, v182
	v_and_b32_e32 v180, 0x3030303, v178
	v_bfe_u32 v178, v178, 24, 2
	v_and_b32_e32 v182, 0x4040404, v182
	v_sub_u16_e32 v183, v180, v182
	v_sub_u16_sdwa v185, v180, v182 dst_sel:BYTE_1 dst_unused:UNUSED_PAD src0_sel:BYTE_1 src1_sel:BYTE_1
	v_sub_u16_sdwa v178, v178, v182 dst_sel:BYTE_1 dst_unused:UNUSED_PAD src0_sel:DWORD src1_sel:BYTE_3
	v_sub_u16_sdwa v180, v180, v182 dst_sel:DWORD dst_unused:UNUSED_PAD src0_sel:WORD_1 src1_sel:WORD_1
	v_or_b32_sdwa v178, v180, v178 dst_sel:WORD_1 dst_unused:UNUSED_PAD src0_sel:BYTE_0 src1_sel:DWORD
	v_dot4_i32_i8 v180, v176, v38, 0
	v_dot4_i32_i8 v180, v177, v39, v180
	;; [unrolled: 1-line block ×5, first 2 shown]
	v_or_b32_sdwa v183, v183, v185 dst_sel:DWORD dst_unused:UNUSED_PAD src0_sel:BYTE_0 src1_sel:DWORD
	v_dot4_i32_i8 v180, v187, v35, v180
	v_or_b32_sdwa v194, v183, v178 dst_sel:DWORD dst_unused:UNUSED_PAD src0_sel:WORD_0 src1_sel:DWORD
	v_dot4_i32_i8 v180, v191, v36, v180
	v_add3_u32 v178, s22, v165, v125
	v_dot4_i32_i8 v209, v194, v37, v180
	v_add_u32_e32 v180, 0x2100, v202
	ds_read_b32 v178, v178
	ds_read2_b32 v[182:183], v180 offset1:1
	ds_read2_b32 v[185:186], v196 offset1:1
	s_waitcnt lgkmcnt(1)
	v_ashrrev_i32_e32 v180, s20, v182
	s_waitcnt lgkmcnt(0)
	v_ashrrev_i32_e32 v185, s17, v185
	v_lshlrev_b32_e32 v185, 2, v185
	v_and_b32_e32 v182, 0x3030303, v180
	v_bfe_u32 v180, v180, 24, 2
	v_and_b32_e32 v185, 0x4040404, v185
	v_sub_u16_e32 v188, v182, v185
	v_sub_u16_sdwa v189, v182, v185 dst_sel:BYTE_1 dst_unused:UNUSED_PAD src0_sel:BYTE_1 src1_sel:BYTE_1
	v_sub_u16_sdwa v180, v180, v185 dst_sel:BYTE_1 dst_unused:UNUSED_PAD src0_sel:DWORD src1_sel:BYTE_3
	v_sub_u16_sdwa v182, v182, v185 dst_sel:DWORD dst_unused:UNUSED_PAD src0_sel:WORD_1 src1_sel:WORD_1
	v_ashrrev_i32_e32 v185, s17, v186
	v_or_b32_sdwa v180, v182, v180 dst_sel:WORD_1 dst_unused:UNUSED_PAD src0_sel:BYTE_0 src1_sel:DWORD
	v_ashrrev_i32_e32 v182, s20, v183
	v_lshlrev_b32_e32 v185, 2, v185
	v_or_b32_sdwa v188, v188, v189 dst_sel:DWORD dst_unused:UNUSED_PAD src0_sel:BYTE_0 src1_sel:DWORD
	v_and_b32_e32 v183, 0x3030303, v182
	v_bfe_u32 v182, v182, 24, 2
	v_and_b32_e32 v185, 0x4040404, v185
	v_or_b32_sdwa v180, v188, v180 dst_sel:DWORD dst_unused:UNUSED_PAD src0_sel:WORD_0 src1_sel:DWORD
	v_sub_u16_e32 v186, v183, v185
	v_sub_u16_sdwa v188, v183, v185 dst_sel:BYTE_1 dst_unused:UNUSED_PAD src0_sel:BYTE_1 src1_sel:BYTE_1
	v_sub_u16_sdwa v182, v182, v185 dst_sel:BYTE_1 dst_unused:UNUSED_PAD src0_sel:DWORD src1_sel:BYTE_3
	v_sub_u16_sdwa v183, v183, v185 dst_sel:DWORD dst_unused:UNUSED_PAD src0_sel:WORD_1 src1_sel:WORD_1
	v_or_b32_sdwa v186, v186, v188 dst_sel:DWORD dst_unused:UNUSED_PAD src0_sel:BYTE_0 src1_sel:DWORD
	v_or_b32_sdwa v182, v183, v182 dst_sel:WORD_1 dst_unused:UNUSED_PAD src0_sel:BYTE_0 src1_sel:DWORD
	v_add_u32_e32 v183, 0x2108, v202
	v_or_b32_sdwa v182, v186, v182 dst_sel:DWORD dst_unused:UNUSED_PAD src0_sel:WORD_0 src1_sel:DWORD
	ds_read2_b32 v[185:186], v183 offset1:1
	ds_read2_b32 v[188:189], v196 offset0:2 offset1:3
	s_waitcnt lgkmcnt(1)
	v_ashrrev_i32_e32 v183, s20, v185
	s_waitcnt lgkmcnt(0)
	v_ashrrev_i32_e32 v188, s17, v188
	v_lshlrev_b32_e32 v188, 2, v188
	v_and_b32_e32 v185, 0x3030303, v183
	v_bfe_u32 v183, v183, 24, 2
	v_and_b32_e32 v188, 0x4040404, v188
	v_sub_u16_e32 v190, v185, v188
	v_sub_u16_sdwa v192, v185, v188 dst_sel:BYTE_1 dst_unused:UNUSED_PAD src0_sel:BYTE_1 src1_sel:BYTE_1
	v_sub_u16_sdwa v183, v183, v188 dst_sel:BYTE_1 dst_unused:UNUSED_PAD src0_sel:DWORD src1_sel:BYTE_3
	v_sub_u16_sdwa v185, v185, v188 dst_sel:DWORD dst_unused:UNUSED_PAD src0_sel:WORD_1 src1_sel:WORD_1
	v_or_b32_sdwa v190, v190, v192 dst_sel:DWORD dst_unused:UNUSED_PAD src0_sel:BYTE_0 src1_sel:DWORD
	v_or_b32_sdwa v183, v185, v183 dst_sel:WORD_1 dst_unused:UNUSED_PAD src0_sel:BYTE_0 src1_sel:DWORD
	v_ashrrev_i32_e32 v188, s17, v189
	v_or_b32_sdwa v185, v190, v183 dst_sel:DWORD dst_unused:UNUSED_PAD src0_sel:WORD_0 src1_sel:DWORD
	v_ashrrev_i32_e32 v183, s20, v186
	v_lshlrev_b32_e32 v188, 2, v188
	v_and_b32_e32 v186, 0x3030303, v183
	v_bfe_u32 v183, v183, 24, 2
	v_and_b32_e32 v188, 0x4040404, v188
	v_sub_u16_e32 v189, v186, v188
	v_sub_u16_sdwa v190, v186, v188 dst_sel:BYTE_1 dst_unused:UNUSED_PAD src0_sel:BYTE_1 src1_sel:BYTE_1
	v_sub_u16_sdwa v183, v183, v188 dst_sel:BYTE_1 dst_unused:UNUSED_PAD src0_sel:DWORD src1_sel:BYTE_3
	v_sub_u16_sdwa v186, v186, v188 dst_sel:DWORD dst_unused:UNUSED_PAD src0_sel:WORD_1 src1_sel:WORD_1
	v_or_b32_sdwa v189, v189, v190 dst_sel:DWORD dst_unused:UNUSED_PAD src0_sel:BYTE_0 src1_sel:DWORD
	v_or_b32_sdwa v183, v186, v183 dst_sel:WORD_1 dst_unused:UNUSED_PAD src0_sel:BYTE_0 src1_sel:DWORD
	v_or_b32_sdwa v188, v189, v183 dst_sel:DWORD dst_unused:UNUSED_PAD src0_sel:WORD_0 src1_sel:DWORD
	v_add_u32_e32 v183, 0x2110, v202
	ds_read2_b32 v[189:190], v183 offset1:1
	ds_read2_b32 v[192:193], v196 offset0:4 offset1:5
	s_waitcnt lgkmcnt(1)
	v_ashrrev_i32_e32 v183, s20, v189
	s_waitcnt lgkmcnt(0)
	v_ashrrev_i32_e32 v189, s17, v192
	v_lshlrev_b32_e32 v189, 2, v189
	v_and_b32_e32 v186, 0x3030303, v183
	v_bfe_u32 v183, v183, 24, 2
	v_and_b32_e32 v189, 0x4040404, v189
	v_sub_u16_e32 v192, v186, v189
	v_sub_u16_sdwa v195, v186, v189 dst_sel:BYTE_1 dst_unused:UNUSED_PAD src0_sel:BYTE_1 src1_sel:BYTE_1
	v_sub_u16_sdwa v183, v183, v189 dst_sel:BYTE_1 dst_unused:UNUSED_PAD src0_sel:DWORD src1_sel:BYTE_3
	v_sub_u16_sdwa v186, v186, v189 dst_sel:DWORD dst_unused:UNUSED_PAD src0_sel:WORD_1 src1_sel:WORD_1
	v_or_b32_sdwa v192, v192, v195 dst_sel:DWORD dst_unused:UNUSED_PAD src0_sel:BYTE_0 src1_sel:DWORD
	v_or_b32_sdwa v183, v186, v183 dst_sel:WORD_1 dst_unused:UNUSED_PAD src0_sel:BYTE_0 src1_sel:DWORD
	v_ashrrev_i32_e32 v189, s17, v193
	v_or_b32_sdwa v192, v192, v183 dst_sel:DWORD dst_unused:UNUSED_PAD src0_sel:WORD_0 src1_sel:DWORD
	v_ashrrev_i32_e32 v183, s20, v190
	v_lshlrev_b32_e32 v189, 2, v189
	v_and_b32_e32 v186, 0x3030303, v183
	v_bfe_u32 v183, v183, 24, 2
	v_and_b32_e32 v189, 0x4040404, v189
	v_sub_u16_e32 v190, v186, v189
	v_sub_u16_sdwa v193, v186, v189 dst_sel:BYTE_1 dst_unused:UNUSED_PAD src0_sel:BYTE_1 src1_sel:BYTE_1
	v_sub_u16_sdwa v183, v183, v189 dst_sel:BYTE_1 dst_unused:UNUSED_PAD src0_sel:DWORD src1_sel:BYTE_3
	v_sub_u16_sdwa v186, v186, v189 dst_sel:DWORD dst_unused:UNUSED_PAD src0_sel:WORD_1 src1_sel:WORD_1
	v_or_b32_sdwa v190, v190, v193 dst_sel:DWORD dst_unused:UNUSED_PAD src0_sel:BYTE_0 src1_sel:DWORD
	v_or_b32_sdwa v183, v186, v183 dst_sel:WORD_1 dst_unused:UNUSED_PAD src0_sel:BYTE_0 src1_sel:DWORD
	v_or_b32_sdwa v195, v190, v183 dst_sel:DWORD dst_unused:UNUSED_PAD src0_sel:WORD_0 src1_sel:DWORD
	v_add_u32_e32 v183, 0x2118, v202
	ds_read2_b32 v[189:190], v183 offset1:1
	s_waitcnt lgkmcnt(0)
	v_ashrrev_i32_e32 v183, s20, v189
	v_ashrrev_i32_e32 v189, s17, v197
	v_lshlrev_b32_e32 v189, 2, v189
	v_and_b32_e32 v186, 0x3030303, v183
	v_bfe_u32 v183, v183, 24, 2
	v_and_b32_e32 v189, 0x4040404, v189
	v_sub_u16_e32 v193, v186, v189
	v_sub_u16_sdwa v196, v186, v189 dst_sel:BYTE_1 dst_unused:UNUSED_PAD src0_sel:BYTE_1 src1_sel:BYTE_1
	v_sub_u16_sdwa v183, v183, v189 dst_sel:BYTE_1 dst_unused:UNUSED_PAD src0_sel:DWORD src1_sel:BYTE_3
	v_sub_u16_sdwa v186, v186, v189 dst_sel:DWORD dst_unused:UNUSED_PAD src0_sel:WORD_1 src1_sel:WORD_1
	v_or_b32_sdwa v193, v193, v196 dst_sel:DWORD dst_unused:UNUSED_PAD src0_sel:BYTE_0 src1_sel:DWORD
	v_or_b32_sdwa v183, v186, v183 dst_sel:WORD_1 dst_unused:UNUSED_PAD src0_sel:BYTE_0 src1_sel:DWORD
	v_ashrrev_i32_e32 v189, s17, v198
	v_or_b32_sdwa v197, v193, v183 dst_sel:DWORD dst_unused:UNUSED_PAD src0_sel:WORD_0 src1_sel:DWORD
	v_ashrrev_i32_e32 v183, s20, v190
	v_lshlrev_b32_e32 v189, 2, v189
	v_and_b32_e32 v186, 0x3030303, v183
	v_bfe_u32 v183, v183, 24, 2
	v_and_b32_e32 v189, 0x4040404, v189
	v_sub_u16_e32 v190, v186, v189
	v_sub_u16_sdwa v193, v186, v189 dst_sel:BYTE_1 dst_unused:UNUSED_PAD src0_sel:BYTE_1 src1_sel:BYTE_1
	v_sub_u16_sdwa v183, v183, v189 dst_sel:BYTE_1 dst_unused:UNUSED_PAD src0_sel:DWORD src1_sel:BYTE_3
	v_sub_u16_sdwa v186, v186, v189 dst_sel:DWORD dst_unused:UNUSED_PAD src0_sel:WORD_1 src1_sel:WORD_1
	v_or_b32_sdwa v183, v186, v183 dst_sel:WORD_1 dst_unused:UNUSED_PAD src0_sel:BYTE_0 src1_sel:DWORD
	v_dot4_i32_i8 v186, v180, v38, 0
	v_dot4_i32_i8 v186, v182, v39, v186
	;; [unrolled: 1-line block ×5, first 2 shown]
	v_or_b32_sdwa v190, v190, v193 dst_sel:DWORD dst_unused:UNUSED_PAD src0_sel:BYTE_0 src1_sel:DWORD
	v_dot4_i32_i8 v186, v195, v35, v186
	v_or_b32_sdwa v199, v190, v183 dst_sel:DWORD dst_unused:UNUSED_PAD src0_sel:WORD_0 src1_sel:DWORD
	v_dot4_i32_i8 v186, v197, v36, v186
	v_add3_u32 v183, s22, v167, v127
	v_dot4_i32_i8 v212, v199, v37, v186
	v_add_u32_e32 v186, 0x3180, v202
	ds_read_b32 v183, v183
	ds_read2_b32 v[189:190], v186 offset1:1
	v_ashrrev_i32_e32 v193, s17, v200
	v_lshlrev_b32_e32 v193, 2, v193
	v_and_b32_e32 v193, 0x4040404, v193
	s_waitcnt lgkmcnt(0)
	v_ashrrev_i32_e32 v186, s20, v189
	v_and_b32_e32 v189, 0x3030303, v186
	v_bfe_u32 v186, v186, 24, 2
	v_sub_u16_e32 v196, v189, v193
	v_sub_u16_sdwa v198, v189, v193 dst_sel:BYTE_1 dst_unused:UNUSED_PAD src0_sel:BYTE_1 src1_sel:BYTE_1
	v_sub_u16_sdwa v186, v186, v193 dst_sel:BYTE_1 dst_unused:UNUSED_PAD src0_sel:DWORD src1_sel:BYTE_3
	v_sub_u16_sdwa v189, v189, v193 dst_sel:DWORD dst_unused:UNUSED_PAD src0_sel:WORD_1 src1_sel:WORD_1
	v_ashrrev_i32_e32 v193, s17, v201
	v_or_b32_sdwa v186, v189, v186 dst_sel:WORD_1 dst_unused:UNUSED_PAD src0_sel:BYTE_0 src1_sel:DWORD
	v_ashrrev_i32_e32 v189, s20, v190
	v_lshlrev_b32_e32 v193, 2, v193
	v_or_b32_sdwa v196, v196, v198 dst_sel:DWORD dst_unused:UNUSED_PAD src0_sel:BYTE_0 src1_sel:DWORD
	v_and_b32_e32 v190, 0x3030303, v189
	v_bfe_u32 v189, v189, 24, 2
	v_and_b32_e32 v193, 0x4040404, v193
	v_or_b32_sdwa v186, v196, v186 dst_sel:DWORD dst_unused:UNUSED_PAD src0_sel:WORD_0 src1_sel:DWORD
	v_sub_u16_e32 v196, v190, v193
	v_sub_u16_sdwa v198, v190, v193 dst_sel:BYTE_1 dst_unused:UNUSED_PAD src0_sel:BYTE_1 src1_sel:BYTE_1
	v_sub_u16_sdwa v189, v189, v193 dst_sel:BYTE_1 dst_unused:UNUSED_PAD src0_sel:DWORD src1_sel:BYTE_3
	v_sub_u16_sdwa v190, v190, v193 dst_sel:DWORD dst_unused:UNUSED_PAD src0_sel:WORD_1 src1_sel:WORD_1
	v_or_b32_sdwa v189, v190, v189 dst_sel:WORD_1 dst_unused:UNUSED_PAD src0_sel:BYTE_0 src1_sel:DWORD
	v_add_u32_e32 v190, 0x3188, v202
	ds_read2_b32 v[200:201], v190 offset1:1
	v_or_b32_sdwa v196, v196, v198 dst_sel:DWORD dst_unused:UNUSED_PAD src0_sel:BYTE_0 src1_sel:DWORD
	v_or_b32_sdwa v189, v196, v189 dst_sel:DWORD dst_unused:UNUSED_PAD src0_sel:WORD_0 src1_sel:DWORD
	v_ashrrev_i32_e32 v196, s17, v213
	v_lshlrev_b32_e32 v196, 2, v196
	s_waitcnt lgkmcnt(0)
	v_ashrrev_i32_e32 v190, s20, v200
	v_and_b32_e32 v193, 0x3030303, v190
	v_bfe_u32 v190, v190, 24, 2
	v_and_b32_e32 v196, 0x4040404, v196
	v_sub_u16_e32 v198, v193, v196
	v_sub_u16_sdwa v200, v193, v196 dst_sel:BYTE_1 dst_unused:UNUSED_PAD src0_sel:BYTE_1 src1_sel:BYTE_1
	v_sub_u16_sdwa v190, v190, v196 dst_sel:BYTE_1 dst_unused:UNUSED_PAD src0_sel:DWORD src1_sel:BYTE_3
	v_sub_u16_sdwa v193, v193, v196 dst_sel:DWORD dst_unused:UNUSED_PAD src0_sel:WORD_1 src1_sel:WORD_1
	v_or_b32_sdwa v198, v198, v200 dst_sel:DWORD dst_unused:UNUSED_PAD src0_sel:BYTE_0 src1_sel:DWORD
	v_or_b32_sdwa v190, v193, v190 dst_sel:WORD_1 dst_unused:UNUSED_PAD src0_sel:BYTE_0 src1_sel:DWORD
	v_or_b32_sdwa v193, v198, v190 dst_sel:DWORD dst_unused:UNUSED_PAD src0_sel:WORD_0 src1_sel:DWORD
	v_ashrrev_i32_e32 v198, s17, v214
	v_ashrrev_i32_e32 v190, s20, v201
	v_lshlrev_b32_e32 v198, 2, v198
	v_and_b32_e32 v196, 0x3030303, v190
	v_bfe_u32 v190, v190, 24, 2
	v_and_b32_e32 v198, 0x4040404, v198
	v_sub_u16_e32 v200, v196, v198
	v_sub_u16_sdwa v201, v196, v198 dst_sel:BYTE_1 dst_unused:UNUSED_PAD src0_sel:BYTE_1 src1_sel:BYTE_1
	v_sub_u16_sdwa v190, v190, v198 dst_sel:BYTE_1 dst_unused:UNUSED_PAD src0_sel:DWORD src1_sel:BYTE_3
	v_sub_u16_sdwa v196, v196, v198 dst_sel:DWORD dst_unused:UNUSED_PAD src0_sel:WORD_1 src1_sel:WORD_1
	v_or_b32_sdwa v200, v200, v201 dst_sel:DWORD dst_unused:UNUSED_PAD src0_sel:BYTE_0 src1_sel:DWORD
	v_or_b32_sdwa v190, v196, v190 dst_sel:WORD_1 dst_unused:UNUSED_PAD src0_sel:BYTE_0 src1_sel:DWORD
	v_or_b32_sdwa v196, v200, v190 dst_sel:DWORD dst_unused:UNUSED_PAD src0_sel:WORD_0 src1_sel:DWORD
	v_add_u32_e32 v190, 0x3190, v202
	ds_read2_b32 v[200:201], v190 offset1:1
	ds_read2_b32 v[213:214], v215 offset0:4 offset1:5
	v_dot4_i32_i8 v38, v186, v38, 0
	v_dot4_i32_i8 v38, v189, v39, v38
	;; [unrolled: 1-line block ×3, first 2 shown]
	s_waitcnt lgkmcnt(1)
	v_ashrrev_i32_e32 v190, s20, v200
	s_waitcnt lgkmcnt(0)
	v_ashrrev_i32_e32 v200, s17, v213
	v_lshlrev_b32_e32 v200, 2, v200
	v_and_b32_e32 v198, 0x3030303, v190
	v_bfe_u32 v190, v190, 24, 2
	v_and_b32_e32 v200, 0x4040404, v200
	v_sub_u16_e32 v213, v198, v200
	v_sub_u16_sdwa v216, v198, v200 dst_sel:BYTE_1 dst_unused:UNUSED_PAD src0_sel:BYTE_1 src1_sel:BYTE_1
	v_sub_u16_sdwa v190, v190, v200 dst_sel:BYTE_1 dst_unused:UNUSED_PAD src0_sel:DWORD src1_sel:BYTE_3
	v_sub_u16_sdwa v198, v198, v200 dst_sel:DWORD dst_unused:UNUSED_PAD src0_sel:WORD_1 src1_sel:WORD_1
	v_or_b32_sdwa v213, v213, v216 dst_sel:DWORD dst_unused:UNUSED_PAD src0_sel:BYTE_0 src1_sel:DWORD
	v_or_b32_sdwa v190, v198, v190 dst_sel:WORD_1 dst_unused:UNUSED_PAD src0_sel:BYTE_0 src1_sel:DWORD
	v_or_b32_sdwa v198, v213, v190 dst_sel:DWORD dst_unused:UNUSED_PAD src0_sel:WORD_0 src1_sel:DWORD
	v_ashrrev_i32_e32 v190, s20, v201
	v_ashrrev_i32_e32 v201, s17, v214
	v_lshlrev_b32_e32 v201, 2, v201
	v_and_b32_e32 v200, 0x3030303, v190
	v_bfe_u32 v190, v190, 24, 2
	v_and_b32_e32 v201, 0x4040404, v201
	v_sub_u16_e32 v213, v200, v201
	v_sub_u16_sdwa v214, v200, v201 dst_sel:BYTE_1 dst_unused:UNUSED_PAD src0_sel:BYTE_1 src1_sel:BYTE_1
	v_sub_u16_sdwa v190, v190, v201 dst_sel:BYTE_1 dst_unused:UNUSED_PAD src0_sel:DWORD src1_sel:BYTE_3
	v_sub_u16_sdwa v200, v200, v201 dst_sel:DWORD dst_unused:UNUSED_PAD src0_sel:WORD_1 src1_sel:WORD_1
	v_or_b32_sdwa v213, v213, v214 dst_sel:DWORD dst_unused:UNUSED_PAD src0_sel:BYTE_0 src1_sel:DWORD
	v_or_b32_sdwa v190, v200, v190 dst_sel:WORD_1 dst_unused:UNUSED_PAD src0_sel:BYTE_0 src1_sel:DWORD
	v_or_b32_sdwa v200, v213, v190 dst_sel:DWORD dst_unused:UNUSED_PAD src0_sel:WORD_0 src1_sel:DWORD
	v_add_u32_e32 v190, 0x3198, v202
	ds_read2_b32 v[201:202], v190 offset1:1
	ds_read2_b32 v[213:214], v215 offset0:6 offset1:7
	v_dot4_i32_i8 v34, v198, v34, 0
	v_dot4_i32_i8 v34, v200, v35, v34
	;; [unrolled: 1-line block ×3, first 2 shown]
	s_waitcnt lgkmcnt(1)
	v_ashrrev_i32_e32 v190, s20, v201
	s_waitcnt lgkmcnt(0)
	v_ashrrev_i32_e32 v213, s17, v213
	v_lshlrev_b32_e32 v213, 2, v213
	v_and_b32_e32 v201, 0x3030303, v190
	v_bfe_u32 v190, v190, 24, 2
	v_and_b32_e32 v213, 0x4040404, v213
	v_sub_u16_e32 v215, v201, v213
	v_sub_u16_sdwa v216, v201, v213 dst_sel:BYTE_1 dst_unused:UNUSED_PAD src0_sel:BYTE_1 src1_sel:BYTE_1
	v_sub_u16_sdwa v190, v190, v213 dst_sel:BYTE_1 dst_unused:UNUSED_PAD src0_sel:DWORD src1_sel:BYTE_3
	v_sub_u16_sdwa v201, v201, v213 dst_sel:DWORD dst_unused:UNUSED_PAD src0_sel:WORD_1 src1_sel:WORD_1
	v_or_b32_sdwa v215, v215, v216 dst_sel:DWORD dst_unused:UNUSED_PAD src0_sel:BYTE_0 src1_sel:DWORD
	v_or_b32_sdwa v190, v201, v190 dst_sel:WORD_1 dst_unused:UNUSED_PAD src0_sel:BYTE_0 src1_sel:DWORD
	v_ashrrev_i32_e32 v213, s17, v214
	v_or_b32_sdwa v201, v215, v190 dst_sel:DWORD dst_unused:UNUSED_PAD src0_sel:WORD_0 src1_sel:DWORD
	v_ashrrev_i32_e32 v190, s20, v202
	v_lshlrev_b32_e32 v213, 2, v213
	v_and_b32_e32 v202, 0x3030303, v190
	v_bfe_u32 v190, v190, 24, 2
	v_and_b32_e32 v213, 0x4040404, v213
	v_sub_u16_e32 v214, v202, v213
	v_sub_u16_sdwa v215, v202, v213 dst_sel:BYTE_1 dst_unused:UNUSED_PAD src0_sel:BYTE_1 src1_sel:BYTE_1
	v_sub_u16_sdwa v190, v190, v213 dst_sel:BYTE_1 dst_unused:UNUSED_PAD src0_sel:DWORD src1_sel:BYTE_3
	v_sub_u16_sdwa v202, v202, v213 dst_sel:DWORD dst_unused:UNUSED_PAD src0_sel:WORD_1 src1_sel:WORD_1
	v_or_b32_sdwa v214, v214, v215 dst_sel:DWORD dst_unused:UNUSED_PAD src0_sel:BYTE_0 src1_sel:DWORD
	v_or_b32_sdwa v190, v202, v190 dst_sel:WORD_1 dst_unused:UNUSED_PAD src0_sel:BYTE_0 src1_sel:DWORD
	v_or_b32_sdwa v202, v214, v190 dst_sel:DWORD dst_unused:UNUSED_PAD src0_sel:WORD_0 src1_sel:DWORD
	v_add3_u32 v190, s22, v169, v129
	ds_read_b32 v190, v190
	ds_read_b128 v[214:217], v173 offset:1024
	ds_read_b128 v[218:221], v173 offset:1040
	v_dot4_i32_i8 v34, v201, v36, v34
	v_dot4_i32_i8 v34, v202, v37, v34
	v_add_u32_e32 v213, s19, v139
	s_waitcnt lgkmcnt(1)
	v_dot4_i32_i8 v35, v49, v214, 0
	v_dot4_i32_i8 v35, v50, v215, v35
	;; [unrolled: 1-line block ×4, first 2 shown]
	s_waitcnt lgkmcnt(0)
	v_dot4_i32_i8 v35, v53, v218, 0
	v_dot4_i32_i8 v35, v203, v219, v35
	;; [unrolled: 1-line block ×28, first 2 shown]
	ds_read2_b32 v[35:36], v174 offset0:64 offset1:96
	ds_read_b128 v[214:217], v173 offset:2048
	ds_read_b128 v[218:221], v173 offset:2064
	s_add_i32 s17, s17, 1
	s_cmp_lt_u32 s18, 30
	s_mov_b32 s19, s18
	s_waitcnt lgkmcnt(1)
	v_dot4_i32_i8 v39, v49, v214, 0
	v_dot4_i32_i8 v39, v50, v215, v39
	;; [unrolled: 1-line block ×4, first 2 shown]
	s_waitcnt lgkmcnt(0)
	v_dot4_i32_i8 v39, v53, v218, 0
	v_dot4_i32_i8 v39, v203, v219, v39
	v_dot4_i32_i8 v39, v204, v220, v39
	v_dot4_i32_i8 v41, v205, v221, v39
	v_dot4_i32_i8 v39, v176, v214, 0
	v_dot4_i32_i8 v39, v177, v215, v39
	v_dot4_i32_i8 v39, v179, v216, v39
	v_dot4_i32_i8 v234, v181, v217, v39
	v_dot4_i32_i8 v39, v184, v218, 0
	v_dot4_i32_i8 v39, v187, v219, v39
	v_dot4_i32_i8 v39, v191, v220, v39
	v_dot4_i32_i8 v235, v194, v221, v39
	v_dot4_i32_i8 v39, v180, v214, 0
	v_dot4_i32_i8 v39, v182, v215, v39
	v_dot4_i32_i8 v39, v185, v216, v39
	v_dot4_i32_i8 v236, v188, v217, v39
	v_dot4_i32_i8 v39, v192, v218, 0
	v_dot4_i32_i8 v39, v195, v219, v39
	v_dot4_i32_i8 v39, v197, v220, v39
	v_dot4_i32_i8 v237, v199, v221, v39
	v_dot4_i32_i8 v39, v186, v214, 0
	v_dot4_i32_i8 v39, v189, v215, v39
	v_dot4_i32_i8 v39, v193, v216, v39
	v_dot4_i32_i8 v238, v196, v217, v39
	v_dot4_i32_i8 v39, v198, v218, 0
	v_dot4_i32_i8 v39, v200, v219, v39
	v_dot4_i32_i8 v39, v201, v220, v39
	v_dot4_i32_i8 v239, v202, v221, v39
	ds_read_b128 v[216:219], v173 offset:3072
	ds_read_b128 v[220:223], v173 offset:3088
	s_waitcnt lgkmcnt(1)
	v_dot4_i32_i8 v39, v49, v216, 0
	v_dot4_i32_i8 v39, v50, v217, v39
	;; [unrolled: 1-line block ×4, first 2 shown]
	s_waitcnt lgkmcnt(0)
	v_dot4_i32_i8 v39, v53, v220, 0
	v_dot4_i32_i8 v39, v203, v221, v39
	v_dot4_i32_i8 v39, v204, v222, v39
	v_dot4_i32_i8 v240, v205, v223, v39
	ds_read_u16 v39, v48 offset:33522
	s_waitcnt lgkmcnt(0)
	v_lshrrev_b16_e32 v48, 8, v39
	v_bfe_i32 v226, v48, 0, 8
	v_bfe_i32 v227, v39, 0, 8
	v_mul_lo_u32 v37, v37, v227
	v_mul_lo_u32 v41, v41, v226
	;; [unrolled: 1-line block ×4, first 2 shown]
	v_mad_u64_u32 v[214:215], s[20:21], v225, v227, v[41:42]
	v_mad_u64_u32 v[224:225], s[20:21], v224, v226, v[37:38]
                                        ; kill: def $vgpr41 killed $sgpr0 killed $exec
	v_mul_f32_e32 v37, v175, v46
	v_mad_u64_u32 v[40:41], s[20:21], v240, v226, v[40:41]
	v_cvt_f32_i32_e32 v206, v224
	v_mul_f32_e32 v41, v175, v36
	v_mad_u64_u32 v[47:48], s[20:21], v47, v227, v[39:40]
	v_cvt_f32_i32_e32 v40, v40
	v_fmac_f32_e32 v18, v37, v206
	v_dot4_i32_i8 v37, v176, v216, 0
	v_dot4_i32_i8 v37, v177, v217, v37
	;; [unrolled: 1-line block ×3, first 2 shown]
	v_fma_f32 v20, v41, v40, v20
	v_dot4_i32_i8 v40, v181, v219, v37
	v_dot4_i32_i8 v37, v184, v220, 0
	;; [unrolled: 1-line block ×5, first 2 shown]
	ds_read_u16 v37, v208 offset:34546
	v_cvt_f32_i32_e32 v47, v47
	v_cvt_f32_i32_e32 v214, v214
	v_mul_f32_e32 v39, v175, v45
	v_mul_f32_e32 v48, v175, v35
	v_fma_f32 v19, v39, v47, v19
	s_waitcnt lgkmcnt(0)
	v_lshrrev_b16_e32 v39, 8, v37
	v_fma_f32 v21, v48, v214, v21
	v_bfe_i32 v214, v39, 0, 8
	v_bfe_i32 v215, v37, 0, 8
	v_mul_lo_u32 v41, v235, v214
	v_mul_lo_u32 v40, v40, v215
	;; [unrolled: 1-line block ×4, first 2 shown]
	v_mad_u64_u32 v[47:48], s[20:21], v234, v215, v[41:42]
                                        ; kill: def $vgpr41 killed $sgpr0 killed $exec
	v_mul_f32_e32 v48, v178, v35
	v_mad_u64_u32 v[40:41], s[20:21], v206, v214, v[40:41]
	v_mul_f32_e32 v41, v178, v36
	v_cvt_f32_i32_e32 v47, v47
	v_mad_u64_u32 v[206:207], s[20:21], v207, v215, v[39:40]
	v_mad_u64_u32 v[207:208], s[20:21], v229, v214, v[37:38]
	v_mul_f32_e32 v37, v178, v46
	v_cvt_f32_i32_e32 v40, v40
	v_cvt_f32_i32_e32 v207, v207
	;; [unrolled: 1-line block ×3, first 2 shown]
	v_mul_f32_e32 v39, v178, v45
	v_fma_f32 v32, v41, v40, v32
	v_fmac_f32_e32 v30, v37, v207
	v_dot4_i32_i8 v37, v180, v216, 0
	v_dot4_i32_i8 v37, v182, v217, v37
	;; [unrolled: 1-line block ×7, first 2 shown]
	v_fma_f32 v31, v39, v206, v31
	v_dot4_i32_i8 v206, v199, v223, v37
	ds_read_u16 v37, v211 offset:35570
	v_fma_f32 v33, v48, v47, v33
	s_waitcnt lgkmcnt(0)
	v_lshrrev_b16_e32 v39, 8, v37
	v_bfe_i32 v208, v39, 0, 8
	v_bfe_i32 v209, v37, 0, 8
	v_mul_lo_u32 v41, v237, v208
	v_mul_lo_u32 v40, v40, v209
	;; [unrolled: 1-line block ×4, first 2 shown]
	v_mad_u64_u32 v[47:48], s[20:21], v236, v209, v[41:42]
                                        ; kill: def $vgpr41 killed $sgpr0 killed $exec
	v_mul_f32_e32 v48, v183, v35
	v_mad_u64_u32 v[40:41], s[20:21], v206, v208, v[40:41]
	v_cvt_f32_i32_e32 v47, v47
	v_mul_f32_e32 v41, v183, v36
	v_mad_u64_u32 v[206:207], s[20:21], v210, v209, v[39:40]
	v_mad_u64_u32 v[210:211], s[20:21], v231, v208, v[37:38]
	v_mul_f32_e32 v37, v183, v46
	v_cvt_f32_i32_e32 v206, v206
	v_cvt_f32_i32_e32 v207, v210
	v_mul_f32_e32 v39, v183, v45
	v_fma_f32 v29, v48, v47, v29
	v_fma_f32 v27, v39, v206, v27
	v_fmac_f32_e32 v26, v37, v207
	v_dot4_i32_i8 v37, v186, v216, 0
	v_dot4_i32_i8 v37, v189, v217, v37
	;; [unrolled: 1-line block ×8, first 2 shown]
	ds_read_u16 v37, v213 offset:36594
	v_cvt_f32_i32_e32 v40, v40
	v_mul_f32_e32 v36, v190, v36
	v_fma_f32 v28, v41, v40, v28
	s_waitcnt lgkmcnt(0)
	v_lshrrev_b16_e32 v40, 8, v37
	v_bfe_i32 v206, v40, 0, 8
	v_mul_lo_u32 v40, v239, v206
	v_bfe_i32 v207, v37, 0, 8
                                        ; kill: def $vgpr41 killed $sgpr0 killed $exec
	v_mul_lo_u32 v34, v34, v206
	v_mul_lo_u32 v39, v39, v207
	v_mad_u64_u32 v[40:41], s[20:21], v238, v207, v[40:41]
	v_mul_lo_u32 v37, v232, v207
	v_mad_u64_u32 v[47:48], s[20:21], v47, v206, v[39:40]
	v_mad_u64_u32 v[38:39], s[20:21], v38, v207, v[34:35]
	v_cvt_f32_i32_e32 v41, v47
	v_cvt_f32_i32_e32 v40, v40
	v_mad_u64_u32 v[210:211], s[20:21], v233, v206, v[37:38]
	v_cvt_f32_i32_e32 v38, v38
	v_mul_f32_e32 v34, v190, v46
	v_cvt_f32_i32_e32 v39, v210
	v_mul_f32_e32 v37, v190, v45
	v_mul_f32_e32 v35, v190, v35
	v_fma_f32 v25, v35, v40, v25
	v_fma_f32 v24, v36, v41, v24
	;; [unrolled: 1-line block ×3, first 2 shown]
	v_fmac_f32_e32 v22, v34, v39
	ds_read2_b32 v[45:46], v174 offset0:128 offset1:160
	ds_read_b128 v[34:37], v173 offset:4096
	ds_read_b128 v[38:41], v173 offset:4112
	s_waitcnt lgkmcnt(1)
	v_dot4_i32_i8 v47, v49, v34, 0
	v_dot4_i32_i8 v47, v50, v35, v47
	;; [unrolled: 1-line block ×4, first 2 shown]
	s_waitcnt lgkmcnt(0)
	v_dot4_i32_i8 v47, v53, v38, 0
	v_dot4_i32_i8 v47, v203, v39, v47
	;; [unrolled: 1-line block ×28, first 2 shown]
	ds_read_b128 v[34:37], v173 offset:5120
	ds_read_b128 v[38:41], v173 offset:5136
	s_waitcnt lgkmcnt(1)
	v_dot4_i32_i8 v47, v49, v34, 0
	v_dot4_i32_i8 v47, v50, v35, v47
	v_dot4_i32_i8 v47, v51, v36, v47
	v_dot4_i32_i8 v234, v52, v37, v47
	s_waitcnt lgkmcnt(0)
	v_dot4_i32_i8 v47, v53, v38, 0
	v_dot4_i32_i8 v47, v203, v39, v47
	v_dot4_i32_i8 v47, v204, v40, v47
	v_dot4_i32_i8 v235, v205, v41, v47
	v_dot4_i32_i8 v47, v176, v34, 0
	v_dot4_i32_i8 v47, v177, v35, v47
	v_dot4_i32_i8 v47, v179, v36, v47
	v_dot4_i32_i8 v225, v181, v37, v47
	v_dot4_i32_i8 v47, v184, v38, 0
	v_dot4_i32_i8 v47, v187, v39, v47
	v_dot4_i32_i8 v47, v191, v40, v47
	v_dot4_i32_i8 v224, v194, v41, v47
	v_dot4_i32_i8 v47, v180, v34, 0
	v_dot4_i32_i8 v34, v186, v34, 0
	v_dot4_i32_i8 v47, v182, v35, v47
	v_dot4_i32_i8 v34, v189, v35, v34
	v_dot4_i32_i8 v47, v185, v36, v47
	v_dot4_i32_i8 v34, v193, v36, v34
	v_dot4_i32_i8 v219, v188, v37, v47
	v_dot4_i32_i8 v47, v192, v38, 0
	v_dot4_i32_i8 v213, v196, v37, v34
	v_dot4_i32_i8 v34, v198, v38, 0
	v_dot4_i32_i8 v47, v195, v39, v47
	v_dot4_i32_i8 v34, v200, v39, v34
	v_dot4_i32_i8 v47, v197, v40, v47
	v_dot4_i32_i8 v34, v201, v40, v34
	v_dot4_i32_i8 v218, v199, v41, v47
	v_dot4_i32_i8 v212, v202, v41, v34
	ds_read2_b32 v[47:48], v174 offset0:192 offset1:224
	ds_read_b128 v[34:37], v173 offset:6144
	ds_read_b128 v[38:41], v173 offset:6160
	v_add_u32_e32 v174, 4, v174
	s_waitcnt lgkmcnt(1)
	v_dot4_i32_i8 v222, v49, v34, 0
	v_dot4_i32_i8 v222, v50, v35, v222
	;; [unrolled: 1-line block ×4, first 2 shown]
	s_waitcnt lgkmcnt(0)
	v_dot4_i32_i8 v222, v53, v38, 0
	v_dot4_i32_i8 v222, v203, v39, v222
	;; [unrolled: 1-line block ×28, first 2 shown]
	ds_read_b128 v[38:41], v173 offset:7168
	ds_read_b128 v[34:37], v173 offset:7184
	v_add_u32_e32 v173, 32, v173
	s_waitcnt lgkmcnt(1)
	v_dot4_i32_i8 v49, v49, v38, 0
	v_dot4_i32_i8 v49, v50, v39, v49
	;; [unrolled: 1-line block ×4, first 2 shown]
	s_waitcnt lgkmcnt(0)
	v_dot4_i32_i8 v50, v53, v34, 0
	v_mul_lo_u32 v51, v49, v227
	v_mul_lo_u32 v49, v237, v226
	v_dot4_i32_i8 v50, v203, v35, v50
	v_mul_lo_u32 v52, v233, v226
	v_dot4_i32_i8 v50, v204, v36, v50
	;; [unrolled: 2-line block ×3, first 2 shown]
                                        ; kill: def $vgpr50 killed $sgpr0 killed $exec
	v_mul_f32_e32 v204, v175, v48
	v_mad_u64_u32 v[49:50], s[20:21], v236, v227, v[49:50]
	v_mad_u64_u32 v[50:51], s[20:21], v203, v226, v[51:52]
	;; [unrolled: 1-line block ×4, first 2 shown]
	v_cvt_f32_i32_e32 v49, v49
	v_mul_f32_e32 v53, v175, v46
	v_cvt_f32_i32_e32 v52, v52
	v_mul_f32_e32 v203, v175, v45
	v_mul_f32_e32 v175, v175, v47
	v_cvt_f32_i32_e32 v51, v51
	v_fma_f32 v17, v175, v49, v17
	v_fmac_f32_e32 v14, v53, v52
	v_dot4_i32_i8 v49, v176, v38, 0
	v_mul_lo_u32 v52, v231, v214
	v_cvt_f32_i32_e32 v50, v50
	v_dot4_i32_i8 v49, v177, v39, v49
	v_dot4_i32_i8 v49, v179, v40, v49
	v_fma_f32 v15, v203, v51, v15
	v_dot4_i32_i8 v51, v181, v41, v49
                                        ; kill: def $vgpr53 killed $sgpr0 killed $exec
	v_dot4_i32_i8 v49, v184, v34, 0
	v_mul_lo_u32 v51, v51, v215
	v_mad_u64_u32 v[52:53], s[20:21], v230, v215, v[52:53]
	v_fma_f32 v16, v204, v50, v16
	v_dot4_i32_i8 v49, v187, v35, v49
	v_mul_lo_u32 v50, v221, v214
	v_dot4_i32_i8 v49, v191, v36, v49
	v_dot4_i32_i8 v175, v194, v37, v49
	v_mad_u64_u32 v[175:176], s[20:21], v175, v214, v[51:52]
                                        ; kill: def $vgpr51 killed $sgpr0 killed $exec
	v_mul_lo_u32 v49, v225, v215
	v_mad_u64_u32 v[50:51], s[20:21], v220, v215, v[50:51]
	v_mul_f32_e32 v51, v178, v45
	v_cvt_f32_i32_e32 v175, v175
	v_mad_u64_u32 v[176:177], s[20:21], v224, v214, v[49:50]
	v_mul_f32_e32 v49, v178, v46
	v_cvt_f32_i32_e32 v50, v50
	v_cvt_f32_i32_e32 v176, v176
	;; [unrolled: 1-line block ×3, first 2 shown]
	v_mul_f32_e32 v53, v178, v48
	v_fma_f32 v11, v51, v50, v11
	v_fmac_f32_e32 v10, v49, v176
	v_dot4_i32_i8 v49, v180, v38, 0
	v_dot4_i32_i8 v49, v182, v39, v49
	;; [unrolled: 1-line block ×8, first 2 shown]
	v_mul_f32_e32 v177, v178, v47
	v_dot4_i32_i8 v49, v197, v36, v49
	v_dot4_i32_i8 v38, v186, v38, 0
	;; [unrolled: 1-line block ×3, first 2 shown]
	v_fma_f32 v13, v177, v52, v13
	v_fma_f32 v12, v53, v175, v12
	v_dot4_i32_i8 v175, v199, v37, v49
	v_mul_lo_u32 v52, v229, v208
	v_dot4_i32_i8 v38, v189, v39, v38
	v_dot4_i32_i8 v39, v202, v37, v34
	v_mul_lo_u32 v37, v223, v206
	v_dot4_i32_i8 v38, v193, v40, v38
	v_dot4_i32_i8 v38, v196, v41, v38
                                        ; kill: def $vgpr53 killed $sgpr0 killed $exec
	v_mul_lo_u32 v36, v38, v207
                                        ; kill: def $vgpr38 killed $sgpr0 killed $exec
	v_mul_lo_u32 v51, v51, v209
	v_mad_u64_u32 v[52:53], s[20:21], v228, v209, v[52:53]
	v_mad_u64_u32 v[37:38], s[20:21], v222, v207, v[37:38]
	v_mul_lo_u32 v50, v217, v208
	v_mul_lo_u32 v35, v211, v206
	v_mad_u64_u32 v[175:176], s[20:21], v175, v208, v[51:52]
                                        ; kill: def $vgpr51 killed $sgpr0 killed $exec
	v_mad_u64_u32 v[38:39], s[20:21], v39, v206, v[36:37]
                                        ; kill: def $vgpr36 killed $sgpr0 killed $exec
	v_mul_lo_u32 v49, v219, v209
	v_mad_u64_u32 v[50:51], s[20:21], v216, v209, v[50:51]
	v_mul_lo_u32 v34, v213, v207
	v_mad_u64_u32 v[35:36], s[20:21], v210, v207, v[35:36]
	v_mad_u64_u32 v[176:177], s[20:21], v218, v208, v[49:50]
	;; [unrolled: 1-line block ×3, first 2 shown]
	v_cvt_f32_i32_e32 v176, v176
	v_cvt_f32_i32_e32 v50, v50
	;; [unrolled: 1-line block ×8, first 2 shown]
	v_mul_f32_e32 v49, v183, v46
	v_mul_f32_e32 v51, v183, v45
	;; [unrolled: 1-line block ×8, first 2 shown]
	v_fma_f32 v9, v177, v52, v9
	v_fma_f32 v8, v53, v175, v8
	v_fma_f32 v7, v51, v50, v7
	v_fmac_f32_e32 v6, v49, v176
	v_fma_f32 v5, v41, v37, v5
	v_fma_f32 v4, v40, v38, v4
	;; [unrolled: 1-line block ×3, first 2 shown]
	v_fmac_f32_e32 v2, v34, v39
	s_cbranch_scc1 .LBB129_14
; %bb.15:                               ;   in Loop: Header=BB129_6 Depth=1
	s_barrier
	s_branch .LBB129_5
.LBB129_16:
	v_mov_b32_e32 v2, 0
	v_mov_b32_e32 v5, v2
	;; [unrolled: 1-line block ×32, first 2 shown]
	v_cmp_gt_u32_e32 vcc, s8, v34
	s_and_saveexec_b64 s[0:1], vcc
	s_cbranch_execnz .LBB129_19
.LBB129_17:
	s_endpgm
.LBB129_18:
	v_mov_b32_e32 v34, v54
	v_cmp_gt_u32_e32 vcc, s8, v34
	s_and_saveexec_b64 s[0:1], vcc
	s_cbranch_execz .LBB129_17
.LBB129_19:
	v_mul_lo_u32 v34, v34, s10
	v_add_u32_e32 v0, s6, v0
	v_cmp_gt_u32_e32 vcc, s10, v0
	s_and_saveexec_b64 s[2:3], vcc
	s_cbranch_execz .LBB129_21
; %bb.20:
	v_add_u32_e32 v35, v0, v34
	v_mov_b32_e32 v36, 0
	v_lshlrev_b64 v[35:36], 2, v[35:36]
	s_waitcnt lgkmcnt(0)
	v_mov_b32_e32 v37, s13
	v_add_co_u32_e64 v35, s[0:1], s12, v35
	v_addc_co_u32_e64 v36, s[0:1], v37, v36, s[0:1]
	global_store_dword v[35:36], v19, off
.LBB129_21:
	s_or_b64 exec, exec, s[2:3]
	v_add_u32_e32 v19, 32, v0
	v_cmp_gt_u32_e64 s[0:1], s10, v19
	s_and_saveexec_b64 s[4:5], s[0:1]
	s_cbranch_execz .LBB129_23
; %bb.22:
	v_add_u32_e32 v35, v19, v34
	v_mov_b32_e32 v36, 0
	v_lshlrev_b64 v[35:36], 2, v[35:36]
	s_waitcnt lgkmcnt(0)
	v_mov_b32_e32 v37, s13
	v_add_co_u32_e64 v35, s[2:3], s12, v35
	v_addc_co_u32_e64 v36, s[2:3], v37, v36, s[2:3]
	global_store_dword v[35:36], v31, off
.LBB129_23:
	s_or_b64 exec, exec, s[4:5]
	v_add_u32_e32 v31, 64, v0
	v_cmp_gt_u32_e64 s[2:3], s10, v31
	s_and_saveexec_b64 s[6:7], s[2:3]
	;; [unrolled: 15-line block ×3, first 2 shown]
	s_cbranch_execz .LBB129_27
; %bb.26:
	v_add_u32_e32 v34, v27, v34
	v_mov_b32_e32 v35, 0
	v_lshlrev_b64 v[34:35], 2, v[34:35]
	s_waitcnt lgkmcnt(0)
	v_mov_b32_e32 v36, s13
	v_add_co_u32_e64 v34, s[6:7], s12, v34
	v_addc_co_u32_e64 v35, s[6:7], v36, v35, s[6:7]
	global_store_dword v[34:35], v23, off
.LBB129_27:
	s_or_b64 exec, exec, s[14:15]
	v_add3_u32 v23, v1, s11, 8
	v_cmp_gt_u32_e64 s[6:7], s8, v23
	s_and_b64 exec, exec, s[6:7]
	s_cbranch_execz .LBB129_17
; %bb.28:
	v_mul_lo_u32 v23, v23, s10
	s_and_saveexec_b64 s[14:15], vcc
	s_cbranch_execnz .LBB129_68
; %bb.29:
	s_or_b64 exec, exec, s[14:15]
	s_and_saveexec_b64 s[14:15], s[0:1]
	s_cbranch_execnz .LBB129_69
.LBB129_30:
	s_or_b64 exec, exec, s[14:15]
	s_and_saveexec_b64 s[14:15], s[2:3]
	s_cbranch_execnz .LBB129_70
.LBB129_31:
	s_or_b64 exec, exec, s[14:15]
	s_and_saveexec_b64 s[14:15], s[4:5]
	s_cbranch_execz .LBB129_33
.LBB129_32:
	v_add_u32_e32 v34, v23, v27
	v_mov_b32_e32 v35, 0
	v_lshlrev_b64 v[34:35], 2, v[34:35]
	s_waitcnt lgkmcnt(0)
	v_mov_b32_e32 v18, s13
	v_add_co_u32_e64 v34, s[6:7], s12, v34
	v_addc_co_u32_e64 v35, s[6:7], v18, v35, s[6:7]
	global_store_dword v[34:35], v22, off
.LBB129_33:
	s_or_b64 exec, exec, s[14:15]
	v_add3_u32 v18, v1, s11, 16
	v_cmp_gt_u32_e64 s[6:7], s8, v18
	s_and_b64 exec, exec, s[6:7]
	s_cbranch_execz .LBB129_17
; %bb.34:
	v_mul_lo_u32 v18, v18, s10
	s_and_saveexec_b64 s[14:15], vcc
	s_cbranch_execnz .LBB129_71
; %bb.35:
	s_or_b64 exec, exec, s[14:15]
	s_and_saveexec_b64 s[14:15], s[0:1]
	s_cbranch_execnz .LBB129_72
.LBB129_36:
	s_or_b64 exec, exec, s[14:15]
	s_and_saveexec_b64 s[14:15], s[2:3]
	s_cbranch_execnz .LBB129_73
.LBB129_37:
	s_or_b64 exec, exec, s[14:15]
	s_and_saveexec_b64 s[14:15], s[4:5]
	s_cbranch_execz .LBB129_39
.LBB129_38:
	v_add_u32_e32 v21, v18, v27
	v_mov_b32_e32 v22, 0
	v_lshlrev_b64 v[21:22], 2, v[21:22]
	s_waitcnt lgkmcnt(0)
	v_mov_b32_e32 v18, s13
	v_add_co_u32_e64 v21, s[6:7], s12, v21
	v_addc_co_u32_e64 v22, s[6:7], v18, v22, s[6:7]
	global_store_dword v[21:22], v25, off
.LBB129_39:
	s_or_b64 exec, exec, s[14:15]
	v_add3_u32 v18, v1, s11, 24
	v_cmp_gt_u32_e64 s[6:7], s8, v18
	s_and_b64 exec, exec, s[6:7]
	s_cbranch_execz .LBB129_17
; %bb.40:
	v_mul_lo_u32 v18, v18, s10
	s_and_saveexec_b64 s[14:15], vcc
	s_cbranch_execnz .LBB129_74
; %bb.41:
	s_or_b64 exec, exec, s[14:15]
	s_and_saveexec_b64 s[14:15], s[0:1]
	s_cbranch_execnz .LBB129_75
.LBB129_42:
	s_or_b64 exec, exec, s[14:15]
	s_and_saveexec_b64 s[14:15], s[2:3]
	s_cbranch_execnz .LBB129_76
.LBB129_43:
	s_or_b64 exec, exec, s[14:15]
	s_and_saveexec_b64 s[14:15], s[4:5]
	s_cbranch_execz .LBB129_45
.LBB129_44:
	v_add_u32_e32 v20, v18, v27
	v_mov_b32_e32 v21, 0
	v_lshlrev_b64 v[20:21], 2, v[20:21]
	s_waitcnt lgkmcnt(0)
	v_mov_b32_e32 v18, s13
	v_add_co_u32_e64 v20, s[6:7], s12, v20
	v_addc_co_u32_e64 v21, s[6:7], v18, v21, s[6:7]
	global_store_dword v[20:21], v24, off
.LBB129_45:
	s_or_b64 exec, exec, s[14:15]
	v_add3_u32 v18, v1, s11, 32
	v_cmp_gt_u32_e64 s[6:7], s8, v18
	s_and_b64 exec, exec, s[6:7]
	s_cbranch_execz .LBB129_17
; %bb.46:
	v_mul_lo_u32 v18, v18, s10
	s_and_saveexec_b64 s[14:15], vcc
	s_cbranch_execnz .LBB129_77
; %bb.47:
	s_or_b64 exec, exec, s[14:15]
	s_and_saveexec_b64 s[14:15], s[0:1]
	s_cbranch_execnz .LBB129_78
.LBB129_48:
	s_or_b64 exec, exec, s[14:15]
	s_and_saveexec_b64 s[14:15], s[2:3]
	s_cbranch_execnz .LBB129_79
.LBB129_49:
	s_or_b64 exec, exec, s[14:15]
	s_and_saveexec_b64 s[14:15], s[4:5]
	s_cbranch_execz .LBB129_51
.LBB129_50:
	v_add_u32_e32 v20, v18, v27
	v_mov_b32_e32 v21, 0
	v_lshlrev_b64 v[20:21], 2, v[20:21]
	s_waitcnt lgkmcnt(0)
	v_mov_b32_e32 v7, s13
	v_add_co_u32_e64 v20, s[6:7], s12, v20
	v_addc_co_u32_e64 v21, s[6:7], v7, v21, s[6:7]
	global_store_dword v[20:21], v3, off
.LBB129_51:
	s_or_b64 exec, exec, s[14:15]
	v_add3_u32 v3, v1, s11, 40
	v_cmp_gt_u32_e64 s[6:7], s8, v3
	s_and_b64 exec, exec, s[6:7]
	s_cbranch_execz .LBB129_17
; %bb.52:
	v_mul_lo_u32 v3, v3, s10
	s_and_saveexec_b64 s[14:15], vcc
	s_cbranch_execnz .LBB129_80
; %bb.53:
	s_or_b64 exec, exec, s[14:15]
	s_and_saveexec_b64 s[14:15], s[0:1]
	s_cbranch_execnz .LBB129_81
.LBB129_54:
	s_or_b64 exec, exec, s[14:15]
	s_and_saveexec_b64 s[14:15], s[2:3]
	s_cbranch_execnz .LBB129_82
.LBB129_55:
	s_or_b64 exec, exec, s[14:15]
	s_and_saveexec_b64 s[14:15], s[4:5]
	s_cbranch_execz .LBB129_57
.LBB129_56:
	v_add_u32_e32 v6, v3, v27
	v_mov_b32_e32 v7, 0
	v_lshlrev_b64 v[6:7], 2, v[6:7]
	s_waitcnt lgkmcnt(0)
	v_mov_b32_e32 v3, s13
	v_add_co_u32_e64 v6, s[6:7], s12, v6
	v_addc_co_u32_e64 v7, s[6:7], v3, v7, s[6:7]
	global_store_dword v[6:7], v2, off
.LBB129_57:
	s_or_b64 exec, exec, s[14:15]
	v_add3_u32 v2, v1, s11, 48
	v_cmp_gt_u32_e64 s[6:7], s8, v2
	s_and_b64 exec, exec, s[6:7]
	s_cbranch_execz .LBB129_17
; %bb.58:
	v_mul_lo_u32 v2, v2, s10
	s_and_saveexec_b64 s[14:15], vcc
	s_cbranch_execnz .LBB129_83
; %bb.59:
	s_or_b64 exec, exec, s[14:15]
	s_and_saveexec_b64 s[14:15], s[0:1]
	s_cbranch_execnz .LBB129_84
.LBB129_60:
	s_or_b64 exec, exec, s[14:15]
	s_and_saveexec_b64 s[14:15], s[2:3]
	s_cbranch_execnz .LBB129_85
.LBB129_61:
	s_or_b64 exec, exec, s[14:15]
	s_and_saveexec_b64 s[14:15], s[4:5]
	s_cbranch_execz .LBB129_63
.LBB129_62:
	v_add_u32_e32 v2, v2, v27
	v_mov_b32_e32 v3, 0
	v_lshlrev_b64 v[2:3], 2, v[2:3]
	s_waitcnt lgkmcnt(0)
	v_mov_b32_e32 v6, s13
	v_add_co_u32_e64 v2, s[6:7], s12, v2
	v_addc_co_u32_e64 v3, s[6:7], v6, v3, s[6:7]
	global_store_dword v[2:3], v5, off
.LBB129_63:
	s_or_b64 exec, exec, s[14:15]
	v_add3_u32 v1, v1, s11, 56
	v_cmp_gt_u32_e64 s[6:7], s8, v1
	s_and_b64 exec, exec, s[6:7]
	s_cbranch_execz .LBB129_17
; %bb.64:
	v_mul_lo_u32 v1, v1, s10
	s_and_saveexec_b64 s[6:7], vcc
	s_cbranch_execnz .LBB129_86
; %bb.65:
	s_or_b64 exec, exec, s[6:7]
	s_and_saveexec_b64 s[6:7], s[0:1]
	s_cbranch_execnz .LBB129_87
.LBB129_66:
	s_or_b64 exec, exec, s[6:7]
	s_and_saveexec_b64 s[0:1], s[2:3]
	s_cbranch_execnz .LBB129_88
.LBB129_67:
	s_or_b64 exec, exec, s[0:1]
	s_and_b64 exec, exec, s[4:5]
	s_cbranch_execz .LBB129_17
	s_branch .LBB129_89
.LBB129_68:
	v_add_u32_e32 v34, v23, v0
	v_mov_b32_e32 v35, 0
	v_lshlrev_b64 v[34:35], 2, v[34:35]
	s_waitcnt lgkmcnt(0)
	v_mov_b32_e32 v36, s13
	v_add_co_u32_e64 v34, s[6:7], s12, v34
	v_addc_co_u32_e64 v35, s[6:7], v36, v35, s[6:7]
	global_store_dword v[34:35], v18, off
	s_or_b64 exec, exec, s[14:15]
	s_and_saveexec_b64 s[14:15], s[0:1]
	s_cbranch_execz .LBB129_30
.LBB129_69:
	v_add_u32_e32 v34, v23, v19
	v_mov_b32_e32 v35, 0
	v_lshlrev_b64 v[34:35], 2, v[34:35]
	s_waitcnt lgkmcnt(0)
	v_mov_b32_e32 v18, s13
	v_add_co_u32_e64 v34, s[6:7], s12, v34
	v_addc_co_u32_e64 v35, s[6:7], v18, v35, s[6:7]
	global_store_dword v[34:35], v30, off
	s_or_b64 exec, exec, s[14:15]
	s_and_saveexec_b64 s[14:15], s[2:3]
	s_cbranch_execz .LBB129_31
.LBB129_70:
	v_add_u32_e32 v34, v23, v31
	v_mov_b32_e32 v35, 0
	v_lshlrev_b64 v[34:35], 2, v[34:35]
	s_waitcnt lgkmcnt(0)
	v_mov_b32_e32 v18, s13
	v_add_co_u32_e64 v34, s[6:7], s12, v34
	v_addc_co_u32_e64 v35, s[6:7], v18, v35, s[6:7]
	global_store_dword v[34:35], v26, off
	s_or_b64 exec, exec, s[14:15]
	s_and_saveexec_b64 s[14:15], s[4:5]
	s_cbranch_execnz .LBB129_32
	s_branch .LBB129_33
.LBB129_71:
	v_add_u32_e32 v22, v18, v0
	v_mov_b32_e32 v23, 0
	v_lshlrev_b64 v[22:23], 2, v[22:23]
	s_waitcnt lgkmcnt(0)
	v_mov_b32_e32 v26, s13
	v_add_co_u32_e64 v22, s[6:7], s12, v22
	v_addc_co_u32_e64 v23, s[6:7], v26, v23, s[6:7]
	global_store_dword v[22:23], v21, off
	s_or_b64 exec, exec, s[14:15]
	s_and_saveexec_b64 s[14:15], s[0:1]
	s_cbranch_execz .LBB129_36
.LBB129_72:
	v_add_u32_e32 v21, v18, v19
	v_mov_b32_e32 v22, 0
	v_lshlrev_b64 v[21:22], 2, v[21:22]
	s_waitcnt lgkmcnt(0)
	v_mov_b32_e32 v23, s13
	v_add_co_u32_e64 v21, s[6:7], s12, v21
	v_addc_co_u32_e64 v22, s[6:7], v23, v22, s[6:7]
	global_store_dword v[21:22], v33, off
	s_or_b64 exec, exec, s[14:15]
	s_and_saveexec_b64 s[14:15], s[2:3]
	s_cbranch_execz .LBB129_37
.LBB129_73:
	v_add_u32_e32 v21, v18, v31
	v_mov_b32_e32 v22, 0
	v_lshlrev_b64 v[21:22], 2, v[21:22]
	s_waitcnt lgkmcnt(0)
	v_mov_b32_e32 v23, s13
	v_add_co_u32_e64 v21, s[6:7], s12, v21
	v_addc_co_u32_e64 v22, s[6:7], v23, v22, s[6:7]
	global_store_dword v[21:22], v29, off
	s_or_b64 exec, exec, s[14:15]
	s_and_saveexec_b64 s[14:15], s[4:5]
	s_cbranch_execnz .LBB129_38
	s_branch .LBB129_39
.LBB129_74:
	v_add_u32_e32 v21, v18, v0
	v_mov_b32_e32 v22, 0
	v_lshlrev_b64 v[21:22], 2, v[21:22]
	s_waitcnt lgkmcnt(0)
	v_mov_b32_e32 v23, s13
	v_add_co_u32_e64 v21, s[6:7], s12, v21
	v_addc_co_u32_e64 v22, s[6:7], v23, v22, s[6:7]
	global_store_dword v[21:22], v20, off
	s_or_b64 exec, exec, s[14:15]
	s_and_saveexec_b64 s[14:15], s[0:1]
	s_cbranch_execz .LBB129_42
.LBB129_75:
	v_add_u32_e32 v20, v18, v19
	v_mov_b32_e32 v21, 0
	v_lshlrev_b64 v[20:21], 2, v[20:21]
	s_waitcnt lgkmcnt(0)
	v_mov_b32_e32 v22, s13
	v_add_co_u32_e64 v20, s[6:7], s12, v20
	v_addc_co_u32_e64 v21, s[6:7], v22, v21, s[6:7]
	global_store_dword v[20:21], v32, off
	s_or_b64 exec, exec, s[14:15]
	s_and_saveexec_b64 s[14:15], s[2:3]
	s_cbranch_execz .LBB129_43
.LBB129_76:
	v_add_u32_e32 v20, v18, v31
	v_mov_b32_e32 v21, 0
	v_lshlrev_b64 v[20:21], 2, v[20:21]
	s_waitcnt lgkmcnt(0)
	v_mov_b32_e32 v22, s13
	v_add_co_u32_e64 v20, s[6:7], s12, v20
	v_addc_co_u32_e64 v21, s[6:7], v22, v21, s[6:7]
	global_store_dword v[20:21], v28, off
	s_or_b64 exec, exec, s[14:15]
	s_and_saveexec_b64 s[14:15], s[4:5]
	s_cbranch_execnz .LBB129_44
	s_branch .LBB129_45
.LBB129_77:
	v_add_u32_e32 v20, v18, v0
	v_mov_b32_e32 v21, 0
	v_lshlrev_b64 v[20:21], 2, v[20:21]
	s_waitcnt lgkmcnt(0)
	v_mov_b32_e32 v22, s13
	v_add_co_u32_e64 v20, s[6:7], s12, v20
	v_addc_co_u32_e64 v21, s[6:7], v22, v21, s[6:7]
	global_store_dword v[20:21], v15, off
	s_or_b64 exec, exec, s[14:15]
	s_and_saveexec_b64 s[14:15], s[0:1]
	s_cbranch_execz .LBB129_48
.LBB129_78:
	v_add_u32_e32 v20, v18, v19
	v_mov_b32_e32 v21, 0
	v_lshlrev_b64 v[20:21], 2, v[20:21]
	s_waitcnt lgkmcnt(0)
	v_mov_b32_e32 v15, s13
	v_add_co_u32_e64 v20, s[6:7], s12, v20
	v_addc_co_u32_e64 v21, s[6:7], v15, v21, s[6:7]
	global_store_dword v[20:21], v11, off
	s_or_b64 exec, exec, s[14:15]
	s_and_saveexec_b64 s[14:15], s[2:3]
	s_cbranch_execz .LBB129_49
.LBB129_79:
	v_add_u32_e32 v20, v18, v31
	v_mov_b32_e32 v21, 0
	v_lshlrev_b64 v[20:21], 2, v[20:21]
	s_waitcnt lgkmcnt(0)
	v_mov_b32_e32 v11, s13
	v_add_co_u32_e64 v20, s[6:7], s12, v20
	v_addc_co_u32_e64 v21, s[6:7], v11, v21, s[6:7]
	global_store_dword v[20:21], v7, off
	s_or_b64 exec, exec, s[14:15]
	s_and_saveexec_b64 s[14:15], s[4:5]
	s_cbranch_execnz .LBB129_50
	s_branch .LBB129_51
.LBB129_80:
	v_add_u32_e32 v20, v3, v0
	v_mov_b32_e32 v21, 0
	v_lshlrev_b64 v[20:21], 2, v[20:21]
	s_waitcnt lgkmcnt(0)
	v_mov_b32_e32 v7, s13
	v_add_co_u32_e64 v20, s[6:7], s12, v20
	v_addc_co_u32_e64 v21, s[6:7], v7, v21, s[6:7]
	global_store_dword v[20:21], v14, off
	s_or_b64 exec, exec, s[14:15]
	s_and_saveexec_b64 s[14:15], s[0:1]
	s_cbranch_execz .LBB129_54
.LBB129_81:
	v_add_u32_e32 v14, v3, v19
	v_mov_b32_e32 v15, 0
	v_lshlrev_b64 v[14:15], 2, v[14:15]
	s_waitcnt lgkmcnt(0)
	v_mov_b32_e32 v7, s13
	v_add_co_u32_e64 v14, s[6:7], s12, v14
	v_addc_co_u32_e64 v15, s[6:7], v7, v15, s[6:7]
	global_store_dword v[14:15], v10, off
	s_or_b64 exec, exec, s[14:15]
	s_and_saveexec_b64 s[14:15], s[2:3]
	s_cbranch_execz .LBB129_55
.LBB129_82:
	v_add_u32_e32 v10, v3, v31
	v_mov_b32_e32 v11, 0
	v_lshlrev_b64 v[10:11], 2, v[10:11]
	s_waitcnt lgkmcnt(0)
	v_mov_b32_e32 v7, s13
	v_add_co_u32_e64 v10, s[6:7], s12, v10
	v_addc_co_u32_e64 v11, s[6:7], v7, v11, s[6:7]
	global_store_dword v[10:11], v6, off
	s_or_b64 exec, exec, s[14:15]
	s_and_saveexec_b64 s[14:15], s[4:5]
	s_cbranch_execnz .LBB129_56
	s_branch .LBB129_57
.LBB129_83:
	v_add_u32_e32 v6, v2, v0
	v_mov_b32_e32 v7, 0
	v_lshlrev_b64 v[6:7], 2, v[6:7]
	s_waitcnt lgkmcnt(0)
	v_mov_b32_e32 v3, s13
	v_add_co_u32_e64 v6, s[6:7], s12, v6
	v_addc_co_u32_e64 v7, s[6:7], v3, v7, s[6:7]
	global_store_dword v[6:7], v17, off
	s_or_b64 exec, exec, s[14:15]
	s_and_saveexec_b64 s[14:15], s[0:1]
	s_cbranch_execz .LBB129_60
.LBB129_84:
	v_add_u32_e32 v6, v2, v19
	v_mov_b32_e32 v7, 0
	v_lshlrev_b64 v[6:7], 2, v[6:7]
	s_waitcnt lgkmcnt(0)
	v_mov_b32_e32 v3, s13
	v_add_co_u32_e64 v6, s[6:7], s12, v6
	v_addc_co_u32_e64 v7, s[6:7], v3, v7, s[6:7]
	global_store_dword v[6:7], v13, off
	s_or_b64 exec, exec, s[14:15]
	s_and_saveexec_b64 s[14:15], s[2:3]
	s_cbranch_execz .LBB129_61
.LBB129_85:
	v_add_u32_e32 v6, v2, v31
	v_mov_b32_e32 v7, 0
	v_lshlrev_b64 v[6:7], 2, v[6:7]
	s_waitcnt lgkmcnt(0)
	v_mov_b32_e32 v3, s13
	v_add_co_u32_e64 v6, s[6:7], s12, v6
	v_addc_co_u32_e64 v7, s[6:7], v3, v7, s[6:7]
	global_store_dword v[6:7], v9, off
	s_or_b64 exec, exec, s[14:15]
	s_and_saveexec_b64 s[14:15], s[4:5]
	s_cbranch_execnz .LBB129_62
	s_branch .LBB129_63
.LBB129_86:
	v_add_u32_e32 v2, v1, v0
	v_mov_b32_e32 v3, 0
	v_lshlrev_b64 v[2:3], 2, v[2:3]
	s_waitcnt lgkmcnt(0)
	v_mov_b32_e32 v0, s13
	v_add_co_u32_e32 v2, vcc, s12, v2
	v_addc_co_u32_e32 v3, vcc, v0, v3, vcc
	global_store_dword v[2:3], v16, off
	s_or_b64 exec, exec, s[6:7]
	s_and_saveexec_b64 s[6:7], s[0:1]
	s_cbranch_execz .LBB129_66
.LBB129_87:
	v_add_u32_e32 v2, v1, v19
	v_mov_b32_e32 v3, 0
	v_lshlrev_b64 v[2:3], 2, v[2:3]
	s_waitcnt lgkmcnt(0)
	v_mov_b32_e32 v0, s13
	v_add_co_u32_e32 v2, vcc, s12, v2
	v_addc_co_u32_e32 v3, vcc, v0, v3, vcc
	global_store_dword v[2:3], v12, off
	s_or_b64 exec, exec, s[6:7]
	s_and_saveexec_b64 s[0:1], s[2:3]
	s_cbranch_execz .LBB129_67
.LBB129_88:
	v_add_u32_e32 v2, v1, v31
	v_mov_b32_e32 v3, 0
	v_lshlrev_b64 v[2:3], 2, v[2:3]
	s_waitcnt lgkmcnt(0)
	v_mov_b32_e32 v0, s13
	v_add_co_u32_e32 v2, vcc, s12, v2
	v_addc_co_u32_e32 v3, vcc, v0, v3, vcc
	global_store_dword v[2:3], v8, off
	s_or_b64 exec, exec, s[0:1]
	s_and_b64 exec, exec, s[4:5]
	s_cbranch_execz .LBB129_17
.LBB129_89:
	v_add_u32_e32 v0, v1, v27
	v_mov_b32_e32 v1, 0
	v_lshlrev_b64 v[0:1], 2, v[0:1]
	s_waitcnt lgkmcnt(0)
	v_mov_b32_e32 v2, s13
	v_add_co_u32_e32 v0, vcc, s12, v0
	v_addc_co_u32_e32 v1, vcc, v2, v1, vcc
	global_store_dword v[0:1], v4, off
	s_endpgm
	.section	.rodata,"a",@progbits
	.p2align	6, 0x0
	.amdhsa_kernel _ZL12mul_mat_q3_KIfLb0EEvPKvS1_PT_iiiii
		.amdhsa_group_segment_fixed_size 39840
		.amdhsa_private_segment_fixed_size 0
		.amdhsa_kernarg_size 44
		.amdhsa_user_sgpr_count 6
		.amdhsa_user_sgpr_private_segment_buffer 1
		.amdhsa_user_sgpr_dispatch_ptr 0
		.amdhsa_user_sgpr_queue_ptr 0
		.amdhsa_user_sgpr_kernarg_segment_ptr 1
		.amdhsa_user_sgpr_dispatch_id 0
		.amdhsa_user_sgpr_flat_scratch_init 0
		.amdhsa_user_sgpr_private_segment_size 0
		.amdhsa_uses_dynamic_stack 0
		.amdhsa_system_sgpr_private_segment_wavefront_offset 0
		.amdhsa_system_sgpr_workgroup_id_x 1
		.amdhsa_system_sgpr_workgroup_id_y 1
		.amdhsa_system_sgpr_workgroup_id_z 0
		.amdhsa_system_sgpr_workgroup_info 0
		.amdhsa_system_vgpr_workitem_id 1
		.amdhsa_next_free_vgpr 242
		.amdhsa_next_free_sgpr 98
		.amdhsa_reserve_vcc 1
		.amdhsa_reserve_flat_scratch 0
		.amdhsa_float_round_mode_32 0
		.amdhsa_float_round_mode_16_64 0
		.amdhsa_float_denorm_mode_32 3
		.amdhsa_float_denorm_mode_16_64 3
		.amdhsa_dx10_clamp 1
		.amdhsa_ieee_mode 1
		.amdhsa_fp16_overflow 0
		.amdhsa_exception_fp_ieee_invalid_op 0
		.amdhsa_exception_fp_denorm_src 0
		.amdhsa_exception_fp_ieee_div_zero 0
		.amdhsa_exception_fp_ieee_overflow 0
		.amdhsa_exception_fp_ieee_underflow 0
		.amdhsa_exception_fp_ieee_inexact 0
		.amdhsa_exception_int_div_zero 0
	.end_amdhsa_kernel
	.section	.text._ZL12mul_mat_q3_KIfLb0EEvPKvS1_PT_iiiii,"axG",@progbits,_ZL12mul_mat_q3_KIfLb0EEvPKvS1_PT_iiiii,comdat
.Lfunc_end129:
	.size	_ZL12mul_mat_q3_KIfLb0EEvPKvS1_PT_iiiii, .Lfunc_end129-_ZL12mul_mat_q3_KIfLb0EEvPKvS1_PT_iiiii
                                        ; -- End function
	.set _ZL12mul_mat_q3_KIfLb0EEvPKvS1_PT_iiiii.num_vgpr, 242
	.set _ZL12mul_mat_q3_KIfLb0EEvPKvS1_PT_iiiii.num_agpr, 0
	.set _ZL12mul_mat_q3_KIfLb0EEvPKvS1_PT_iiiii.numbered_sgpr, 25
	.set _ZL12mul_mat_q3_KIfLb0EEvPKvS1_PT_iiiii.num_named_barrier, 0
	.set _ZL12mul_mat_q3_KIfLb0EEvPKvS1_PT_iiiii.private_seg_size, 0
	.set _ZL12mul_mat_q3_KIfLb0EEvPKvS1_PT_iiiii.uses_vcc, 1
	.set _ZL12mul_mat_q3_KIfLb0EEvPKvS1_PT_iiiii.uses_flat_scratch, 0
	.set _ZL12mul_mat_q3_KIfLb0EEvPKvS1_PT_iiiii.has_dyn_sized_stack, 0
	.set _ZL12mul_mat_q3_KIfLb0EEvPKvS1_PT_iiiii.has_recursion, 0
	.set _ZL12mul_mat_q3_KIfLb0EEvPKvS1_PT_iiiii.has_indirect_call, 0
	.section	.AMDGPU.csdata,"",@progbits
; Kernel info:
; codeLenInByte = 34796
; TotalNumSgprs: 29
; NumVgprs: 242
; ScratchSize: 0
; MemoryBound: 0
; FloatMode: 240
; IeeeMode: 1
; LDSByteSize: 39840 bytes/workgroup (compile time only)
; SGPRBlocks: 12
; VGPRBlocks: 60
; NumSGPRsForWavesPerEU: 102
; NumVGPRsForWavesPerEU: 242
; Occupancy: 1
; WaveLimiterHint : 0
; COMPUTE_PGM_RSRC2:SCRATCH_EN: 0
; COMPUTE_PGM_RSRC2:USER_SGPR: 6
; COMPUTE_PGM_RSRC2:TRAP_HANDLER: 0
; COMPUTE_PGM_RSRC2:TGID_X_EN: 1
; COMPUTE_PGM_RSRC2:TGID_Y_EN: 1
; COMPUTE_PGM_RSRC2:TGID_Z_EN: 0
; COMPUTE_PGM_RSRC2:TIDIG_COMP_CNT: 1
	.section	.text._ZL12mul_mat_q3_KIfLb1EEvPKvS1_PT_iiiii,"axG",@progbits,_ZL12mul_mat_q3_KIfLb1EEvPKvS1_PT_iiiii,comdat
	.globl	_ZL12mul_mat_q3_KIfLb1EEvPKvS1_PT_iiiii ; -- Begin function _ZL12mul_mat_q3_KIfLb1EEvPKvS1_PT_iiiii
	.p2align	8
	.type	_ZL12mul_mat_q3_KIfLb1EEvPKvS1_PT_iiiii,@function
_ZL12mul_mat_q3_KIfLb1EEvPKvS1_PT_iiiii: ; @_ZL12mul_mat_q3_KIfLb1EEvPKvS1_PT_iiiii
; %bb.0:
	s_load_dwordx4 s[8:11], s[4:5], 0x18
	s_load_dword s14, s[4:5], 0x28
	s_lshl_b32 s15, s7, 6
	v_add_u32_e32 v70, s15, v1
	s_waitcnt lgkmcnt(0)
	s_cmpk_gt_i32 s8, 0xff
	s_cbranch_scc1 .LBB130_2
; %bb.1:
	v_add_u32_e32 v34, s15, v1
	s_mov_b64 s[0:1], 0
	s_branch .LBB130_3
.LBB130_2:
	s_mov_b64 s[0:1], -1
                                        ; implicit-def: $vgpr34
.LBB130_3:
	s_load_dwordx2 s[12:13], s[4:5], 0x10
	s_lshl_b32 s6, s6, 7
	s_andn2_b64 vcc, exec, s[0:1]
	s_mov_b32 s7, 0
	s_cbranch_vccnz .LBB130_16
; %bb.4:
	s_load_dwordx4 s[0:3], s[4:5], 0x0
	s_ashr_i32 s4, s8, 31
	s_lshr_b32 s4, s4, 24
	s_add_i32 s4, s8, s4
	s_ashr_i32 s5, s11, 31
	s_ashr_i32 s4, s4, 8
	s_lshr_b32 s5, s5, 27
	s_add_i32 s5, s11, s5
	s_mul_i32 s11, s4, s6
	s_ashr_i32 s8, s5, 5
	s_mul_hi_i32 s16, s11, 0x6e
	s_mulk_i32 s11, 0x6e
	s_waitcnt lgkmcnt(0)
	s_add_u32 s0, s0, s11
	s_addc_u32 s1, s1, s16
	s_not_b32 s11, s6
	s_add_i32 s9, s9, s11
	v_and_b32_e32 v3, 15, v0
	v_min_i32_e32 v4, s9, v1
	v_lshlrev_b32_e32 v2, 2, v0
	s_movk_i32 s11, 0x84
	v_add_u32_e32 v13, 8, v1
	v_mul_lo_u32 v73, v4, s4
	v_mad_u64_u32 v[42:43], s[16:17], v4, s11, v[2:3]
	v_min_i32_e32 v4, s9, v13
	v_add_u32_e32 v14, 16, v1
	v_mul_lo_u32 v74, v4, s4
	v_mad_u64_u32 v[43:44], s[16:17], v4, s11, v[2:3]
	v_min_i32_e32 v4, s9, v14
	;; [unrolled: 4-line block ×7, first 2 shown]
	v_mul_lo_u32 v80, v4, s4
	v_mad_u64_u32 v[49:50], s[16:17], v4, s11, v[2:3]
	v_add_u32_e32 v4, 64, v1
	v_min_i32_e32 v4, s9, v4
	v_mul_lo_u32 v81, v4, s4
	v_mad_u64_u32 v[50:51], s[16:17], v4, s11, v[2:3]
	v_add_u32_e32 v4, 0x48, v1
	v_min_i32_e32 v4, s9, v4
	;; [unrolled: 4-line block ×8, first 2 shown]
	v_lshlrev_b32_e32 v20, 4, v1
	v_lshrrev_b32_e32 v90, 1, v0
	v_mul_lo_u32 v88, v4, s4
	v_mad_u64_u32 v[57:58], s[16:17], v4, s11, v[2:3]
	v_add_u32_e32 v4, v90, v20
	v_and_b32_e32 v4, 0x7f, v4
	v_min_i32_e32 v4, s9, v4
	v_ashrrev_i32_e32 v5, 31, v4
	v_lshrrev_b32_e32 v5, 28, v5
	v_add_u32_e32 v5, v4, v5
	v_lshrrev_b32_e32 v71, 4, v0
	v_and_b32_e32 v89, 1, v0
	v_ashrrev_i32_e32 v5, 4, v5
	v_mul_lo_u32 v91, v4, s4
	v_lshlrev_b32_e32 v5, 2, v5
	v_lshlrev_b32_e32 v7, 2, v89
	s_mov_b32 s11, 0x9380
	v_lshlrev_b32_e32 v22, 3, v4
	v_lshl_add_u32 v4, v1, 1, v71
	v_add3_u32 v21, v5, v7, s11
	v_min_i32_e32 v5, s9, v4
	v_lshrrev_b32_e32 v7, 31, v5
	v_mul_lo_u32 v94, v5, s4
	v_add_lshl_u32 v7, v5, v7, 1
	v_lshlrev_b32_e32 v24, 6, v5
	v_add_u32_e32 v5, 16, v4
	v_lshlrev_b32_e32 v72, 2, v3
	v_and_b32_e32 v7, -4, v7
	s_movk_i32 s11, 0x4200
	v_min_i32_e32 v5, s9, v5
	v_add3_u32 v23, v7, v72, s11
	v_lshrrev_b32_e32 v7, 31, v5
	v_mul_lo_u32 v95, v5, s4
	v_add_lshl_u32 v7, v5, v7, 1
	v_lshlrev_b32_e32 v26, 6, v5
	v_add_u32_e32 v5, 32, v4
	v_and_b32_e32 v7, -4, v7
	v_min_i32_e32 v5, s9, v5
	v_add3_u32 v25, v7, v72, s11
	v_lshrrev_b32_e32 v7, 31, v5
	v_mul_lo_u32 v96, v5, s4
	v_add_lshl_u32 v7, v5, v7, 1
	v_lshlrev_b32_e32 v28, 6, v5
	v_add_u32_e32 v5, 48, v4
	v_and_b32_e32 v7, -4, v7
	;; [unrolled: 8-line block ×5, first 2 shown]
	v_min_i32_e32 v5, s9, v5
	v_add_u32_e32 v4, 0x70, v4
	v_add3_u32 v33, v7, v72, s11
	v_lshrrev_b32_e32 v7, 31, v5
	v_min_i32_e32 v4, s9, v4
	v_mul_lo_u32 v100, v5, s4
	v_add_lshl_u32 v7, v5, v7, 1
	v_lshlrev_b32_e32 v36, 6, v5
	v_lshrrev_b32_e32 v5, 31, v4
	v_cmp_lt_u32_e32 vcc, 7, v3
	v_and_b32_e32 v3, 7, v0
	v_add_lshl_u32 v5, v4, v5, 1
	v_cndmask_b32_e64 v92, 0, 1, vcc
	v_lshlrev_b32_e32 v93, 2, v3
	v_and_b32_e32 v5, -4, v5
	v_cmp_lt_u32_e32 vcc, 3, v3
	v_and_b32_e32 v3, 3, v0
	v_and_b32_e32 v7, -4, v7
	v_add3_u32 v37, v5, v72, s11
	v_lshrrev_b32_e32 v102, 3, v0
	v_cndmask_b32_e64 v103, 0, 1, vcc
	v_add_u16_e32 v5, -2, v3
	v_cmp_gt_u32_e32 vcc, 2, v3
	v_add3_u32 v35, v7, v72, s11
	v_mul_lo_u32 v101, v4, s4
	v_lshlrev_b32_e32 v38, 6, v4
	v_lshl_add_u32 v4, v1, 2, v102
	v_cndmask_b32_e32 v5, v5, v3, vcc
	v_mov_b32_e32 v7, 2
	v_lshlrev_b32_sdwa v106, v7, v5 dst_sel:DWORD dst_unused:UNUSED_PAD src0_sel:DWORD src1_sel:BYTE_0
	v_min_i32_e32 v5, s9, v4
	v_ashrrev_i32_e32 v7, 31, v5
	v_lshrrev_b32_e32 v7, 30, v7
	v_mul_lo_u32 v108, v5, s4
	v_add_u32_e32 v7, v5, v7
	v_lshlrev_b32_e32 v40, 5, v5
	v_add_u32_e32 v5, 32, v4
	v_and_b32_e32 v7, -4, v7
	s_mov_b32 s11, 0x8300
	v_min_i32_e32 v5, s9, v5
	v_add3_u32 v39, v7, v93, s11
	v_ashrrev_i32_e32 v7, 31, v5
	v_lshrrev_b32_e32 v7, 30, v7
	v_mul_lo_u32 v109, v5, s4
	v_add_u32_e32 v7, v5, v7
	v_lshlrev_b32_e32 v61, 5, v5
	v_add_u32_e32 v5, 64, v4
	v_and_b32_e32 v7, -4, v7
	v_min_i32_e32 v5, s9, v5
	v_add3_u32 v41, v7, v93, s11
	v_ashrrev_i32_e32 v7, 31, v5
	v_add_u32_e32 v4, 0x60, v4
	v_lshrrev_b32_e32 v7, 30, v7
	v_min_i32_e32 v4, s9, v4
	v_mul_lo_u32 v110, v5, s4
	v_add_u32_e32 v7, v5, v7
	v_lshlrev_b32_e32 v63, 5, v5
	v_ashrrev_i32_e32 v5, 31, v4
	v_lshrrev_b32_e32 v5, 30, v5
	v_add_u32_e32 v5, v4, v5
	v_and_b32_e32 v5, -4, v5
	s_add_i32 s9, s10, -1
	v_add_u32_e32 v9, 8, v70
	v_mul_lo_u32 v111, v4, s4
	v_add3_u32 v64, v5, v93, s11
	v_lshlrev_b32_e32 v65, 5, v4
	v_cvt_f64_i32_e32 v[4:5], s9
	v_cvt_f64_u32_e32 v[9:10], v9
	v_add_u32_e32 v11, 16, v70
	v_cvt_f64_u32_e32 v[11:12], v11
	v_and_b32_e32 v7, -4, v7
	v_add3_u32 v62, v7, v93, s11
	v_and_b32_e32 v7, 31, v0
	v_and_b32_e32 v60, 28, v2
	v_mov_b32_e32 v2, 0x6300
	v_min_f64 v[9:10], v[9:10], v[4:5]
	v_lshl_or_b32 v112, v7, 2, v2
	v_lshrrev_b32_e32 v2, 2, v0
	v_min_f64 v[11:12], v[11:12], v[4:5]
	v_cvt_f64_u32_e32 v[7:8], v70
	v_lshl_add_u32 v2, v1, 3, v2
	v_and_b32_e32 v2, 63, v2
	v_or_b32_e32 v58, s15, v2
	v_min_i32_e32 v58, s9, v58
	v_lshlrev_b32_e32 v107, 1, v3
	v_min_f64 v[7:8], v[7:8], v[4:5]
	v_mad_u64_u32 v[58:59], s[16:17], v58, s8, v[3:4]
	v_lshlrev_b32_e32 v3, 2, v3
	v_lshl_or_b32 v2, v2, 4, v3
	v_add_u32_e32 v113, 0x97a0, v2
	v_cvt_i32_f64_e32 v2, v[9:10]
	v_cvt_i32_f64_e32 v3, v[11:12]
	v_cvt_i32_f64_e32 v7, v[7:8]
	v_add_u32_e32 v9, 40, v70
	v_mul_lo_u32 v116, s8, v2
	v_add_u32_e32 v2, 24, v70
	v_mul_lo_u32 v117, s8, v3
	v_cvt_f64_u32_e32 v[2:3], v2
	v_mul_lo_u32 v114, s8, v7
	v_add_u32_e32 v7, 32, v70
	v_cvt_f64_u32_e32 v[7:8], v7
	v_min_f64 v[2:3], v[2:3], v[4:5]
	v_lshlrev_b32_e32 v66, 7, v13
	v_cvt_f64_u32_e32 v[9:10], v9
	v_add_u32_e32 v11, 48, v70
	v_add_u32_e32 v13, 56, v70
	v_lshlrev_b32_e32 v67, 7, v14
	v_cvt_f64_u32_e32 v[11:12], v11
	v_cvt_f64_u32_e32 v[13:14], v13
	v_min_f64 v[7:8], v[7:8], v[4:5]
	v_min_f64 v[9:10], v[9:10], v[4:5]
	v_cvt_i32_f64_e32 v59, v[2:3]
	v_min_f64 v[2:3], v[11:12], v[4:5]
	v_min_f64 v[4:5], v[13:14], v[4:5]
	v_mov_b32_e32 v6, 0
	v_mul_lo_u32 v118, s8, v59
	v_add_co_u32_e32 v59, vcc, s2, v60
	v_cvt_i32_f64_e32 v7, v[7:8]
	v_cvt_i32_f64_e32 v8, v[9:10]
	;; [unrolled: 1-line block ×4, first 2 shown]
	v_mul_lo_u32 v119, s8, v7
	v_add_u32_e32 v7, 32, v0
	v_mul_lo_u32 v120, s8, v8
	v_lshlrev_b32_e32 v5, 5, v0
	v_lshrrev_b32_e32 v12, 1, v7
	v_lshrrev_b32_e32 v13, 4, v7
	v_add_u32_e32 v8, 64, v0
	v_lshlrev_b32_e32 v125, 6, v7
	v_lshlrev_b32_e32 v126, 3, v7
	v_lshrrev_b32_e32 v131, 3, v7
	v_and_b32_e32 v7, 0x1fc, v7
	v_mul_lo_u32 v121, s8, v2
	v_lshlrev_b32_e32 v2, 7, v18
	v_mul_lo_u32 v122, s8, v3
	v_add_u32_e32 v9, 0x60, v0
	v_mov_b32_e32 v18, s3
	v_add_u32_e32 v136, v5, v7
	v_and_b32_e32 v7, 0x1fc, v8
	v_lshlrev_b32_e32 v11, 7, v15
	v_lshlrev_b32_e32 v10, 7, v16
	;; [unrolled: 1-line block ×4, first 2 shown]
	v_lshrrev_b32_e32 v14, 1, v8
	v_lshrrev_b32_e32 v15, 4, v8
	v_lshrrev_b32_e32 v16, 1, v9
	v_lshrrev_b32_e32 v17, 4, v9
	v_lshlrev_b32_e32 v129, 6, v9
	v_lshlrev_b32_e32 v130, 3, v9
	v_lshrrev_b32_e32 v133, 3, v9
	v_addc_co_u32_e32 v60, vcc, 0, v18, vcc
	v_and_b32_e32 v18, 0xfc, v0
	v_add_u32_e32 v138, v5, v7
	v_and_b32_e32 v7, 0x1fc, v9
	v_mov_b32_e32 v9, v6
	v_lshlrev_b32_e32 v104, 1, v0
	v_lshlrev_b32_e32 v115, 7, v1
	;; [unrolled: 1-line block ×4, first 2 shown]
	v_lshrrev_b32_e32 v132, 3, v8
	v_add_u32_e32 v134, v5, v18
	v_add_u32_e32 v140, v5, v7
	;; [unrolled: 1-line block ×3, first 2 shown]
	v_mov_b32_e32 v7, v6
	v_mov_b32_e32 v8, v6
	v_add_u32_e32 v144, v21, v22
	v_add_u32_e32 v145, v23, v24
	;; [unrolled: 1-line block ×12, first 2 shown]
	v_lshlrev_b32_e32 v165, 2, v12
	v_lshlrev_b32_e32 v166, 2, v13
	;; [unrolled: 1-line block ×6, first 2 shown]
	v_mov_b32_e32 v21, v9
	v_mov_b32_e32 v33, v9
	v_mov_b32_e32 v17, v9
	v_mov_b32_e32 v29, v9
	v_mov_b32_e32 v13, v9
	v_mov_b32_e32 v25, v9
	v_mov_b32_e32 v2, v6
	s_movk_i32 s5, 0x6e
	v_and_b32_e32 v105, 4, v104
	v_mul_u32_u24_e32 v123, 0x84, v0
	v_lshlrev_b32_e32 v124, 6, v0
	v_add_u32_e32 v135, 0x8300, v134
	v_add_u32_e32 v137, 0x8700, v136
	;; [unrolled: 1-line block ×7, first 2 shown]
	s_mov_b32 s8, 0x30303030
	s_movk_i32 s9, 0x3f00
	s_movk_i32 s11, 0xe000
	v_add_u32_e32 v153, v39, v40
	v_add_u32_e32 v154, v41, v61
	v_add_u32_e32 v155, v62, v63
	v_add_u32_e32 v156, v64, v65
	v_mov_b32_e32 v157, 8
	v_add_u32_e32 v158, v112, v66
	v_add_u32_e32 v159, v112, v67
	v_mov_b32_e32 v20, v8
	v_mov_b32_e32 v19, v7
	;; [unrolled: 1-line block ×21, first 2 shown]
	s_branch .LBB130_6
.LBB130_5:                              ;   in Loop: Header=BB130_6 Depth=1
	s_add_i32 s7, s7, 2
	s_cmp_ge_i32 s7, s4
	s_cbranch_scc1 .LBB130_18
.LBB130_6:                              ; =>This Loop Header: Depth=1
                                        ;     Child Loop BB130_7 Depth 2
                                        ;     Child Loop BB130_9 Depth 2
	;; [unrolled: 1-line block ×4, first 2 shown]
	s_mul_i32 s16, s7, 0x6e
	s_mul_hi_u32 s17, s7, 0x6e
	s_add_u32 s16, s0, s16
	s_addc_u32 s17, s1, s17
	v_mov_b32_e32 v35, s17
	v_mov_b32_e32 v34, s16
	v_mad_u64_u32 v[36:37], s[16:17], v71, s5, v[34:35]
	s_mov_b32 s20, -2
	v_mad_i64_i32 v[38:39], s[16:17], v73, s5, v[36:37]
	v_mad_i64_i32 v[40:41], s[16:17], v74, s5, v[36:37]
	v_add_co_u32_e32 v38, vcc, v38, v72
	v_mad_i64_i32 v[61:62], s[16:17], v75, s5, v[36:37]
	v_addc_co_u32_e32 v39, vcc, 0, v39, vcc
	v_add_co_u32_e32 v40, vcc, v40, v72
	v_mad_i64_i32 v[63:64], s[16:17], v76, s5, v[36:37]
	v_addc_co_u32_e32 v41, vcc, 0, v41, vcc
	;; [unrolled: 3-line block ×6, first 2 shown]
	v_add_co_u32_e32 v171, vcc, v171, v72
	v_addc_co_u32_e32 v172, vcc, 0, v172, vcc
	v_mad_i64_i32 v[175:176], s[16:17], v81, s5, v[36:37]
	v_add_co_u32_e32 v173, vcc, v173, v72
	v_addc_co_u32_e32 v174, vcc, 0, v174, vcc
	global_load_dword v69, v[38:39], off offset:32
	global_load_dword v177, v[40:41], off offset:32
	global_load_dword v178, v[61:62], off offset:32
	global_load_dword v179, v[63:64], off offset:32
	global_load_dword v180, v[65:66], off offset:32
	global_load_dword v181, v[67:68], off offset:32
	global_load_dword v182, v[171:172], off offset:32
	global_load_dword v183, v[173:174], off offset:32
	v_mad_i64_i32 v[40:41], s[16:17], v82, s5, v[36:37]
	v_add_co_u32_e32 v38, vcc, v175, v72
	v_mad_i64_i32 v[61:62], s[16:17], v83, s5, v[36:37]
	v_addc_co_u32_e32 v39, vcc, 0, v176, vcc
	v_add_co_u32_e32 v40, vcc, v40, v72
	v_mad_i64_i32 v[63:64], s[16:17], v84, s5, v[36:37]
	v_addc_co_u32_e32 v41, vcc, 0, v41, vcc
	;; [unrolled: 3-line block ×6, first 2 shown]
	v_mad_i64_i32 v[173:174], s[16:17], v91, s5, v[34:35]
	v_add_co_u32_e32 v171, vcc, v171, v72
	v_mad_u64_u32 v[175:176], s[16:17], v92, s5, v[34:35]
	v_addc_co_u32_e32 v172, vcc, 0, v172, vcc
	v_add_co_u32_e32 v36, vcc, v36, v72
	v_addc_co_u32_e32 v37, vcc, 0, v37, vcc
	v_mad_u64_u32 v[173:174], s[16:17], v89, s5, v[173:174]
	global_load_dword v184, v[38:39], off offset:32
	global_load_dword v185, v[40:41], off offset:32
	;; [unrolled: 1-line block ×6, first 2 shown]
	s_nop 0
	global_load_dword v171, v[171:172], off offset:32
	s_nop 0
	global_load_dword v172, v[36:37], off offset:32
	s_nop 0
	global_load_ushort v173, v[173:174], off offset:108
	v_add_co_u32_e32 v36, vcc, v175, v93
	v_addc_co_u32_e32 v37, vcc, 0, v176, vcc
	v_mad_i64_i32 v[38:39], s[16:17], v94, s5, v[36:37]
	v_mad_i64_i32 v[40:41], s[16:17], v95, s5, v[36:37]
	;; [unrolled: 1-line block ×4, first 2 shown]
	global_load_dword v174, v[38:39], off
	global_load_dword v175, v[40:41], off
	;; [unrolled: 1-line block ×4, first 2 shown]
	v_mad_i64_i32 v[38:39], s[16:17], v98, s5, v[36:37]
	v_mad_i64_i32 v[40:41], s[16:17], v99, s5, v[36:37]
	;; [unrolled: 1-line block ×3, first 2 shown]
	global_load_dword v191, v[38:39], off
	global_load_dword v192, v[40:41], off
	global_load_dword v193, v[61:62], off
	v_mad_u64_u32 v[34:35], s[16:17], v103, s5, v[34:35]
	v_mad_i64_i32 v[36:37], s[16:17], v101, s5, v[36:37]
	v_mad_i64_i32 v[38:39], s[16:17], v108, s5, v[34:35]
	;; [unrolled: 1-line block ×3, first 2 shown]
	v_add_co_u32_e32 v40, vcc, v38, v106
	v_mad_i64_i32 v[63:64], s[16:17], v110, s5, v[34:35]
	v_addc_co_u32_e32 v41, vcc, 0, v39, vcc
	v_add_co_u32_e32 v65, vcc, v61, v106
	v_addc_co_u32_e32 v66, vcc, 0, v62, vcc
	v_add_co_u32_e32 v67, vcc, v63, v106
	v_addc_co_u32_e32 v68, vcc, 0, v64, vcc
	v_mad_i64_i32 v[34:35], s[16:17], v111, s5, v[34:35]
	global_load_dword v194, v[36:37], off
	global_load_dword v195, v[40:41], off offset:96
	s_nop 0
	global_load_dword v65, v[65:66], off offset:96
	s_nop 0
	;; [unrolled: 2-line block ×5, first 2 shown]
	global_load_dword v64, v[61:62], off offset:104
	global_load_dword v68, v[38:39], off offset:104
	s_waitcnt vmcnt(31)
	ds_write_b32 v42, v69
	s_waitcnt vmcnt(30)
	ds_write_b32 v43, v177
	;; [unrolled: 2-line block ×13, first 2 shown]
	v_add_co_u32_e32 v34, vcc, v34, v106
	v_addc_co_u32_e32 v35, vcc, 0, v35, vcc
	s_waitcnt vmcnt(15)
	v_cvt_f32_f16_e32 v36, v173
	ds_write_b32 v55, v189
	ds_write_b32 v56, v171
	;; [unrolled: 1-line block ×4, first 2 shown]
	global_load_dword v69, v[34:35], off offset:96
	s_lshl_b32 s16, s7, 3
	v_add_u32_e32 v171, s16, v102
	v_add_u32_e32 v34, v171, v114
	v_mad_i64_i32 v[34:35], s[18:19], v34, 36, v[59:60]
	v_add_u32_e32 v38, v171, v117
	s_waitcnt vmcnt(15)
	v_not_b32_e32 v36, v174
	ds_write_b32 v145, v36
	s_waitcnt vmcnt(14)
	v_not_b32_e32 v36, v175
	ds_write_b32 v146, v36
	;; [unrolled: 3-line block ×7, first 2 shown]
	v_add_u32_e32 v36, v171, v116
	v_mad_i64_i32 v[36:37], s[18:19], v36, 36, v[59:60]
	v_mad_i64_i32 v[38:39], s[18:19], v38, 36, v[59:60]
	v_add_u32_e32 v40, v171, v118
	v_add_u32_e32 v61, v171, v119
	;; [unrolled: 1-line block ×3, first 2 shown]
	v_mad_i64_i32 v[40:41], s[18:19], v40, 36, v[59:60]
	v_mad_i64_i32 v[61:62], s[18:19], v61, 36, v[59:60]
	global_load_dword v172, v[34:35], off offset:4
	global_load_dword v173, v[36:37], off offset:4
	;; [unrolled: 1-line block ×4, first 2 shown]
	s_nop 0
	global_load_dword v61, v[61:62], off offset:4
	v_add_u32_e32 v34, v171, v120
	v_mad_u64_u32 v[38:39], s[18:19], v174, 36, s[2:3]
	v_mad_i64_i32 v[34:35], s[18:19], v34, 36, v[59:60]
	v_add_u32_e32 v36, v171, v121
	v_mad_i64_i32 v[36:37], s[18:19], v36, 36, v[59:60]
	v_add_u32_e32 v40, v171, v122
	v_mad_i64_i32 v[40:41], s[18:19], v40, 36, v[59:60]
	global_load_dword v38, v[38:39], off
	s_nop 0
	global_load_dword v34, v[34:35], off offset:4
	s_nop 0
	global_load_dword v35, v[36:37], off offset:4
	;; [unrolled: 2-line block ×3, first 2 shown]
	s_waitcnt vmcnt(17)
	v_not_b32_e32 v37, v194
	ds_write_b32 v152, v37
	s_waitcnt vmcnt(16)
	v_ashrrev_i32_e32 v37, v105, v195
	s_waitcnt vmcnt(10)
	v_ashrrev_i32_e32 v39, v107, v68
	v_and_b32_e32 v37, 0xf0f0f0f, v37
	v_lshlrev_b32_e32 v39, 4, v39
	v_and_or_b32 v37, v39, s8, v37
	v_lshlrev_b16_e32 v40, 8, v37
	v_and_b32_e32 v39, 0x3f00, v37
	v_add_u16_e32 v40, 0xe000, v40
	v_or_b32_sdwa v39, v39, v40 dst_sel:DWORD dst_unused:UNUSED_PAD src0_sel:DWORD src1_sel:BYTE_1
	v_and_b32_sdwa v40, v37, s9 dst_sel:DWORD dst_unused:UNUSED_PAD src0_sel:WORD_1 src1_sel:DWORD
	v_lshlrev_b16_sdwa v37, v157, v37 dst_sel:DWORD dst_unused:UNUSED_PAD src0_sel:DWORD src1_sel:WORD_1
	v_add_u16_e32 v37, 0xe000, v37
	v_or_b32_sdwa v37, v40, v37 dst_sel:DWORD dst_unused:UNUSED_PAD src0_sel:DWORD src1_sel:BYTE_1
	v_add_u16_e32 v39, 0xe000, v39
	v_add_u16_sdwa v37, v37, s11 dst_sel:WORD_1 dst_unused:UNUSED_PAD src0_sel:DWORD src1_sel:DWORD
	v_or_b32_e32 v37, v39, v37
	ds_write_b32 v153, v37
	v_ashrrev_i32_e32 v37, v105, v65
	v_ashrrev_i32_e32 v39, v107, v64
	v_and_b32_e32 v37, 0xf0f0f0f, v37
	v_lshlrev_b32_e32 v39, 4, v39
	v_and_or_b32 v37, v39, s8, v37
	v_lshlrev_b16_e32 v40, 8, v37
	v_and_b32_e32 v39, 0x3f00, v37
	v_add_u16_e32 v40, 0xe000, v40
	v_or_b32_sdwa v39, v39, v40 dst_sel:DWORD dst_unused:UNUSED_PAD src0_sel:DWORD src1_sel:BYTE_1
	v_and_b32_sdwa v40, v37, s9 dst_sel:DWORD dst_unused:UNUSED_PAD src0_sel:WORD_1 src1_sel:DWORD
	v_lshlrev_b16_sdwa v37, v157, v37 dst_sel:DWORD dst_unused:UNUSED_PAD src0_sel:DWORD src1_sel:WORD_1
	v_add_u16_e32 v37, 0xe000, v37
	v_or_b32_sdwa v37, v40, v37 dst_sel:DWORD dst_unused:UNUSED_PAD src0_sel:DWORD src1_sel:BYTE_1
	v_add_u16_e32 v39, 0xe000, v39
	v_add_u16_sdwa v37, v37, s11 dst_sel:WORD_1 dst_unused:UNUSED_PAD src0_sel:DWORD src1_sel:DWORD
	v_or_b32_e32 v37, v39, v37
	ds_write_b32 v154, v37
	v_ashrrev_i32_e32 v37, v105, v66
	v_ashrrev_i32_e32 v39, v107, v63
	v_and_b32_e32 v37, 0xf0f0f0f, v37
	v_lshlrev_b32_e32 v39, 4, v39
	v_and_or_b32 v37, v39, s8, v37
	v_lshlrev_b16_e32 v40, 8, v37
	v_and_b32_e32 v39, 0x3f00, v37
	v_add_u16_e32 v40, 0xe000, v40
	v_or_b32_sdwa v39, v39, v40 dst_sel:DWORD dst_unused:UNUSED_PAD src0_sel:DWORD src1_sel:BYTE_1
	v_and_b32_sdwa v40, v37, s9 dst_sel:DWORD dst_unused:UNUSED_PAD src0_sel:WORD_1 src1_sel:DWORD
	v_lshlrev_b16_sdwa v37, v157, v37 dst_sel:DWORD dst_unused:UNUSED_PAD src0_sel:DWORD src1_sel:WORD_1
	v_add_u16_e32 v37, 0xe000, v37
	v_or_b32_sdwa v37, v40, v37 dst_sel:DWORD dst_unused:UNUSED_PAD src0_sel:DWORD src1_sel:BYTE_1
	v_add_u16_e32 v39, 0xe000, v39
	v_add_u16_sdwa v37, v37, s11 dst_sel:WORD_1 dst_unused:UNUSED_PAD src0_sel:DWORD src1_sel:DWORD
	v_or_b32_e32 v37, v39, v37
	ds_write_b32 v155, v37
	s_waitcnt vmcnt(9)
	v_ashrrev_i32_e32 v37, v105, v69
	v_ashrrev_i32_e32 v39, v107, v67
	v_and_b32_e32 v37, 0xf0f0f0f, v37
	v_lshlrev_b32_e32 v39, 4, v39
	v_and_or_b32 v37, v39, s8, v37
	v_lshlrev_b16_e32 v40, 8, v37
	v_and_b32_e32 v39, 0x3f00, v37
	v_add_u16_e32 v40, 0xe000, v40
	v_or_b32_sdwa v39, v39, v40 dst_sel:DWORD dst_unused:UNUSED_PAD src0_sel:DWORD src1_sel:BYTE_1
	v_and_b32_sdwa v40, v37, s9 dst_sel:DWORD dst_unused:UNUSED_PAD src0_sel:WORD_1 src1_sel:DWORD
	v_lshlrev_b16_sdwa v37, v157, v37 dst_sel:DWORD dst_unused:UNUSED_PAD src0_sel:DWORD src1_sel:WORD_1
	v_add_u16_e32 v37, 0xe000, v37
	v_or_b32_sdwa v37, v40, v37 dst_sel:DWORD dst_unused:UNUSED_PAD src0_sel:DWORD src1_sel:BYTE_1
	v_add_u16_e32 v39, 0xe000, v39
	v_add_u16_sdwa v37, v37, s11 dst_sel:WORD_1 dst_unused:UNUSED_PAD src0_sel:DWORD src1_sel:DWORD
	v_or_b32_e32 v37, v39, v37
	v_add_u32_e32 v175, v112, v115
	ds_write_b32 v156, v37
	s_waitcnt vmcnt(8)
	ds_write_b32 v175, v172
	s_waitcnt vmcnt(7)
	ds_write_b32 v158, v173
	s_waitcnt vmcnt(6)
	ds_write_b32 v159, v176
	s_waitcnt vmcnt(5)
	ds_write_b32 v160, v177
	s_waitcnt vmcnt(4)
	ds_write_b32 v161, v61
	v_mov_b32_e32 v176, v143
	v_mov_b32_e32 v177, v142
	s_mov_b32 s17, 0
	s_mov_b32 s18, 0
	s_waitcnt vmcnt(3)
	v_cvt_f32_f16_e32 v37, v38
	s_waitcnt vmcnt(2)
	ds_write_b32 v162, v34
	s_waitcnt vmcnt(1)
	ds_write_b32 v163, v35
	;; [unrolled: 2-line block ×3, first 2 shown]
	ds_write_b32 v113, v37
	s_waitcnt lgkmcnt(0)
	s_barrier
.LBB130_7:                              ;   Parent Loop BB130_6 Depth=1
                                        ; =>  This Inner Loop Header: Depth=2
	s_add_i32 s19, s20, 2
	s_lshr_b32 s23, s19, 4
	s_and_b32 s21, s19, 0x3ffffff8
	v_lshl_add_u32 v193, s21, 2, v123
	s_lshl_b32 s21, s23, 5
	s_addk_i32 s21, 0x4200
	v_lshlrev_b32_e32 v171, 2, v90
	v_add3_u32 v178, s21, v171, v124
	ds_read2_b32 v[61:62], v177 offset1:32
	ds_read_b128 v[38:41], v176
	ds_read_b128 v[34:37], v176 offset:16
	ds_read2_b32 v[65:66], v178 offset1:1
	ds_read2_b32 v[63:64], v193 offset1:1
	v_add3_u32 v189, s21, v165, v125
	ds_read2_b32 v[181:182], v189 offset1:1
	s_and_b32 s22, s18, -16
	s_waitcnt lgkmcnt(2)
	v_ashrrev_i32_e32 v65, s17, v65
	s_waitcnt lgkmcnt(1)
	v_ashrrev_i32_e32 v63, s19, v63
	v_lshlrev_b32_e32 v65, 2, v65
	v_and_b32_e32 v67, 0x3030303, v63
	v_bfe_u32 v63, v63, 24, 2
	v_and_b32_e32 v65, 0x4040404, v65
	v_sub_u16_e32 v68, v67, v65
	v_sub_u16_sdwa v69, v67, v65 dst_sel:BYTE_1 dst_unused:UNUSED_PAD src0_sel:BYTE_1 src1_sel:BYTE_1
	v_sub_u16_sdwa v63, v63, v65 dst_sel:BYTE_1 dst_unused:UNUSED_PAD src0_sel:DWORD src1_sel:BYTE_3
	v_sub_u16_sdwa v65, v67, v65 dst_sel:DWORD dst_unused:UNUSED_PAD src0_sel:WORD_1 src1_sel:WORD_1
	v_or_b32_sdwa v68, v68, v69 dst_sel:DWORD dst_unused:UNUSED_PAD src0_sel:BYTE_0 src1_sel:DWORD
	v_or_b32_sdwa v63, v65, v63 dst_sel:WORD_1 dst_unused:UNUSED_PAD src0_sel:BYTE_0 src1_sel:DWORD
	v_ashrrev_i32_e32 v66, s17, v66
	v_or_b32_sdwa v65, v68, v63 dst_sel:DWORD dst_unused:UNUSED_PAD src0_sel:WORD_0 src1_sel:DWORD
	v_ashrrev_i32_e32 v63, s19, v64
	v_lshlrev_b32_e32 v66, 2, v66
	v_and_b32_e32 v64, 0x3030303, v63
	v_bfe_u32 v63, v63, 24, 2
	v_and_b32_e32 v66, 0x4040404, v66
	v_sub_u16_e32 v67, v64, v66
	v_sub_u16_sdwa v68, v64, v66 dst_sel:BYTE_1 dst_unused:UNUSED_PAD src0_sel:BYTE_1 src1_sel:BYTE_1
	v_sub_u16_sdwa v63, v63, v66 dst_sel:BYTE_1 dst_unused:UNUSED_PAD src0_sel:DWORD src1_sel:BYTE_3
	v_sub_u16_sdwa v64, v64, v66 dst_sel:DWORD dst_unused:UNUSED_PAD src0_sel:WORD_1 src1_sel:WORD_1
	v_or_b32_sdwa v67, v67, v68 dst_sel:DWORD dst_unused:UNUSED_PAD src0_sel:BYTE_0 src1_sel:DWORD
	v_or_b32_sdwa v63, v64, v63 dst_sel:WORD_1 dst_unused:UNUSED_PAD src0_sel:BYTE_0 src1_sel:DWORD
	v_or_b32_sdwa v66, v67, v63 dst_sel:DWORD dst_unused:UNUSED_PAD src0_sel:WORD_0 src1_sel:DWORD
	ds_read2_b32 v[63:64], v193 offset0:2 offset1:3
	ds_read2_b32 v[67:68], v178 offset0:2 offset1:3
	s_add_i32 s20, s20, s22
	s_lshl_b32 s22, s23, 2
	s_add_i32 s22, s22, 0x9380
	s_waitcnt lgkmcnt(1)
	v_ashrrev_i32_e32 v63, s19, v63
	s_waitcnt lgkmcnt(0)
	v_ashrrev_i32_e32 v67, s17, v67
	v_lshlrev_b32_e32 v67, 2, v67
	v_and_b32_e32 v69, 0x3030303, v63
	v_bfe_u32 v63, v63, 24, 2
	v_and_b32_e32 v67, 0x4040404, v67
	v_sub_u16_e32 v172, v69, v67
	v_sub_u16_sdwa v173, v69, v67 dst_sel:BYTE_1 dst_unused:UNUSED_PAD src0_sel:BYTE_1 src1_sel:BYTE_1
	v_sub_u16_sdwa v63, v63, v67 dst_sel:BYTE_1 dst_unused:UNUSED_PAD src0_sel:DWORD src1_sel:BYTE_3
	v_sub_u16_sdwa v67, v69, v67 dst_sel:DWORD dst_unused:UNUSED_PAD src0_sel:WORD_1 src1_sel:WORD_1
	v_or_b32_sdwa v172, v172, v173 dst_sel:DWORD dst_unused:UNUSED_PAD src0_sel:BYTE_0 src1_sel:DWORD
	v_or_b32_sdwa v63, v67, v63 dst_sel:WORD_1 dst_unused:UNUSED_PAD src0_sel:BYTE_0 src1_sel:DWORD
	v_ashrrev_i32_e32 v68, s17, v68
	v_or_b32_sdwa v67, v172, v63 dst_sel:DWORD dst_unused:UNUSED_PAD src0_sel:WORD_0 src1_sel:DWORD
	v_ashrrev_i32_e32 v63, s19, v64
	v_lshlrev_b32_e32 v68, 2, v68
	v_and_b32_e32 v64, 0x3030303, v63
	v_bfe_u32 v63, v63, 24, 2
	v_and_b32_e32 v68, 0x4040404, v68
	v_sub_u16_e32 v69, v64, v68
	v_sub_u16_sdwa v172, v64, v68 dst_sel:BYTE_1 dst_unused:UNUSED_PAD src0_sel:BYTE_1 src1_sel:BYTE_1
	v_sub_u16_sdwa v63, v63, v68 dst_sel:BYTE_1 dst_unused:UNUSED_PAD src0_sel:DWORD src1_sel:BYTE_3
	v_sub_u16_sdwa v64, v64, v68 dst_sel:DWORD dst_unused:UNUSED_PAD src0_sel:WORD_1 src1_sel:WORD_1
	v_or_b32_sdwa v69, v69, v172 dst_sel:DWORD dst_unused:UNUSED_PAD src0_sel:BYTE_0 src1_sel:DWORD
	v_or_b32_sdwa v63, v64, v63 dst_sel:WORD_1 dst_unused:UNUSED_PAD src0_sel:BYTE_0 src1_sel:DWORD
	v_or_b32_sdwa v68, v69, v63 dst_sel:DWORD dst_unused:UNUSED_PAD src0_sel:WORD_0 src1_sel:DWORD
	ds_read2_b32 v[63:64], v193 offset0:4 offset1:5
	ds_read2_b32 v[172:173], v178 offset0:4 offset1:5
	v_ashrrev_i32_e32 v181, s17, v181
	v_add3_u32 v202, s21, v167, v127
	v_lshlrev_b32_e32 v181, 2, v181
	s_waitcnt lgkmcnt(1)
	v_ashrrev_i32_e32 v63, s19, v63
	s_waitcnt lgkmcnt(0)
	v_ashrrev_i32_e32 v172, s17, v172
	v_lshlrev_b32_e32 v172, 2, v172
	v_and_b32_e32 v69, 0x3030303, v63
	v_bfe_u32 v63, v63, 24, 2
	v_and_b32_e32 v172, 0x4040404, v172
	v_sub_u16_e32 v179, v69, v172
	v_sub_u16_sdwa v180, v69, v172 dst_sel:BYTE_1 dst_unused:UNUSED_PAD src0_sel:BYTE_1 src1_sel:BYTE_1
	v_sub_u16_sdwa v63, v63, v172 dst_sel:BYTE_1 dst_unused:UNUSED_PAD src0_sel:DWORD src1_sel:BYTE_3
	v_sub_u16_sdwa v69, v69, v172 dst_sel:DWORD dst_unused:UNUSED_PAD src0_sel:WORD_1 src1_sel:WORD_1
	v_or_b32_sdwa v179, v179, v180 dst_sel:DWORD dst_unused:UNUSED_PAD src0_sel:BYTE_0 src1_sel:DWORD
	v_or_b32_sdwa v63, v69, v63 dst_sel:WORD_1 dst_unused:UNUSED_PAD src0_sel:BYTE_0 src1_sel:DWORD
	v_ashrrev_i32_e32 v172, s17, v173
	v_or_b32_sdwa v69, v179, v63 dst_sel:DWORD dst_unused:UNUSED_PAD src0_sel:WORD_0 src1_sel:DWORD
	v_ashrrev_i32_e32 v63, s19, v64
	v_lshlrev_b32_e32 v172, 2, v172
	v_and_b32_e32 v64, 0x3030303, v63
	v_bfe_u32 v63, v63, 24, 2
	v_and_b32_e32 v172, 0x4040404, v172
	v_sub_u16_e32 v173, v64, v172
	v_sub_u16_sdwa v179, v64, v172 dst_sel:BYTE_1 dst_unused:UNUSED_PAD src0_sel:BYTE_1 src1_sel:BYTE_1
	v_sub_u16_sdwa v63, v63, v172 dst_sel:BYTE_1 dst_unused:UNUSED_PAD src0_sel:DWORD src1_sel:BYTE_3
	v_sub_u16_sdwa v64, v64, v172 dst_sel:DWORD dst_unused:UNUSED_PAD src0_sel:WORD_1 src1_sel:WORD_1
	v_or_b32_sdwa v173, v173, v179 dst_sel:DWORD dst_unused:UNUSED_PAD src0_sel:BYTE_0 src1_sel:DWORD
	v_or_b32_sdwa v63, v64, v63 dst_sel:WORD_1 dst_unused:UNUSED_PAD src0_sel:BYTE_0 src1_sel:DWORD
	v_or_b32_sdwa v206, v173, v63 dst_sel:DWORD dst_unused:UNUSED_PAD src0_sel:WORD_0 src1_sel:DWORD
	ds_read2_b32 v[63:64], v193 offset0:6 offset1:7
	ds_read2_b32 v[172:173], v178 offset0:6 offset1:7
	;; [unrolled: 1-line block ×3, first 2 shown]
	v_and_b32_e32 v181, 0x4040404, v181
	v_ashrrev_i32_e32 v182, s17, v182
	s_waitcnt lgkmcnt(2)
	v_ashrrev_i32_e32 v63, s19, v63
	s_waitcnt lgkmcnt(1)
	v_ashrrev_i32_e32 v172, s17, v172
	v_lshlrev_b32_e32 v172, 2, v172
	v_and_b32_e32 v179, 0x3030303, v63
	v_bfe_u32 v63, v63, 24, 2
	v_and_b32_e32 v172, 0x4040404, v172
	v_sub_u16_e32 v178, v179, v172
	v_sub_u16_sdwa v180, v179, v172 dst_sel:BYTE_1 dst_unused:UNUSED_PAD src0_sel:BYTE_1 src1_sel:BYTE_1
	v_sub_u16_sdwa v63, v63, v172 dst_sel:BYTE_1 dst_unused:UNUSED_PAD src0_sel:DWORD src1_sel:BYTE_3
	v_sub_u16_sdwa v172, v179, v172 dst_sel:DWORD dst_unused:UNUSED_PAD src0_sel:WORD_1 src1_sel:WORD_1
	v_or_b32_sdwa v178, v178, v180 dst_sel:DWORD dst_unused:UNUSED_PAD src0_sel:BYTE_0 src1_sel:DWORD
	v_or_b32_sdwa v63, v172, v63 dst_sel:WORD_1 dst_unused:UNUSED_PAD src0_sel:BYTE_0 src1_sel:DWORD
	v_ashrrev_i32_e32 v172, s17, v173
	v_or_b32_sdwa v207, v178, v63 dst_sel:DWORD dst_unused:UNUSED_PAD src0_sel:WORD_0 src1_sel:DWORD
	v_ashrrev_i32_e32 v63, s19, v64
	v_lshlrev_b32_e32 v172, 2, v172
	v_and_b32_e32 v64, 0x3030303, v63
	v_bfe_u32 v63, v63, 24, 2
	v_and_b32_e32 v172, 0x4040404, v172
	v_sub_u16_e32 v173, v64, v172
	v_sub_u16_sdwa v178, v64, v172 dst_sel:BYTE_1 dst_unused:UNUSED_PAD src0_sel:BYTE_1 src1_sel:BYTE_1
	v_sub_u16_sdwa v63, v63, v172 dst_sel:BYTE_1 dst_unused:UNUSED_PAD src0_sel:DWORD src1_sel:BYTE_3
	v_sub_u16_sdwa v64, v64, v172 dst_sel:DWORD dst_unused:UNUSED_PAD src0_sel:WORD_1 src1_sel:WORD_1
	v_dot4_i32_i8 v179, v69, v34, 0
	v_or_b32_sdwa v173, v173, v178 dst_sel:DWORD dst_unused:UNUSED_PAD src0_sel:BYTE_0 src1_sel:DWORD
	v_or_b32_sdwa v63, v64, v63 dst_sel:WORD_1 dst_unused:UNUSED_PAD src0_sel:BYTE_0 src1_sel:DWORD
	v_dot4_i32_i8 v179, v206, v35, v179
	v_or_b32_sdwa v208, v173, v63 dst_sel:DWORD dst_unused:UNUSED_PAD src0_sel:WORD_0 src1_sel:DWORD
	v_lshlrev_b32_e32 v172, 2, v71
	v_lshlrev_b32_e32 v173, 2, v104
	v_dot4_i32_i8 v179, v207, v36, v179
	v_add3_u32 v64, s22, v172, v173
	v_dot4_i32_i8 v209, v208, v37, v179
	v_add_u32_e32 v179, 0x1080, v193
	ds_read_b32 v178, v64
	ds_read2_b32 v[179:180], v179 offset1:1
	v_lshlrev_b32_e32 v182, 2, v182
	v_and_b32_e32 v182, 0x4040404, v182
	v_add3_u32 v218, s21, v169, v129
	v_dot4_i32_i8 v64, v65, v38, 0
	s_waitcnt lgkmcnt(0)
	v_ashrrev_i32_e32 v179, s19, v179
	v_and_b32_e32 v183, 0x3030303, v179
	v_bfe_u32 v179, v179, 24, 2
	v_sub_u16_e32 v184, v183, v181
	v_sub_u16_sdwa v185, v183, v181 dst_sel:BYTE_1 dst_unused:UNUSED_PAD src0_sel:BYTE_1 src1_sel:BYTE_1
	v_sub_u16_sdwa v179, v179, v181 dst_sel:BYTE_1 dst_unused:UNUSED_PAD src0_sel:DWORD src1_sel:BYTE_3
	v_sub_u16_sdwa v181, v183, v181 dst_sel:DWORD dst_unused:UNUSED_PAD src0_sel:WORD_1 src1_sel:WORD_1
	v_ashrrev_i32_e32 v180, s19, v180
	v_or_b32_sdwa v184, v184, v185 dst_sel:DWORD dst_unused:UNUSED_PAD src0_sel:BYTE_0 src1_sel:DWORD
	v_or_b32_sdwa v179, v181, v179 dst_sel:WORD_1 dst_unused:UNUSED_PAD src0_sel:BYTE_0 src1_sel:DWORD
	v_and_b32_e32 v181, 0x3030303, v180
	v_bfe_u32 v180, v180, 24, 2
	v_or_b32_sdwa v179, v184, v179 dst_sel:DWORD dst_unused:UNUSED_PAD src0_sel:WORD_0 src1_sel:DWORD
	v_sub_u16_e32 v183, v181, v182
	v_sub_u16_sdwa v184, v181, v182 dst_sel:BYTE_1 dst_unused:UNUSED_PAD src0_sel:BYTE_1 src1_sel:BYTE_1
	v_sub_u16_sdwa v180, v180, v182 dst_sel:BYTE_1 dst_unused:UNUSED_PAD src0_sel:DWORD src1_sel:BYTE_3
	v_sub_u16_sdwa v181, v181, v182 dst_sel:DWORD dst_unused:UNUSED_PAD src0_sel:WORD_1 src1_sel:WORD_1
	v_or_b32_sdwa v183, v183, v184 dst_sel:DWORD dst_unused:UNUSED_PAD src0_sel:BYTE_0 src1_sel:DWORD
	v_or_b32_sdwa v180, v181, v180 dst_sel:WORD_1 dst_unused:UNUSED_PAD src0_sel:BYTE_0 src1_sel:DWORD
	v_add_u32_e32 v181, 0x1088, v193
	v_or_b32_sdwa v180, v183, v180 dst_sel:DWORD dst_unused:UNUSED_PAD src0_sel:WORD_0 src1_sel:DWORD
	ds_read2_b32 v[182:183], v181 offset1:1
	ds_read2_b32 v[184:185], v189 offset0:2 offset1:3
	ds_read2_b32 v[213:214], v218 offset1:1
	v_dot4_i32_i8 v64, v66, v39, v64
	v_dot4_i32_i8 v64, v67, v40, v64
	s_waitcnt lgkmcnt(2)
	v_ashrrev_i32_e32 v181, s19, v182
	s_waitcnt lgkmcnt(1)
	v_ashrrev_i32_e32 v184, s17, v184
	v_lshlrev_b32_e32 v184, 2, v184
	v_and_b32_e32 v182, 0x3030303, v181
	v_bfe_u32 v181, v181, 24, 2
	v_and_b32_e32 v184, 0x4040404, v184
	v_sub_u16_e32 v186, v182, v184
	v_sub_u16_sdwa v187, v182, v184 dst_sel:BYTE_1 dst_unused:UNUSED_PAD src0_sel:BYTE_1 src1_sel:BYTE_1
	v_sub_u16_sdwa v181, v181, v184 dst_sel:BYTE_1 dst_unused:UNUSED_PAD src0_sel:DWORD src1_sel:BYTE_3
	v_sub_u16_sdwa v182, v182, v184 dst_sel:DWORD dst_unused:UNUSED_PAD src0_sel:WORD_1 src1_sel:WORD_1
	v_or_b32_sdwa v186, v186, v187 dst_sel:DWORD dst_unused:UNUSED_PAD src0_sel:BYTE_0 src1_sel:DWORD
	v_or_b32_sdwa v181, v182, v181 dst_sel:WORD_1 dst_unused:UNUSED_PAD src0_sel:BYTE_0 src1_sel:DWORD
	v_ashrrev_i32_e32 v184, s17, v185
	v_or_b32_sdwa v182, v186, v181 dst_sel:DWORD dst_unused:UNUSED_PAD src0_sel:WORD_0 src1_sel:DWORD
	v_ashrrev_i32_e32 v181, s19, v183
	v_lshlrev_b32_e32 v184, 2, v184
	v_and_b32_e32 v183, 0x3030303, v181
	v_bfe_u32 v181, v181, 24, 2
	v_and_b32_e32 v184, 0x4040404, v184
	v_sub_u16_e32 v185, v183, v184
	v_sub_u16_sdwa v186, v183, v184 dst_sel:BYTE_1 dst_unused:UNUSED_PAD src0_sel:BYTE_1 src1_sel:BYTE_1
	v_sub_u16_sdwa v181, v181, v184 dst_sel:BYTE_1 dst_unused:UNUSED_PAD src0_sel:DWORD src1_sel:BYTE_3
	v_sub_u16_sdwa v183, v183, v184 dst_sel:DWORD dst_unused:UNUSED_PAD src0_sel:WORD_1 src1_sel:WORD_1
	v_or_b32_sdwa v185, v185, v186 dst_sel:DWORD dst_unused:UNUSED_PAD src0_sel:BYTE_0 src1_sel:DWORD
	v_or_b32_sdwa v181, v183, v181 dst_sel:WORD_1 dst_unused:UNUSED_PAD src0_sel:BYTE_0 src1_sel:DWORD
	v_or_b32_sdwa v184, v185, v181 dst_sel:DWORD dst_unused:UNUSED_PAD src0_sel:WORD_0 src1_sel:DWORD
	v_add_u32_e32 v181, 0x1090, v193
	ds_read2_b32 v[185:186], v181 offset1:1
	ds_read2_b32 v[187:188], v189 offset0:4 offset1:5
	v_dot4_i32_i8 v64, v68, v41, v64
	v_add_u32_e32 v63, s20, v135
	v_add_u32_e32 v211, s20, v137
	s_waitcnt lgkmcnt(1)
	v_ashrrev_i32_e32 v181, s19, v185
	s_waitcnt lgkmcnt(0)
	v_ashrrev_i32_e32 v185, s17, v187
	v_lshlrev_b32_e32 v185, 2, v185
	v_and_b32_e32 v183, 0x3030303, v181
	v_bfe_u32 v181, v181, 24, 2
	v_and_b32_e32 v185, 0x4040404, v185
	v_sub_u16_e32 v187, v183, v185
	v_sub_u16_sdwa v190, v183, v185 dst_sel:BYTE_1 dst_unused:UNUSED_PAD src0_sel:BYTE_1 src1_sel:BYTE_1
	v_sub_u16_sdwa v181, v181, v185 dst_sel:BYTE_1 dst_unused:UNUSED_PAD src0_sel:DWORD src1_sel:BYTE_3
	v_sub_u16_sdwa v183, v183, v185 dst_sel:DWORD dst_unused:UNUSED_PAD src0_sel:WORD_1 src1_sel:WORD_1
	v_or_b32_sdwa v187, v187, v190 dst_sel:DWORD dst_unused:UNUSED_PAD src0_sel:BYTE_0 src1_sel:DWORD
	v_or_b32_sdwa v181, v183, v181 dst_sel:WORD_1 dst_unused:UNUSED_PAD src0_sel:BYTE_0 src1_sel:DWORD
	v_ashrrev_i32_e32 v185, s17, v188
	v_or_b32_sdwa v187, v187, v181 dst_sel:DWORD dst_unused:UNUSED_PAD src0_sel:WORD_0 src1_sel:DWORD
	v_ashrrev_i32_e32 v181, s19, v186
	v_lshlrev_b32_e32 v185, 2, v185
	v_and_b32_e32 v183, 0x3030303, v181
	v_bfe_u32 v181, v181, 24, 2
	v_and_b32_e32 v185, 0x4040404, v185
	v_sub_u16_e32 v186, v183, v185
	v_sub_u16_sdwa v188, v183, v185 dst_sel:BYTE_1 dst_unused:UNUSED_PAD src0_sel:BYTE_1 src1_sel:BYTE_1
	v_sub_u16_sdwa v181, v181, v185 dst_sel:BYTE_1 dst_unused:UNUSED_PAD src0_sel:DWORD src1_sel:BYTE_3
	v_sub_u16_sdwa v183, v183, v185 dst_sel:DWORD dst_unused:UNUSED_PAD src0_sel:WORD_1 src1_sel:WORD_1
	v_or_b32_sdwa v186, v186, v188 dst_sel:DWORD dst_unused:UNUSED_PAD src0_sel:BYTE_0 src1_sel:DWORD
	v_or_b32_sdwa v181, v183, v181 dst_sel:WORD_1 dst_unused:UNUSED_PAD src0_sel:BYTE_0 src1_sel:DWORD
	v_or_b32_sdwa v190, v186, v181 dst_sel:DWORD dst_unused:UNUSED_PAD src0_sel:WORD_0 src1_sel:DWORD
	v_add_u32_e32 v181, 0x1098, v193
	ds_read2_b32 v[185:186], v181 offset1:1
	ds_read2_b32 v[188:189], v189 offset0:6 offset1:7
	v_add_u32_e32 v216, s20, v139
	s_add_i32 s18, s18, 2
	s_waitcnt lgkmcnt(1)
	v_ashrrev_i32_e32 v181, s19, v185
	s_waitcnt lgkmcnt(0)
	v_ashrrev_i32_e32 v185, s17, v188
	v_lshlrev_b32_e32 v185, 2, v185
	v_and_b32_e32 v183, 0x3030303, v181
	v_bfe_u32 v181, v181, 24, 2
	v_and_b32_e32 v185, 0x4040404, v185
	v_sub_u16_e32 v188, v183, v185
	v_sub_u16_sdwa v191, v183, v185 dst_sel:BYTE_1 dst_unused:UNUSED_PAD src0_sel:BYTE_1 src1_sel:BYTE_1
	v_sub_u16_sdwa v181, v181, v185 dst_sel:BYTE_1 dst_unused:UNUSED_PAD src0_sel:DWORD src1_sel:BYTE_3
	v_sub_u16_sdwa v183, v183, v185 dst_sel:DWORD dst_unused:UNUSED_PAD src0_sel:WORD_1 src1_sel:WORD_1
	v_or_b32_sdwa v188, v188, v191 dst_sel:DWORD dst_unused:UNUSED_PAD src0_sel:BYTE_0 src1_sel:DWORD
	v_or_b32_sdwa v181, v183, v181 dst_sel:WORD_1 dst_unused:UNUSED_PAD src0_sel:BYTE_0 src1_sel:DWORD
	v_ashrrev_i32_e32 v185, s17, v189
	v_or_b32_sdwa v194, v188, v181 dst_sel:DWORD dst_unused:UNUSED_PAD src0_sel:WORD_0 src1_sel:DWORD
	v_ashrrev_i32_e32 v181, s19, v186
	v_lshlrev_b32_e32 v185, 2, v185
	v_and_b32_e32 v183, 0x3030303, v181
	v_bfe_u32 v181, v181, 24, 2
	v_and_b32_e32 v185, 0x4040404, v185
	v_sub_u16_e32 v186, v183, v185
	v_sub_u16_sdwa v188, v183, v185 dst_sel:BYTE_1 dst_unused:UNUSED_PAD src0_sel:BYTE_1 src1_sel:BYTE_1
	v_sub_u16_sdwa v181, v181, v185 dst_sel:BYTE_1 dst_unused:UNUSED_PAD src0_sel:DWORD src1_sel:BYTE_3
	v_sub_u16_sdwa v183, v183, v185 dst_sel:DWORD dst_unused:UNUSED_PAD src0_sel:WORD_1 src1_sel:WORD_1
	v_or_b32_sdwa v181, v183, v181 dst_sel:WORD_1 dst_unused:UNUSED_PAD src0_sel:BYTE_0 src1_sel:DWORD
	v_dot4_i32_i8 v183, v179, v38, 0
	v_dot4_i32_i8 v183, v180, v39, v183
	;; [unrolled: 1-line block ×5, first 2 shown]
	v_or_b32_sdwa v186, v186, v188 dst_sel:DWORD dst_unused:UNUSED_PAD src0_sel:BYTE_0 src1_sel:DWORD
	v_dot4_i32_i8 v183, v190, v35, v183
	v_or_b32_sdwa v197, v186, v181 dst_sel:DWORD dst_unused:UNUSED_PAD src0_sel:WORD_0 src1_sel:DWORD
	v_dot4_i32_i8 v183, v194, v36, v183
	v_add3_u32 v181, s22, v166, v126
	v_dot4_i32_i8 v212, v197, v37, v183
	v_add_u32_e32 v183, 0x2100, v193
	ds_read_b32 v181, v181
	ds_read2_b32 v[185:186], v183 offset1:1
	ds_read2_b32 v[188:189], v202 offset1:1
	s_waitcnt lgkmcnt(1)
	v_ashrrev_i32_e32 v183, s19, v185
	s_waitcnt lgkmcnt(0)
	v_ashrrev_i32_e32 v188, s17, v188
	v_lshlrev_b32_e32 v188, 2, v188
	v_and_b32_e32 v185, 0x3030303, v183
	v_bfe_u32 v183, v183, 24, 2
	v_and_b32_e32 v188, 0x4040404, v188
	v_sub_u16_e32 v191, v185, v188
	v_sub_u16_sdwa v192, v185, v188 dst_sel:BYTE_1 dst_unused:UNUSED_PAD src0_sel:BYTE_1 src1_sel:BYTE_1
	v_sub_u16_sdwa v183, v183, v188 dst_sel:BYTE_1 dst_unused:UNUSED_PAD src0_sel:DWORD src1_sel:BYTE_3
	v_sub_u16_sdwa v185, v185, v188 dst_sel:DWORD dst_unused:UNUSED_PAD src0_sel:WORD_1 src1_sel:WORD_1
	v_ashrrev_i32_e32 v188, s17, v189
	v_or_b32_sdwa v183, v185, v183 dst_sel:WORD_1 dst_unused:UNUSED_PAD src0_sel:BYTE_0 src1_sel:DWORD
	v_ashrrev_i32_e32 v185, s19, v186
	v_lshlrev_b32_e32 v188, 2, v188
	v_or_b32_sdwa v191, v191, v192 dst_sel:DWORD dst_unused:UNUSED_PAD src0_sel:BYTE_0 src1_sel:DWORD
	v_and_b32_e32 v186, 0x3030303, v185
	v_bfe_u32 v185, v185, 24, 2
	v_and_b32_e32 v188, 0x4040404, v188
	v_or_b32_sdwa v183, v191, v183 dst_sel:DWORD dst_unused:UNUSED_PAD src0_sel:WORD_0 src1_sel:DWORD
	v_sub_u16_e32 v189, v186, v188
	v_sub_u16_sdwa v191, v186, v188 dst_sel:BYTE_1 dst_unused:UNUSED_PAD src0_sel:BYTE_1 src1_sel:BYTE_1
	v_sub_u16_sdwa v185, v185, v188 dst_sel:BYTE_1 dst_unused:UNUSED_PAD src0_sel:DWORD src1_sel:BYTE_3
	v_sub_u16_sdwa v186, v186, v188 dst_sel:DWORD dst_unused:UNUSED_PAD src0_sel:WORD_1 src1_sel:WORD_1
	v_or_b32_sdwa v189, v189, v191 dst_sel:DWORD dst_unused:UNUSED_PAD src0_sel:BYTE_0 src1_sel:DWORD
	v_or_b32_sdwa v185, v186, v185 dst_sel:WORD_1 dst_unused:UNUSED_PAD src0_sel:BYTE_0 src1_sel:DWORD
	v_add_u32_e32 v186, 0x2108, v193
	v_or_b32_sdwa v185, v189, v185 dst_sel:DWORD dst_unused:UNUSED_PAD src0_sel:WORD_0 src1_sel:DWORD
	ds_read2_b32 v[188:189], v186 offset1:1
	ds_read2_b32 v[191:192], v202 offset0:2 offset1:3
	ds_read2_b32 v[202:203], v202 offset0:6 offset1:7
	s_waitcnt lgkmcnt(2)
	v_ashrrev_i32_e32 v186, s19, v188
	s_waitcnt lgkmcnt(1)
	v_ashrrev_i32_e32 v191, s17, v191
	v_lshlrev_b32_e32 v191, 2, v191
	v_and_b32_e32 v188, 0x3030303, v186
	v_bfe_u32 v186, v186, 24, 2
	v_and_b32_e32 v191, 0x4040404, v191
	v_sub_u16_e32 v195, v188, v191
	v_sub_u16_sdwa v196, v188, v191 dst_sel:BYTE_1 dst_unused:UNUSED_PAD src0_sel:BYTE_1 src1_sel:BYTE_1
	v_sub_u16_sdwa v186, v186, v191 dst_sel:BYTE_1 dst_unused:UNUSED_PAD src0_sel:DWORD src1_sel:BYTE_3
	v_sub_u16_sdwa v188, v188, v191 dst_sel:DWORD dst_unused:UNUSED_PAD src0_sel:WORD_1 src1_sel:WORD_1
	v_or_b32_sdwa v195, v195, v196 dst_sel:DWORD dst_unused:UNUSED_PAD src0_sel:BYTE_0 src1_sel:DWORD
	v_or_b32_sdwa v186, v188, v186 dst_sel:WORD_1 dst_unused:UNUSED_PAD src0_sel:BYTE_0 src1_sel:DWORD
	v_ashrrev_i32_e32 v191, s17, v192
	v_or_b32_sdwa v188, v195, v186 dst_sel:DWORD dst_unused:UNUSED_PAD src0_sel:WORD_0 src1_sel:DWORD
	v_ashrrev_i32_e32 v186, s19, v189
	v_lshlrev_b32_e32 v191, 2, v191
	v_and_b32_e32 v189, 0x3030303, v186
	v_bfe_u32 v186, v186, 24, 2
	v_and_b32_e32 v191, 0x4040404, v191
	v_sub_u16_e32 v192, v189, v191
	v_sub_u16_sdwa v195, v189, v191 dst_sel:BYTE_1 dst_unused:UNUSED_PAD src0_sel:BYTE_1 src1_sel:BYTE_1
	v_sub_u16_sdwa v186, v186, v191 dst_sel:BYTE_1 dst_unused:UNUSED_PAD src0_sel:DWORD src1_sel:BYTE_3
	v_sub_u16_sdwa v189, v189, v191 dst_sel:DWORD dst_unused:UNUSED_PAD src0_sel:WORD_1 src1_sel:WORD_1
	v_or_b32_sdwa v192, v192, v195 dst_sel:DWORD dst_unused:UNUSED_PAD src0_sel:BYTE_0 src1_sel:DWORD
	v_or_b32_sdwa v186, v189, v186 dst_sel:WORD_1 dst_unused:UNUSED_PAD src0_sel:BYTE_0 src1_sel:DWORD
	v_or_b32_sdwa v191, v192, v186 dst_sel:DWORD dst_unused:UNUSED_PAD src0_sel:WORD_0 src1_sel:DWORD
	v_add_u32_e32 v186, 0x2110, v193
	ds_read2_b32 v[195:196], v186 offset1:1
	v_ashrrev_i32_e32 v192, s17, v198
	v_lshlrev_b32_e32 v192, 2, v192
	v_and_b32_e32 v192, 0x4040404, v192
	s_waitcnt lgkmcnt(0)
	v_ashrrev_i32_e32 v186, s19, v195
	v_and_b32_e32 v189, 0x3030303, v186
	v_bfe_u32 v186, v186, 24, 2
	v_sub_u16_e32 v195, v189, v192
	v_sub_u16_sdwa v198, v189, v192 dst_sel:BYTE_1 dst_unused:UNUSED_PAD src0_sel:BYTE_1 src1_sel:BYTE_1
	v_sub_u16_sdwa v186, v186, v192 dst_sel:BYTE_1 dst_unused:UNUSED_PAD src0_sel:DWORD src1_sel:BYTE_3
	v_sub_u16_sdwa v189, v189, v192 dst_sel:DWORD dst_unused:UNUSED_PAD src0_sel:WORD_1 src1_sel:WORD_1
	v_or_b32_sdwa v195, v195, v198 dst_sel:DWORD dst_unused:UNUSED_PAD src0_sel:BYTE_0 src1_sel:DWORD
	v_or_b32_sdwa v186, v189, v186 dst_sel:WORD_1 dst_unused:UNUSED_PAD src0_sel:BYTE_0 src1_sel:DWORD
	v_ashrrev_i32_e32 v192, s17, v199
	v_or_b32_sdwa v195, v195, v186 dst_sel:DWORD dst_unused:UNUSED_PAD src0_sel:WORD_0 src1_sel:DWORD
	v_ashrrev_i32_e32 v186, s19, v196
	v_lshlrev_b32_e32 v192, 2, v192
	v_and_b32_e32 v189, 0x3030303, v186
	v_bfe_u32 v186, v186, 24, 2
	v_and_b32_e32 v192, 0x4040404, v192
	v_sub_u16_e32 v196, v189, v192
	v_sub_u16_sdwa v198, v189, v192 dst_sel:BYTE_1 dst_unused:UNUSED_PAD src0_sel:BYTE_1 src1_sel:BYTE_1
	v_sub_u16_sdwa v186, v186, v192 dst_sel:BYTE_1 dst_unused:UNUSED_PAD src0_sel:DWORD src1_sel:BYTE_3
	v_sub_u16_sdwa v189, v189, v192 dst_sel:DWORD dst_unused:UNUSED_PAD src0_sel:WORD_1 src1_sel:WORD_1
	v_or_b32_sdwa v196, v196, v198 dst_sel:DWORD dst_unused:UNUSED_PAD src0_sel:BYTE_0 src1_sel:DWORD
	v_or_b32_sdwa v186, v189, v186 dst_sel:WORD_1 dst_unused:UNUSED_PAD src0_sel:BYTE_0 src1_sel:DWORD
	v_or_b32_sdwa v198, v196, v186 dst_sel:DWORD dst_unused:UNUSED_PAD src0_sel:WORD_0 src1_sel:DWORD
	v_add_u32_e32 v186, 0x2118, v193
	ds_read2_b32 v[200:201], v186 offset1:1
	v_ashrrev_i32_e32 v192, s17, v202
	v_lshlrev_b32_e32 v192, 2, v192
	v_and_b32_e32 v192, 0x4040404, v192
	s_waitcnt lgkmcnt(0)
	v_ashrrev_i32_e32 v186, s19, v200
	v_and_b32_e32 v189, 0x3030303, v186
	v_bfe_u32 v186, v186, 24, 2
	v_sub_u16_e32 v196, v189, v192
	v_sub_u16_sdwa v199, v189, v192 dst_sel:BYTE_1 dst_unused:UNUSED_PAD src0_sel:BYTE_1 src1_sel:BYTE_1
	v_sub_u16_sdwa v186, v186, v192 dst_sel:BYTE_1 dst_unused:UNUSED_PAD src0_sel:DWORD src1_sel:BYTE_3
	v_sub_u16_sdwa v189, v189, v192 dst_sel:DWORD dst_unused:UNUSED_PAD src0_sel:WORD_1 src1_sel:WORD_1
	v_or_b32_sdwa v196, v196, v199 dst_sel:DWORD dst_unused:UNUSED_PAD src0_sel:BYTE_0 src1_sel:DWORD
	v_or_b32_sdwa v186, v189, v186 dst_sel:WORD_1 dst_unused:UNUSED_PAD src0_sel:BYTE_0 src1_sel:DWORD
	v_ashrrev_i32_e32 v192, s17, v203
	v_or_b32_sdwa v200, v196, v186 dst_sel:DWORD dst_unused:UNUSED_PAD src0_sel:WORD_0 src1_sel:DWORD
	v_ashrrev_i32_e32 v186, s19, v201
	v_lshlrev_b32_e32 v192, 2, v192
	v_and_b32_e32 v189, 0x3030303, v186
	v_bfe_u32 v186, v186, 24, 2
	v_and_b32_e32 v192, 0x4040404, v192
	v_sub_u16_e32 v196, v189, v192
	v_sub_u16_sdwa v199, v189, v192 dst_sel:BYTE_1 dst_unused:UNUSED_PAD src0_sel:BYTE_1 src1_sel:BYTE_1
	v_sub_u16_sdwa v186, v186, v192 dst_sel:BYTE_1 dst_unused:UNUSED_PAD src0_sel:DWORD src1_sel:BYTE_3
	v_sub_u16_sdwa v189, v189, v192 dst_sel:DWORD dst_unused:UNUSED_PAD src0_sel:WORD_1 src1_sel:WORD_1
	v_or_b32_sdwa v186, v189, v186 dst_sel:WORD_1 dst_unused:UNUSED_PAD src0_sel:BYTE_0 src1_sel:DWORD
	v_dot4_i32_i8 v189, v183, v38, 0
	v_dot4_i32_i8 v189, v185, v39, v189
	;; [unrolled: 1-line block ×5, first 2 shown]
	v_or_b32_sdwa v196, v196, v199 dst_sel:DWORD dst_unused:UNUSED_PAD src0_sel:BYTE_0 src1_sel:DWORD
	v_dot4_i32_i8 v189, v198, v35, v189
	v_or_b32_sdwa v202, v196, v186 dst_sel:DWORD dst_unused:UNUSED_PAD src0_sel:WORD_0 src1_sel:DWORD
	v_dot4_i32_i8 v189, v200, v36, v189
	v_add3_u32 v186, s22, v168, v128
	v_dot4_i32_i8 v217, v202, v37, v189
	v_add_u32_e32 v189, 0x3180, v193
	ds_read_b32 v186, v186
	ds_read2_b32 v[203:204], v189 offset1:1
	v_ashrrev_i32_e32 v196, s17, v213
	v_lshlrev_b32_e32 v196, 2, v196
	v_and_b32_e32 v196, 0x4040404, v196
	s_waitcnt lgkmcnt(0)
	v_ashrrev_i32_e32 v189, s19, v203
	v_and_b32_e32 v192, 0x3030303, v189
	v_bfe_u32 v189, v189, 24, 2
	v_sub_u16_e32 v199, v192, v196
	v_sub_u16_sdwa v201, v192, v196 dst_sel:BYTE_1 dst_unused:UNUSED_PAD src0_sel:BYTE_1 src1_sel:BYTE_1
	v_sub_u16_sdwa v189, v189, v196 dst_sel:BYTE_1 dst_unused:UNUSED_PAD src0_sel:DWORD src1_sel:BYTE_3
	v_sub_u16_sdwa v192, v192, v196 dst_sel:DWORD dst_unused:UNUSED_PAD src0_sel:WORD_1 src1_sel:WORD_1
	v_or_b32_sdwa v199, v199, v201 dst_sel:DWORD dst_unused:UNUSED_PAD src0_sel:BYTE_0 src1_sel:DWORD
	v_or_b32_sdwa v189, v192, v189 dst_sel:WORD_1 dst_unused:UNUSED_PAD src0_sel:BYTE_0 src1_sel:DWORD
	v_or_b32_sdwa v189, v199, v189 dst_sel:DWORD dst_unused:UNUSED_PAD src0_sel:WORD_0 src1_sel:DWORD
	v_ashrrev_i32_e32 v199, s17, v214
	v_ashrrev_i32_e32 v192, s19, v204
	v_lshlrev_b32_e32 v199, 2, v199
	v_and_b32_e32 v196, 0x3030303, v192
	v_bfe_u32 v192, v192, 24, 2
	v_and_b32_e32 v199, 0x4040404, v199
	v_sub_u16_e32 v201, v196, v199
	v_sub_u16_sdwa v203, v196, v199 dst_sel:BYTE_1 dst_unused:UNUSED_PAD src0_sel:BYTE_1 src1_sel:BYTE_1
	v_sub_u16_sdwa v192, v192, v199 dst_sel:BYTE_1 dst_unused:UNUSED_PAD src0_sel:DWORD src1_sel:BYTE_3
	v_sub_u16_sdwa v196, v196, v199 dst_sel:DWORD dst_unused:UNUSED_PAD src0_sel:WORD_1 src1_sel:WORD_1
	v_or_b32_sdwa v192, v196, v192 dst_sel:WORD_1 dst_unused:UNUSED_PAD src0_sel:BYTE_0 src1_sel:DWORD
	v_add_u32_e32 v196, 0x3188, v193
	v_or_b32_sdwa v201, v201, v203 dst_sel:DWORD dst_unused:UNUSED_PAD src0_sel:BYTE_0 src1_sel:DWORD
	ds_read2_b32 v[203:204], v196 offset1:1
	ds_read2_b32 v[213:214], v218 offset0:2 offset1:3
	v_or_b32_sdwa v192, v201, v192 dst_sel:DWORD dst_unused:UNUSED_PAD src0_sel:WORD_0 src1_sel:DWORD
	v_dot4_i32_i8 v38, v189, v38, 0
	v_dot4_i32_i8 v38, v192, v39, v38
	s_waitcnt lgkmcnt(1)
	v_ashrrev_i32_e32 v196, s19, v203
	s_waitcnt lgkmcnt(0)
	v_ashrrev_i32_e32 v201, s17, v213
	v_lshlrev_b32_e32 v201, 2, v201
	v_and_b32_e32 v199, 0x3030303, v196
	v_bfe_u32 v196, v196, 24, 2
	v_and_b32_e32 v201, 0x4040404, v201
	v_sub_u16_e32 v203, v199, v201
	v_sub_u16_sdwa v205, v199, v201 dst_sel:BYTE_1 dst_unused:UNUSED_PAD src0_sel:BYTE_1 src1_sel:BYTE_1
	v_sub_u16_sdwa v196, v196, v201 dst_sel:BYTE_1 dst_unused:UNUSED_PAD src0_sel:DWORD src1_sel:BYTE_3
	v_sub_u16_sdwa v199, v199, v201 dst_sel:DWORD dst_unused:UNUSED_PAD src0_sel:WORD_1 src1_sel:WORD_1
	v_or_b32_sdwa v203, v203, v205 dst_sel:DWORD dst_unused:UNUSED_PAD src0_sel:BYTE_0 src1_sel:DWORD
	v_or_b32_sdwa v196, v199, v196 dst_sel:WORD_1 dst_unused:UNUSED_PAD src0_sel:BYTE_0 src1_sel:DWORD
	v_or_b32_sdwa v196, v203, v196 dst_sel:DWORD dst_unused:UNUSED_PAD src0_sel:WORD_0 src1_sel:DWORD
	v_ashrrev_i32_e32 v203, s17, v214
	v_ashrrev_i32_e32 v199, s19, v204
	v_lshlrev_b32_e32 v203, 2, v203
	v_and_b32_e32 v201, 0x3030303, v199
	v_bfe_u32 v199, v199, 24, 2
	v_and_b32_e32 v203, 0x4040404, v203
	v_sub_u16_e32 v204, v201, v203
	v_sub_u16_sdwa v205, v201, v203 dst_sel:BYTE_1 dst_unused:UNUSED_PAD src0_sel:BYTE_1 src1_sel:BYTE_1
	v_sub_u16_sdwa v199, v199, v203 dst_sel:BYTE_1 dst_unused:UNUSED_PAD src0_sel:DWORD src1_sel:BYTE_3
	v_sub_u16_sdwa v201, v201, v203 dst_sel:DWORD dst_unused:UNUSED_PAD src0_sel:WORD_1 src1_sel:WORD_1
	v_or_b32_sdwa v204, v204, v205 dst_sel:DWORD dst_unused:UNUSED_PAD src0_sel:BYTE_0 src1_sel:DWORD
	v_or_b32_sdwa v199, v201, v199 dst_sel:WORD_1 dst_unused:UNUSED_PAD src0_sel:BYTE_0 src1_sel:DWORD
	v_add_u32_e32 v201, 0x3190, v193
	v_or_b32_sdwa v199, v204, v199 dst_sel:DWORD dst_unused:UNUSED_PAD src0_sel:WORD_0 src1_sel:DWORD
	ds_read2_b32 v[203:204], v201 offset1:1
	ds_read2_b32 v[213:214], v218 offset0:4 offset1:5
	v_add_u32_e32 v193, 0x3198, v193
	v_dot4_i32_i8 v38, v196, v40, v38
	v_dot4_i32_i8 v38, v199, v41, v38
	s_waitcnt lgkmcnt(1)
	v_ashrrev_i32_e32 v201, s19, v203
	s_waitcnt lgkmcnt(0)
	v_ashrrev_i32_e32 v205, s17, v213
	v_lshlrev_b32_e32 v205, 2, v205
	v_and_b32_e32 v203, 0x3030303, v201
	v_bfe_u32 v201, v201, 24, 2
	v_and_b32_e32 v205, 0x4040404, v205
	v_sub_u16_e32 v213, v203, v205
	v_sub_u16_sdwa v219, v203, v205 dst_sel:BYTE_1 dst_unused:UNUSED_PAD src0_sel:BYTE_1 src1_sel:BYTE_1
	v_sub_u16_sdwa v201, v201, v205 dst_sel:BYTE_1 dst_unused:UNUSED_PAD src0_sel:DWORD src1_sel:BYTE_3
	v_sub_u16_sdwa v203, v203, v205 dst_sel:DWORD dst_unused:UNUSED_PAD src0_sel:WORD_1 src1_sel:WORD_1
	v_ashrrev_i32_e32 v205, s17, v214
	v_or_b32_sdwa v201, v203, v201 dst_sel:WORD_1 dst_unused:UNUSED_PAD src0_sel:BYTE_0 src1_sel:DWORD
	v_ashrrev_i32_e32 v203, s19, v204
	v_lshlrev_b32_e32 v205, 2, v205
	v_or_b32_sdwa v213, v213, v219 dst_sel:DWORD dst_unused:UNUSED_PAD src0_sel:BYTE_0 src1_sel:DWORD
	v_and_b32_e32 v204, 0x3030303, v203
	v_bfe_u32 v203, v203, 24, 2
	v_and_b32_e32 v205, 0x4040404, v205
	v_or_b32_sdwa v201, v213, v201 dst_sel:DWORD dst_unused:UNUSED_PAD src0_sel:WORD_0 src1_sel:DWORD
	v_sub_u16_e32 v213, v204, v205
	v_sub_u16_sdwa v214, v204, v205 dst_sel:BYTE_1 dst_unused:UNUSED_PAD src0_sel:BYTE_1 src1_sel:BYTE_1
	v_sub_u16_sdwa v203, v203, v205 dst_sel:BYTE_1 dst_unused:UNUSED_PAD src0_sel:DWORD src1_sel:BYTE_3
	v_sub_u16_sdwa v204, v204, v205 dst_sel:DWORD dst_unused:UNUSED_PAD src0_sel:WORD_1 src1_sel:WORD_1
	v_or_b32_sdwa v213, v213, v214 dst_sel:DWORD dst_unused:UNUSED_PAD src0_sel:BYTE_0 src1_sel:DWORD
	v_or_b32_sdwa v203, v204, v203 dst_sel:WORD_1 dst_unused:UNUSED_PAD src0_sel:BYTE_0 src1_sel:DWORD
	v_or_b32_sdwa v203, v213, v203 dst_sel:DWORD dst_unused:UNUSED_PAD src0_sel:WORD_0 src1_sel:DWORD
	ds_read2_b32 v[204:205], v193 offset1:1
	ds_read2_b32 v[213:214], v218 offset0:6 offset1:7
	v_dot4_i32_i8 v34, v201, v34, 0
	v_dot4_i32_i8 v34, v203, v35, v34
	s_waitcnt lgkmcnt(1)
	v_ashrrev_i32_e32 v193, s19, v204
	s_waitcnt lgkmcnt(0)
	v_ashrrev_i32_e32 v213, s17, v213
	v_lshlrev_b32_e32 v213, 2, v213
	v_and_b32_e32 v204, 0x3030303, v193
	v_bfe_u32 v193, v193, 24, 2
	v_and_b32_e32 v213, 0x4040404, v213
	v_sub_u16_e32 v218, v204, v213
	v_sub_u16_sdwa v219, v204, v213 dst_sel:BYTE_1 dst_unused:UNUSED_PAD src0_sel:BYTE_1 src1_sel:BYTE_1
	v_sub_u16_sdwa v193, v193, v213 dst_sel:BYTE_1 dst_unused:UNUSED_PAD src0_sel:DWORD src1_sel:BYTE_3
	v_sub_u16_sdwa v204, v204, v213 dst_sel:DWORD dst_unused:UNUSED_PAD src0_sel:WORD_1 src1_sel:WORD_1
	v_or_b32_sdwa v218, v218, v219 dst_sel:DWORD dst_unused:UNUSED_PAD src0_sel:BYTE_0 src1_sel:DWORD
	v_or_b32_sdwa v193, v204, v193 dst_sel:WORD_1 dst_unused:UNUSED_PAD src0_sel:BYTE_0 src1_sel:DWORD
	v_ashrrev_i32_e32 v213, s17, v214
	v_or_b32_sdwa v204, v218, v193 dst_sel:DWORD dst_unused:UNUSED_PAD src0_sel:WORD_0 src1_sel:DWORD
	v_ashrrev_i32_e32 v193, s19, v205
	v_lshlrev_b32_e32 v213, 2, v213
	v_and_b32_e32 v205, 0x3030303, v193
	v_bfe_u32 v193, v193, 24, 2
	v_and_b32_e32 v213, 0x4040404, v213
	v_sub_u16_e32 v214, v205, v213
	v_sub_u16_sdwa v218, v205, v213 dst_sel:BYTE_1 dst_unused:UNUSED_PAD src0_sel:BYTE_1 src1_sel:BYTE_1
	v_sub_u16_sdwa v193, v193, v213 dst_sel:BYTE_1 dst_unused:UNUSED_PAD src0_sel:DWORD src1_sel:BYTE_3
	v_sub_u16_sdwa v205, v205, v213 dst_sel:DWORD dst_unused:UNUSED_PAD src0_sel:WORD_1 src1_sel:WORD_1
	v_or_b32_sdwa v214, v214, v218 dst_sel:DWORD dst_unused:UNUSED_PAD src0_sel:BYTE_0 src1_sel:DWORD
	v_or_b32_sdwa v193, v205, v193 dst_sel:WORD_1 dst_unused:UNUSED_PAD src0_sel:BYTE_0 src1_sel:DWORD
	v_or_b32_sdwa v205, v214, v193 dst_sel:DWORD dst_unused:UNUSED_PAD src0_sel:WORD_0 src1_sel:DWORD
	v_add3_u32 v193, s22, v170, v130
	ds_read_b32 v193, v193
	ds_read_b128 v[219:222], v176 offset:1024
	ds_read_b128 v[223:226], v176 offset:1040
	v_dot4_i32_i8 v34, v204, v36, v34
	v_dot4_i32_i8 v34, v205, v37, v34
	v_add_u32_e32 v218, s20, v141
	s_waitcnt lgkmcnt(1)
	v_dot4_i32_i8 v35, v65, v219, 0
	v_dot4_i32_i8 v35, v66, v220, v35
	;; [unrolled: 1-line block ×4, first 2 shown]
	s_waitcnt lgkmcnt(0)
	v_dot4_i32_i8 v35, v69, v223, 0
	v_dot4_i32_i8 v35, v206, v224, v35
	;; [unrolled: 1-line block ×28, first 2 shown]
	ds_read2_b32 v[35:36], v177 offset0:64 offset1:96
	ds_read_b128 v[219:222], v176 offset:2048
	ds_read_b128 v[223:226], v176 offset:2064
	s_add_i32 s17, s17, 1
	s_cmp_lt_u32 s19, 6
	s_waitcnt lgkmcnt(1)
	v_dot4_i32_i8 v39, v65, v219, 0
	v_dot4_i32_i8 v39, v66, v220, v39
	;; [unrolled: 1-line block ×4, first 2 shown]
	s_waitcnt lgkmcnt(0)
	v_dot4_i32_i8 v39, v69, v223, 0
	v_dot4_i32_i8 v39, v206, v224, v39
	;; [unrolled: 1-line block ×24, first 2 shown]
	ds_read_b128 v[219:222], v176 offset:3072
	ds_read_b128 v[227:230], v176 offset:3088
	v_dot4_i32_i8 v39, v201, v223, 0
	v_dot4_i32_i8 v39, v203, v224, v39
	;; [unrolled: 1-line block ×4, first 2 shown]
	s_waitcnt lgkmcnt(1)
	v_dot4_i32_i8 v39, v65, v219, 0
	v_dot4_i32_i8 v39, v66, v220, v39
	;; [unrolled: 1-line block ×4, first 2 shown]
	s_waitcnt lgkmcnt(0)
	v_dot4_i32_i8 v39, v69, v227, 0
	v_dot4_i32_i8 v39, v206, v228, v39
	;; [unrolled: 1-line block ×4, first 2 shown]
	ds_read_u16 v39, v63 offset:2
	s_waitcnt lgkmcnt(0)
	v_lshrrev_b16_e32 v63, 8, v39
	v_bfe_i32 v225, v63, 0, 8
	v_bfe_i32 v226, v39, 0, 8
	v_mul_lo_u32 v41, v41, v225
	v_mul_lo_u32 v37, v37, v226
	;; [unrolled: 1-line block ×4, first 2 shown]
	v_mad_u64_u32 v[213:214], s[20:21], v213, v226, v[41:42]
                                        ; kill: def $vgpr41 killed $sgpr0 killed $exec
	v_mad_u64_u32 v[40:41], s[20:21], v223, v225, v[40:41]
	v_mad_u64_u32 v[223:224], s[20:21], v231, v225, v[37:38]
	;; [unrolled: 1-line block ×3, first 2 shown]
	v_cvt_f32_i32_e32 v209, v223
	v_mul_f32_e32 v37, v178, v62
	v_cvt_f32_i32_e32 v40, v40
	v_mul_f32_e32 v41, v178, v36
	v_fmac_f32_e32 v6, v37, v209
	v_dot4_i32_i8 v37, v179, v219, 0
	v_dot4_i32_i8 v37, v180, v220, v37
	;; [unrolled: 1-line block ×3, first 2 shown]
	v_fma_f32 v8, v41, v40, v8
	v_dot4_i32_i8 v40, v184, v222, v37
	v_dot4_i32_i8 v37, v187, v227, 0
	;; [unrolled: 1-line block ×5, first 2 shown]
	ds_read_u16 v37, v211 offset:2
	v_cvt_f32_i32_e32 v63, v63
	v_cvt_f32_i32_e32 v213, v213
	v_mul_f32_e32 v39, v178, v61
	v_mul_f32_e32 v64, v178, v35
	v_fma_f32 v7, v39, v63, v7
	s_waitcnt lgkmcnt(0)
	v_lshrrev_b16_e32 v39, 8, v37
	v_fma_f32 v9, v64, v213, v9
	v_bfe_i32 v213, v39, 0, 8
	v_bfe_i32 v214, v37, 0, 8
	v_mul_lo_u32 v41, v239, v213
	v_mul_lo_u32 v40, v40, v214
	;; [unrolled: 1-line block ×4, first 2 shown]
	v_mad_u64_u32 v[63:64], s[20:21], v238, v214, v[41:42]
                                        ; kill: def $vgpr41 killed $sgpr0 killed $exec
	v_mul_f32_e32 v64, v181, v35
	v_mad_u64_u32 v[40:41], s[20:21], v209, v213, v[40:41]
	v_mul_f32_e32 v41, v181, v36
	v_cvt_f32_i32_e32 v63, v63
	v_mad_u64_u32 v[209:210], s[20:21], v210, v214, v[39:40]
	v_mad_u64_u32 v[210:211], s[20:21], v233, v213, v[37:38]
	v_mul_f32_e32 v37, v181, v62
	v_cvt_f32_i32_e32 v40, v40
	v_cvt_f32_i32_e32 v210, v210
	;; [unrolled: 1-line block ×3, first 2 shown]
	v_mul_f32_e32 v39, v181, v61
	v_fma_f32 v32, v41, v40, v32
	v_fmac_f32_e32 v30, v37, v210
	v_dot4_i32_i8 v37, v183, v219, 0
	v_dot4_i32_i8 v37, v185, v220, v37
	;; [unrolled: 1-line block ×7, first 2 shown]
	v_fma_f32 v31, v39, v209, v31
	v_dot4_i32_i8 v209, v202, v230, v37
	ds_read_u16 v37, v216 offset:2
	v_fma_f32 v33, v64, v63, v33
	s_waitcnt lgkmcnt(0)
	v_lshrrev_b16_e32 v39, 8, v37
	v_bfe_i32 v211, v39, 0, 8
	v_bfe_i32 v212, v37, 0, 8
	v_mul_lo_u32 v41, v241, v211
	v_mul_lo_u32 v40, v40, v212
	;; [unrolled: 1-line block ×4, first 2 shown]
	v_mad_u64_u32 v[63:64], s[20:21], v240, v212, v[41:42]
                                        ; kill: def $vgpr41 killed $sgpr0 killed $exec
	v_mul_f32_e32 v64, v186, v35
	v_mad_u64_u32 v[40:41], s[20:21], v209, v211, v[40:41]
	v_cvt_f32_i32_e32 v63, v63
	v_mul_f32_e32 v41, v186, v36
	v_mad_u64_u32 v[209:210], s[20:21], v215, v212, v[39:40]
	v_mad_u64_u32 v[215:216], s[20:21], v235, v211, v[37:38]
	v_mul_f32_e32 v37, v186, v62
	v_cvt_f32_i32_e32 v209, v209
	v_cvt_f32_i32_e32 v210, v215
	v_mul_f32_e32 v39, v186, v61
	v_fma_f32 v29, v64, v63, v29
	v_fma_f32 v27, v39, v209, v27
	v_fmac_f32_e32 v26, v37, v210
	v_dot4_i32_i8 v37, v189, v219, 0
	v_dot4_i32_i8 v37, v192, v220, v37
	;; [unrolled: 1-line block ×8, first 2 shown]
	ds_read_u16 v37, v218 offset:2
	v_cvt_f32_i32_e32 v40, v40
	v_mul_f32_e32 v36, v193, v36
	v_fma_f32 v28, v41, v40, v28
	s_waitcnt lgkmcnt(0)
	v_lshrrev_b16_e32 v40, 8, v37
	v_bfe_i32 v209, v40, 0, 8
	v_mul_lo_u32 v40, v243, v209
	v_bfe_i32 v210, v37, 0, 8
                                        ; kill: def $vgpr41 killed $sgpr0 killed $exec
	v_mul_lo_u32 v34, v34, v209
	v_mul_lo_u32 v39, v39, v210
	v_mad_u64_u32 v[40:41], s[20:21], v242, v210, v[40:41]
	v_mul_lo_u32 v37, v236, v210
	v_mad_u64_u32 v[63:64], s[20:21], v63, v209, v[39:40]
	v_mad_u64_u32 v[38:39], s[20:21], v38, v210, v[34:35]
	v_cvt_f32_i32_e32 v41, v63
	v_cvt_f32_i32_e32 v40, v40
	v_mad_u64_u32 v[215:216], s[20:21], v237, v209, v[37:38]
	v_cvt_f32_i32_e32 v38, v38
	v_mul_f32_e32 v34, v193, v62
	v_cvt_f32_i32_e32 v39, v215
	v_mul_f32_e32 v37, v193, v61
	v_mul_f32_e32 v35, v193, v35
	v_fma_f32 v25, v35, v40, v25
	v_fma_f32 v24, v36, v41, v24
	;; [unrolled: 1-line block ×3, first 2 shown]
	v_fmac_f32_e32 v22, v34, v39
	ds_read2_b32 v[61:62], v177 offset0:128 offset1:160
	ds_read_b128 v[34:37], v176 offset:4096
	ds_read_b128 v[38:41], v176 offset:4112
	s_waitcnt lgkmcnt(1)
	v_dot4_i32_i8 v63, v65, v34, 0
	v_dot4_i32_i8 v63, v66, v35, v63
	;; [unrolled: 1-line block ×4, first 2 shown]
	s_waitcnt lgkmcnt(0)
	v_dot4_i32_i8 v63, v69, v38, 0
	v_dot4_i32_i8 v63, v206, v39, v63
	;; [unrolled: 1-line block ×28, first 2 shown]
	ds_read_b128 v[34:37], v176 offset:5120
	ds_read_b128 v[38:41], v176 offset:5136
	s_waitcnt lgkmcnt(1)
	v_dot4_i32_i8 v63, v65, v34, 0
	v_dot4_i32_i8 v63, v66, v35, v63
	v_dot4_i32_i8 v63, v67, v36, v63
	v_dot4_i32_i8 v237, v68, v37, v63
	s_waitcnt lgkmcnt(0)
	v_dot4_i32_i8 v63, v69, v38, 0
	v_dot4_i32_i8 v63, v206, v39, v63
	;; [unrolled: 1-line block ×28, first 2 shown]
	ds_read2_b32 v[63:64], v177 offset0:192 offset1:224
	ds_read_b128 v[34:37], v176 offset:6144
	ds_read_b128 v[38:41], v176 offset:6160
	v_add_u32_e32 v177, 4, v177
	s_waitcnt lgkmcnt(1)
	v_dot4_i32_i8 v227, v65, v34, 0
	v_dot4_i32_i8 v227, v66, v35, v227
	;; [unrolled: 1-line block ×4, first 2 shown]
	s_waitcnt lgkmcnt(0)
	v_dot4_i32_i8 v227, v69, v38, 0
	v_dot4_i32_i8 v227, v206, v39, v227
	;; [unrolled: 1-line block ×28, first 2 shown]
	ds_read_b128 v[38:41], v176 offset:7168
	ds_read_b128 v[34:37], v176 offset:7184
	v_add_u32_e32 v176, 32, v176
	s_waitcnt lgkmcnt(1)
	v_dot4_i32_i8 v65, v65, v38, 0
	v_dot4_i32_i8 v65, v66, v39, v65
	;; [unrolled: 1-line block ×4, first 2 shown]
	s_waitcnt lgkmcnt(0)
	v_dot4_i32_i8 v66, v69, v34, 0
	v_mul_lo_u32 v67, v65, v226
	v_mul_lo_u32 v65, v240, v225
	v_dot4_i32_i8 v66, v206, v35, v66
	v_mul_lo_u32 v68, v236, v225
	v_dot4_i32_i8 v66, v207, v36, v66
	;; [unrolled: 2-line block ×3, first 2 shown]
                                        ; kill: def $vgpr66 killed $sgpr0 killed $exec
	v_mul_f32_e32 v207, v178, v64
	v_mad_u64_u32 v[65:66], s[20:21], v239, v226, v[65:66]
	v_mad_u64_u32 v[66:67], s[20:21], v206, v225, v[67:68]
	;; [unrolled: 1-line block ×4, first 2 shown]
	v_cvt_f32_i32_e32 v65, v65
	v_mul_f32_e32 v69, v178, v62
	v_cvt_f32_i32_e32 v68, v68
	v_mul_f32_e32 v206, v178, v61
	v_mul_f32_e32 v178, v178, v63
	v_cvt_f32_i32_e32 v67, v67
	v_fma_f32 v21, v178, v65, v21
	v_fmac_f32_e32 v18, v69, v68
	v_dot4_i32_i8 v65, v179, v38, 0
	v_mul_lo_u32 v68, v234, v213
	v_cvt_f32_i32_e32 v66, v66
	v_dot4_i32_i8 v65, v180, v39, v65
	v_dot4_i32_i8 v65, v182, v40, v65
	v_fma_f32 v19, v206, v67, v19
	v_dot4_i32_i8 v67, v184, v41, v65
                                        ; kill: def $vgpr69 killed $sgpr0 killed $exec
	v_dot4_i32_i8 v65, v187, v34, 0
	v_mul_lo_u32 v67, v67, v214
	v_mad_u64_u32 v[68:69], s[20:21], v233, v214, v[68:69]
	v_fma_f32 v20, v207, v66, v20
	v_dot4_i32_i8 v65, v190, v35, v65
	v_mul_lo_u32 v66, v224, v213
	v_dot4_i32_i8 v65, v194, v36, v65
	v_dot4_i32_i8 v178, v197, v37, v65
	v_mad_u64_u32 v[178:179], s[20:21], v178, v213, v[67:68]
                                        ; kill: def $vgpr67 killed $sgpr0 killed $exec
	v_mul_lo_u32 v65, v230, v214
	v_mad_u64_u32 v[66:67], s[20:21], v223, v214, v[66:67]
	v_mul_f32_e32 v67, v181, v61
	v_cvt_f32_i32_e32 v178, v178
	v_mad_u64_u32 v[179:180], s[20:21], v229, v213, v[65:66]
	v_mul_f32_e32 v65, v181, v62
	v_cvt_f32_i32_e32 v66, v66
	v_cvt_f32_i32_e32 v179, v179
	;; [unrolled: 1-line block ×3, first 2 shown]
	v_mul_f32_e32 v69, v181, v64
	v_fma_f32 v15, v67, v66, v15
	v_fmac_f32_e32 v14, v65, v179
	v_dot4_i32_i8 v65, v183, v38, 0
	v_dot4_i32_i8 v65, v185, v39, v65
	;; [unrolled: 1-line block ×8, first 2 shown]
	v_mul_f32_e32 v180, v181, v63
	v_dot4_i32_i8 v65, v200, v36, v65
	v_dot4_i32_i8 v38, v189, v38, 0
	;; [unrolled: 1-line block ×3, first 2 shown]
	v_fma_f32 v17, v180, v68, v17
	v_fma_f32 v16, v69, v178, v16
	v_dot4_i32_i8 v178, v202, v37, v65
	v_mul_lo_u32 v68, v232, v211
	v_dot4_i32_i8 v38, v192, v39, v38
	v_dot4_i32_i8 v39, v205, v37, v34
	v_mul_lo_u32 v37, v228, v209
	v_dot4_i32_i8 v38, v196, v40, v38
	v_dot4_i32_i8 v38, v199, v41, v38
                                        ; kill: def $vgpr69 killed $sgpr0 killed $exec
	v_mul_lo_u32 v36, v38, v210
                                        ; kill: def $vgpr38 killed $sgpr0 killed $exec
	v_mul_lo_u32 v67, v67, v212
	v_mad_u64_u32 v[68:69], s[20:21], v231, v212, v[68:69]
	v_mad_u64_u32 v[37:38], s[20:21], v227, v210, v[37:38]
	v_mul_lo_u32 v66, v220, v211
	v_mul_lo_u32 v35, v216, v209
	v_mad_u64_u32 v[178:179], s[20:21], v178, v211, v[67:68]
                                        ; kill: def $vgpr67 killed $sgpr0 killed $exec
	v_mad_u64_u32 v[38:39], s[20:21], v39, v209, v[36:37]
                                        ; kill: def $vgpr36 killed $sgpr0 killed $exec
	v_mul_lo_u32 v65, v222, v212
	v_mad_u64_u32 v[66:67], s[20:21], v219, v212, v[66:67]
	v_mul_lo_u32 v34, v218, v210
	v_mad_u64_u32 v[35:36], s[20:21], v215, v210, v[35:36]
	v_mad_u64_u32 v[179:180], s[20:21], v221, v211, v[65:66]
	;; [unrolled: 1-line block ×3, first 2 shown]
	v_cvt_f32_i32_e32 v179, v179
	v_cvt_f32_i32_e32 v66, v66
	;; [unrolled: 1-line block ×8, first 2 shown]
	v_mul_f32_e32 v65, v186, v62
	v_mul_f32_e32 v67, v186, v61
	;; [unrolled: 1-line block ×8, first 2 shown]
	v_fma_f32 v13, v180, v68, v13
	v_fma_f32 v12, v69, v178, v12
	;; [unrolled: 1-line block ×3, first 2 shown]
	v_fmac_f32_e32 v10, v65, v179
	v_fma_f32 v5, v41, v37, v5
	v_fma_f32 v4, v40, v38, v4
	;; [unrolled: 1-line block ×3, first 2 shown]
	v_fmac_f32_e32 v2, v34, v39
	s_mov_b32 s20, s19
	s_cbranch_scc1 .LBB130_7
; %bb.8:                                ;   in Loop: Header=BB130_6 Depth=1
	v_add_u32_e32 v69, s16, v131
	v_add_u32_e32 v67, 4, v174
	;; [unrolled: 1-line block ×3, first 2 shown]
	v_mad_u64_u32 v[67:68], s[18:19], v67, 36, s[2:3]
	v_mad_i64_i32 v[34:35], s[18:19], v34, 36, v[59:60]
	v_add_u32_e32 v36, v69, v116
	v_mad_i64_i32 v[36:37], s[18:19], v36, 36, v[59:60]
	v_add_u32_e32 v38, v69, v117
	v_add_u32_e32 v40, v69, v118
	v_mad_i64_i32 v[38:39], s[18:19], v38, 36, v[59:60]
	v_mad_i64_i32 v[40:41], s[18:19], v40, 36, v[59:60]
	v_add_u32_e32 v61, v69, v119
	v_add_u32_e32 v63, v69, v120
	;; [unrolled: 1-line block ×4, first 2 shown]
	s_barrier
	v_mad_i64_i32 v[61:62], s[18:19], v61, 36, v[59:60]
	v_mad_i64_i32 v[63:64], s[18:19], v63, 36, v[59:60]
	;; [unrolled: 1-line block ×4, first 2 shown]
	global_load_dword v67, v[67:68], off
	s_nop 0
	global_load_dword v34, v[34:35], off offset:4
	s_nop 0
	global_load_dword v35, v[36:37], off offset:4
	;; [unrolled: 2-line block ×3, first 2 shown]
	global_load_dword v37, v[40:41], off offset:4
	s_nop 0
	global_load_dword v38, v[61:62], off offset:4
	global_load_dword v39, v[63:64], off offset:4
	;; [unrolled: 1-line block ×4, first 2 shown]
	s_mov_b32 s17, 4
	s_mov_b32 s18, 8
	;; [unrolled: 1-line block ×3, first 2 shown]
	v_mov_b32_e32 v176, v143
	v_mov_b32_e32 v177, v142
	s_waitcnt vmcnt(8)
	v_cvt_f32_f16_e32 v61, v67
	s_waitcnt vmcnt(7)
	ds_write_b32 v175, v34
	s_waitcnt vmcnt(6)
	ds_write_b32 v158, v35
	;; [unrolled: 2-line block ×8, first 2 shown]
	ds_write_b32 v113, v61
	s_waitcnt lgkmcnt(0)
	s_barrier
.LBB130_9:                              ;   Parent Loop BB130_6 Depth=1
                                        ; =>  This Inner Loop Header: Depth=2
	s_add_i32 s19, s20, 2
	s_lshr_b32 s24, s19, 4
	s_and_b32 s22, s19, 0x3ffffff8
	v_lshl_add_u32 v205, s22, 2, v123
	s_lshl_b32 s22, s24, 5
	s_addk_i32 s22, 0x4200
	v_add3_u32 v180, s22, v171, v124
	ds_read2_b32 v[61:62], v177 offset1:32
	ds_read_b128 v[38:41], v176
	ds_read_b128 v[34:37], v176 offset:16
	ds_read2_b32 v[65:66], v180 offset1:1
	ds_read2_b32 v[63:64], v205 offset1:1
	v_add3_u32 v199, s22, v167, v127
	s_add_i32 s21, s20, -6
	ds_read2_b32 v[200:201], v199 offset0:6 offset1:7
	s_waitcnt lgkmcnt(2)
	v_ashrrev_i32_e32 v65, s17, v65
	s_waitcnt lgkmcnt(1)
	v_ashrrev_i32_e32 v63, s21, v63
	v_lshlrev_b32_e32 v65, 2, v65
	v_and_b32_e32 v67, 0x3030303, v63
	v_bfe_u32 v63, v63, 24, 2
	v_and_b32_e32 v65, 0x4040404, v65
	v_sub_u16_e32 v68, v67, v65
	v_sub_u16_sdwa v69, v67, v65 dst_sel:BYTE_1 dst_unused:UNUSED_PAD src0_sel:BYTE_1 src1_sel:BYTE_1
	v_sub_u16_sdwa v63, v63, v65 dst_sel:BYTE_1 dst_unused:UNUSED_PAD src0_sel:DWORD src1_sel:BYTE_3
	v_sub_u16_sdwa v65, v67, v65 dst_sel:DWORD dst_unused:UNUSED_PAD src0_sel:WORD_1 src1_sel:WORD_1
	v_or_b32_sdwa v68, v68, v69 dst_sel:DWORD dst_unused:UNUSED_PAD src0_sel:BYTE_0 src1_sel:DWORD
	v_or_b32_sdwa v63, v65, v63 dst_sel:WORD_1 dst_unused:UNUSED_PAD src0_sel:BYTE_0 src1_sel:DWORD
	v_ashrrev_i32_e32 v66, s17, v66
	v_or_b32_sdwa v65, v68, v63 dst_sel:DWORD dst_unused:UNUSED_PAD src0_sel:WORD_0 src1_sel:DWORD
	v_ashrrev_i32_e32 v63, s21, v64
	v_lshlrev_b32_e32 v66, 2, v66
	v_and_b32_e32 v64, 0x3030303, v63
	v_bfe_u32 v63, v63, 24, 2
	v_and_b32_e32 v66, 0x4040404, v66
	v_sub_u16_e32 v67, v64, v66
	v_sub_u16_sdwa v68, v64, v66 dst_sel:BYTE_1 dst_unused:UNUSED_PAD src0_sel:BYTE_1 src1_sel:BYTE_1
	v_sub_u16_sdwa v63, v63, v66 dst_sel:BYTE_1 dst_unused:UNUSED_PAD src0_sel:DWORD src1_sel:BYTE_3
	v_sub_u16_sdwa v64, v64, v66 dst_sel:DWORD dst_unused:UNUSED_PAD src0_sel:WORD_1 src1_sel:WORD_1
	v_or_b32_sdwa v67, v67, v68 dst_sel:DWORD dst_unused:UNUSED_PAD src0_sel:BYTE_0 src1_sel:DWORD
	v_or_b32_sdwa v63, v64, v63 dst_sel:WORD_1 dst_unused:UNUSED_PAD src0_sel:BYTE_0 src1_sel:DWORD
	v_or_b32_sdwa v66, v67, v63 dst_sel:DWORD dst_unused:UNUSED_PAD src0_sel:WORD_0 src1_sel:DWORD
	ds_read2_b32 v[63:64], v205 offset0:2 offset1:3
	ds_read2_b32 v[67:68], v180 offset0:2 offset1:3
	s_and_b32 s23, s18, -16
	s_add_i32 s20, s20, s23
	s_lshl_b32 s23, s24, 2
	s_waitcnt lgkmcnt(1)
	v_ashrrev_i32_e32 v63, s21, v63
	s_waitcnt lgkmcnt(0)
	v_ashrrev_i32_e32 v67, s17, v67
	v_lshlrev_b32_e32 v67, 2, v67
	v_and_b32_e32 v69, 0x3030303, v63
	v_bfe_u32 v63, v63, 24, 2
	v_and_b32_e32 v67, 0x4040404, v67
	v_sub_u16_e32 v178, v69, v67
	v_sub_u16_sdwa v179, v69, v67 dst_sel:BYTE_1 dst_unused:UNUSED_PAD src0_sel:BYTE_1 src1_sel:BYTE_1
	v_sub_u16_sdwa v63, v63, v67 dst_sel:BYTE_1 dst_unused:UNUSED_PAD src0_sel:DWORD src1_sel:BYTE_3
	v_sub_u16_sdwa v67, v69, v67 dst_sel:DWORD dst_unused:UNUSED_PAD src0_sel:WORD_1 src1_sel:WORD_1
	v_or_b32_sdwa v178, v178, v179 dst_sel:DWORD dst_unused:UNUSED_PAD src0_sel:BYTE_0 src1_sel:DWORD
	v_or_b32_sdwa v63, v67, v63 dst_sel:WORD_1 dst_unused:UNUSED_PAD src0_sel:BYTE_0 src1_sel:DWORD
	v_ashrrev_i32_e32 v68, s17, v68
	v_or_b32_sdwa v67, v178, v63 dst_sel:DWORD dst_unused:UNUSED_PAD src0_sel:WORD_0 src1_sel:DWORD
	v_ashrrev_i32_e32 v63, s21, v64
	v_lshlrev_b32_e32 v68, 2, v68
	v_and_b32_e32 v64, 0x3030303, v63
	v_bfe_u32 v63, v63, 24, 2
	v_and_b32_e32 v68, 0x4040404, v68
	v_sub_u16_e32 v69, v64, v68
	v_sub_u16_sdwa v178, v64, v68 dst_sel:BYTE_1 dst_unused:UNUSED_PAD src0_sel:BYTE_1 src1_sel:BYTE_1
	v_sub_u16_sdwa v63, v63, v68 dst_sel:BYTE_1 dst_unused:UNUSED_PAD src0_sel:DWORD src1_sel:BYTE_3
	v_sub_u16_sdwa v64, v64, v68 dst_sel:DWORD dst_unused:UNUSED_PAD src0_sel:WORD_1 src1_sel:WORD_1
	v_or_b32_sdwa v69, v69, v178 dst_sel:DWORD dst_unused:UNUSED_PAD src0_sel:BYTE_0 src1_sel:DWORD
	v_or_b32_sdwa v63, v64, v63 dst_sel:WORD_1 dst_unused:UNUSED_PAD src0_sel:BYTE_0 src1_sel:DWORD
	v_or_b32_sdwa v68, v69, v63 dst_sel:DWORD dst_unused:UNUSED_PAD src0_sel:WORD_0 src1_sel:DWORD
	ds_read2_b32 v[63:64], v205 offset0:4 offset1:5
	ds_read2_b32 v[178:179], v180 offset0:4 offset1:5
	s_add_i32 s23, s23, 0x9380
	v_add3_u32 v189, s22, v165, v125
	v_add3_u32 v218, s22, v169, v129
	s_waitcnt lgkmcnt(1)
	v_ashrrev_i32_e32 v63, s21, v63
	s_waitcnt lgkmcnt(0)
	v_ashrrev_i32_e32 v178, s17, v178
	v_lshlrev_b32_e32 v178, 2, v178
	v_and_b32_e32 v69, 0x3030303, v63
	v_bfe_u32 v63, v63, 24, 2
	v_and_b32_e32 v178, 0x4040404, v178
	v_sub_u16_e32 v181, v69, v178
	v_sub_u16_sdwa v182, v69, v178 dst_sel:BYTE_1 dst_unused:UNUSED_PAD src0_sel:BYTE_1 src1_sel:BYTE_1
	v_sub_u16_sdwa v63, v63, v178 dst_sel:BYTE_1 dst_unused:UNUSED_PAD src0_sel:DWORD src1_sel:BYTE_3
	v_sub_u16_sdwa v69, v69, v178 dst_sel:DWORD dst_unused:UNUSED_PAD src0_sel:WORD_1 src1_sel:WORD_1
	v_or_b32_sdwa v181, v181, v182 dst_sel:DWORD dst_unused:UNUSED_PAD src0_sel:BYTE_0 src1_sel:DWORD
	v_or_b32_sdwa v63, v69, v63 dst_sel:WORD_1 dst_unused:UNUSED_PAD src0_sel:BYTE_0 src1_sel:DWORD
	v_ashrrev_i32_e32 v178, s17, v179
	v_or_b32_sdwa v69, v181, v63 dst_sel:DWORD dst_unused:UNUSED_PAD src0_sel:WORD_0 src1_sel:DWORD
	v_ashrrev_i32_e32 v63, s21, v64
	v_lshlrev_b32_e32 v178, 2, v178
	v_and_b32_e32 v64, 0x3030303, v63
	v_bfe_u32 v63, v63, 24, 2
	v_and_b32_e32 v178, 0x4040404, v178
	v_sub_u16_e32 v179, v64, v178
	v_sub_u16_sdwa v181, v64, v178 dst_sel:BYTE_1 dst_unused:UNUSED_PAD src0_sel:BYTE_1 src1_sel:BYTE_1
	v_sub_u16_sdwa v63, v63, v178 dst_sel:BYTE_1 dst_unused:UNUSED_PAD src0_sel:DWORD src1_sel:BYTE_3
	v_sub_u16_sdwa v64, v64, v178 dst_sel:DWORD dst_unused:UNUSED_PAD src0_sel:WORD_1 src1_sel:WORD_1
	v_or_b32_sdwa v179, v179, v181 dst_sel:DWORD dst_unused:UNUSED_PAD src0_sel:BYTE_0 src1_sel:DWORD
	v_or_b32_sdwa v63, v64, v63 dst_sel:WORD_1 dst_unused:UNUSED_PAD src0_sel:BYTE_0 src1_sel:DWORD
	v_or_b32_sdwa v206, v179, v63 dst_sel:DWORD dst_unused:UNUSED_PAD src0_sel:WORD_0 src1_sel:DWORD
	ds_read2_b32 v[63:64], v205 offset0:6 offset1:7
	ds_read2_b32 v[178:179], v180 offset0:6 offset1:7
	;; [unrolled: 1-line block ×3, first 2 shown]
	v_add_u32_e32 v211, s20, v136
	v_add_u32_e32 v214, s20, v138
	s_waitcnt lgkmcnt(2)
	v_ashrrev_i32_e32 v63, s21, v63
	s_waitcnt lgkmcnt(1)
	v_ashrrev_i32_e32 v178, s17, v178
	v_lshlrev_b32_e32 v178, 2, v178
	v_and_b32_e32 v181, 0x3030303, v63
	v_bfe_u32 v63, v63, 24, 2
	v_and_b32_e32 v178, 0x4040404, v178
	v_sub_u16_e32 v180, v181, v178
	v_sub_u16_sdwa v182, v181, v178 dst_sel:BYTE_1 dst_unused:UNUSED_PAD src0_sel:BYTE_1 src1_sel:BYTE_1
	v_sub_u16_sdwa v63, v63, v178 dst_sel:BYTE_1 dst_unused:UNUSED_PAD src0_sel:DWORD src1_sel:BYTE_3
	v_sub_u16_sdwa v178, v181, v178 dst_sel:DWORD dst_unused:UNUSED_PAD src0_sel:WORD_1 src1_sel:WORD_1
	v_or_b32_sdwa v180, v180, v182 dst_sel:DWORD dst_unused:UNUSED_PAD src0_sel:BYTE_0 src1_sel:DWORD
	v_or_b32_sdwa v63, v178, v63 dst_sel:WORD_1 dst_unused:UNUSED_PAD src0_sel:BYTE_0 src1_sel:DWORD
	v_ashrrev_i32_e32 v178, s17, v179
	v_or_b32_sdwa v207, v180, v63 dst_sel:DWORD dst_unused:UNUSED_PAD src0_sel:WORD_0 src1_sel:DWORD
	v_ashrrev_i32_e32 v63, s21, v64
	v_lshlrev_b32_e32 v178, 2, v178
	v_and_b32_e32 v64, 0x3030303, v63
	v_bfe_u32 v63, v63, 24, 2
	v_and_b32_e32 v178, 0x4040404, v178
	v_sub_u16_e32 v179, v64, v178
	v_sub_u16_sdwa v180, v64, v178 dst_sel:BYTE_1 dst_unused:UNUSED_PAD src0_sel:BYTE_1 src1_sel:BYTE_1
	v_sub_u16_sdwa v63, v63, v178 dst_sel:BYTE_1 dst_unused:UNUSED_PAD src0_sel:DWORD src1_sel:BYTE_3
	v_sub_u16_sdwa v64, v64, v178 dst_sel:DWORD dst_unused:UNUSED_PAD src0_sel:WORD_1 src1_sel:WORD_1
	v_or_b32_sdwa v179, v179, v180 dst_sel:DWORD dst_unused:UNUSED_PAD src0_sel:BYTE_0 src1_sel:DWORD
	v_or_b32_sdwa v63, v64, v63 dst_sel:WORD_1 dst_unused:UNUSED_PAD src0_sel:BYTE_0 src1_sel:DWORD
	v_or_b32_sdwa v208, v179, v63 dst_sel:DWORD dst_unused:UNUSED_PAD src0_sel:WORD_0 src1_sel:DWORD
	v_dot4_i32_i8 v179, v69, v34, 0
	v_dot4_i32_i8 v179, v206, v35, v179
	;; [unrolled: 1-line block ×3, first 2 shown]
	v_add3_u32 v63, s23, v172, v173
	v_dot4_i32_i8 v209, v208, v37, v179
	v_add_u32_e32 v179, 0x1080, v205
	ds_read_b32 v178, v63
	ds_read2_b32 v[179:180], v179 offset1:1
	ds_read2_b32 v[181:182], v189 offset1:1
	v_dot4_i32_i8 v63, v65, v38, 0
	v_dot4_i32_i8 v63, v66, v39, v63
	;; [unrolled: 1-line block ×3, first 2 shown]
	s_waitcnt lgkmcnt(1)
	v_ashrrev_i32_e32 v179, s21, v179
	s_waitcnt lgkmcnt(0)
	v_ashrrev_i32_e32 v181, s17, v181
	v_lshlrev_b32_e32 v181, 2, v181
	v_and_b32_e32 v183, 0x3030303, v179
	v_bfe_u32 v179, v179, 24, 2
	v_and_b32_e32 v181, 0x4040404, v181
	v_ashrrev_i32_e32 v182, s17, v182
	v_sub_u16_e32 v184, v183, v181
	v_sub_u16_sdwa v185, v183, v181 dst_sel:BYTE_1 dst_unused:UNUSED_PAD src0_sel:BYTE_1 src1_sel:BYTE_1
	v_sub_u16_sdwa v179, v179, v181 dst_sel:BYTE_1 dst_unused:UNUSED_PAD src0_sel:DWORD src1_sel:BYTE_3
	v_sub_u16_sdwa v181, v183, v181 dst_sel:DWORD dst_unused:UNUSED_PAD src0_sel:WORD_1 src1_sel:WORD_1
	v_ashrrev_i32_e32 v180, s21, v180
	v_lshlrev_b32_e32 v182, 2, v182
	v_or_b32_sdwa v184, v184, v185 dst_sel:DWORD dst_unused:UNUSED_PAD src0_sel:BYTE_0 src1_sel:DWORD
	v_or_b32_sdwa v179, v181, v179 dst_sel:WORD_1 dst_unused:UNUSED_PAD src0_sel:BYTE_0 src1_sel:DWORD
	v_and_b32_e32 v181, 0x3030303, v180
	v_bfe_u32 v180, v180, 24, 2
	v_and_b32_e32 v182, 0x4040404, v182
	v_or_b32_sdwa v179, v184, v179 dst_sel:DWORD dst_unused:UNUSED_PAD src0_sel:WORD_0 src1_sel:DWORD
	v_sub_u16_e32 v183, v181, v182
	v_sub_u16_sdwa v184, v181, v182 dst_sel:BYTE_1 dst_unused:UNUSED_PAD src0_sel:BYTE_1 src1_sel:BYTE_1
	v_sub_u16_sdwa v180, v180, v182 dst_sel:BYTE_1 dst_unused:UNUSED_PAD src0_sel:DWORD src1_sel:BYTE_3
	v_sub_u16_sdwa v181, v181, v182 dst_sel:DWORD dst_unused:UNUSED_PAD src0_sel:WORD_1 src1_sel:WORD_1
	v_or_b32_sdwa v183, v183, v184 dst_sel:DWORD dst_unused:UNUSED_PAD src0_sel:BYTE_0 src1_sel:DWORD
	v_or_b32_sdwa v180, v181, v180 dst_sel:WORD_1 dst_unused:UNUSED_PAD src0_sel:BYTE_0 src1_sel:DWORD
	v_add_u32_e32 v181, 0x1088, v205
	v_or_b32_sdwa v180, v183, v180 dst_sel:DWORD dst_unused:UNUSED_PAD src0_sel:WORD_0 src1_sel:DWORD
	ds_read2_b32 v[182:183], v181 offset1:1
	ds_read2_b32 v[184:185], v189 offset0:2 offset1:3
	ds_read2_b32 v[203:204], v218 offset1:1
	v_dot4_i32_i8 v63, v68, v41, v63
	v_add_u32_e32 v64, s20, v134
	s_waitcnt lgkmcnt(2)
	v_ashrrev_i32_e32 v181, s21, v182
	s_waitcnt lgkmcnt(1)
	v_ashrrev_i32_e32 v184, s17, v184
	v_lshlrev_b32_e32 v184, 2, v184
	v_and_b32_e32 v182, 0x3030303, v181
	v_bfe_u32 v181, v181, 24, 2
	v_and_b32_e32 v184, 0x4040404, v184
	v_sub_u16_e32 v186, v182, v184
	v_sub_u16_sdwa v187, v182, v184 dst_sel:BYTE_1 dst_unused:UNUSED_PAD src0_sel:BYTE_1 src1_sel:BYTE_1
	v_sub_u16_sdwa v181, v181, v184 dst_sel:BYTE_1 dst_unused:UNUSED_PAD src0_sel:DWORD src1_sel:BYTE_3
	v_sub_u16_sdwa v182, v182, v184 dst_sel:DWORD dst_unused:UNUSED_PAD src0_sel:WORD_1 src1_sel:WORD_1
	v_or_b32_sdwa v186, v186, v187 dst_sel:DWORD dst_unused:UNUSED_PAD src0_sel:BYTE_0 src1_sel:DWORD
	v_or_b32_sdwa v181, v182, v181 dst_sel:WORD_1 dst_unused:UNUSED_PAD src0_sel:BYTE_0 src1_sel:DWORD
	v_ashrrev_i32_e32 v184, s17, v185
	v_or_b32_sdwa v182, v186, v181 dst_sel:DWORD dst_unused:UNUSED_PAD src0_sel:WORD_0 src1_sel:DWORD
	v_ashrrev_i32_e32 v181, s21, v183
	v_lshlrev_b32_e32 v184, 2, v184
	v_and_b32_e32 v183, 0x3030303, v181
	v_bfe_u32 v181, v181, 24, 2
	v_and_b32_e32 v184, 0x4040404, v184
	v_sub_u16_e32 v185, v183, v184
	v_sub_u16_sdwa v186, v183, v184 dst_sel:BYTE_1 dst_unused:UNUSED_PAD src0_sel:BYTE_1 src1_sel:BYTE_1
	v_sub_u16_sdwa v181, v181, v184 dst_sel:BYTE_1 dst_unused:UNUSED_PAD src0_sel:DWORD src1_sel:BYTE_3
	v_sub_u16_sdwa v183, v183, v184 dst_sel:DWORD dst_unused:UNUSED_PAD src0_sel:WORD_1 src1_sel:WORD_1
	v_or_b32_sdwa v185, v185, v186 dst_sel:DWORD dst_unused:UNUSED_PAD src0_sel:BYTE_0 src1_sel:DWORD
	v_or_b32_sdwa v181, v183, v181 dst_sel:WORD_1 dst_unused:UNUSED_PAD src0_sel:BYTE_0 src1_sel:DWORD
	v_or_b32_sdwa v184, v185, v181 dst_sel:DWORD dst_unused:UNUSED_PAD src0_sel:WORD_0 src1_sel:DWORD
	v_add_u32_e32 v181, 0x1090, v205
	ds_read2_b32 v[185:186], v181 offset1:1
	ds_read2_b32 v[187:188], v189 offset0:4 offset1:5
	s_add_i32 s18, s18, 2
	s_waitcnt lgkmcnt(1)
	v_ashrrev_i32_e32 v181, s21, v185
	s_waitcnt lgkmcnt(0)
	v_ashrrev_i32_e32 v185, s17, v187
	v_lshlrev_b32_e32 v185, 2, v185
	v_and_b32_e32 v183, 0x3030303, v181
	v_bfe_u32 v181, v181, 24, 2
	v_and_b32_e32 v185, 0x4040404, v185
	v_sub_u16_e32 v187, v183, v185
	v_sub_u16_sdwa v190, v183, v185 dst_sel:BYTE_1 dst_unused:UNUSED_PAD src0_sel:BYTE_1 src1_sel:BYTE_1
	v_sub_u16_sdwa v181, v181, v185 dst_sel:BYTE_1 dst_unused:UNUSED_PAD src0_sel:DWORD src1_sel:BYTE_3
	v_sub_u16_sdwa v183, v183, v185 dst_sel:DWORD dst_unused:UNUSED_PAD src0_sel:WORD_1 src1_sel:WORD_1
	v_or_b32_sdwa v187, v187, v190 dst_sel:DWORD dst_unused:UNUSED_PAD src0_sel:BYTE_0 src1_sel:DWORD
	v_or_b32_sdwa v181, v183, v181 dst_sel:WORD_1 dst_unused:UNUSED_PAD src0_sel:BYTE_0 src1_sel:DWORD
	v_ashrrev_i32_e32 v185, s17, v188
	v_or_b32_sdwa v187, v187, v181 dst_sel:DWORD dst_unused:UNUSED_PAD src0_sel:WORD_0 src1_sel:DWORD
	v_ashrrev_i32_e32 v181, s21, v186
	v_lshlrev_b32_e32 v185, 2, v185
	v_and_b32_e32 v183, 0x3030303, v181
	v_bfe_u32 v181, v181, 24, 2
	v_and_b32_e32 v185, 0x4040404, v185
	v_sub_u16_e32 v186, v183, v185
	v_sub_u16_sdwa v188, v183, v185 dst_sel:BYTE_1 dst_unused:UNUSED_PAD src0_sel:BYTE_1 src1_sel:BYTE_1
	v_sub_u16_sdwa v181, v181, v185 dst_sel:BYTE_1 dst_unused:UNUSED_PAD src0_sel:DWORD src1_sel:BYTE_3
	v_sub_u16_sdwa v183, v183, v185 dst_sel:DWORD dst_unused:UNUSED_PAD src0_sel:WORD_1 src1_sel:WORD_1
	v_or_b32_sdwa v186, v186, v188 dst_sel:DWORD dst_unused:UNUSED_PAD src0_sel:BYTE_0 src1_sel:DWORD
	v_or_b32_sdwa v181, v183, v181 dst_sel:WORD_1 dst_unused:UNUSED_PAD src0_sel:BYTE_0 src1_sel:DWORD
	v_or_b32_sdwa v190, v186, v181 dst_sel:DWORD dst_unused:UNUSED_PAD src0_sel:WORD_0 src1_sel:DWORD
	v_add_u32_e32 v181, 0x1098, v205
	ds_read2_b32 v[185:186], v181 offset1:1
	ds_read2_b32 v[188:189], v189 offset0:6 offset1:7
	s_waitcnt lgkmcnt(1)
	v_ashrrev_i32_e32 v181, s21, v185
	s_waitcnt lgkmcnt(0)
	v_ashrrev_i32_e32 v185, s17, v188
	v_lshlrev_b32_e32 v185, 2, v185
	v_and_b32_e32 v183, 0x3030303, v181
	v_bfe_u32 v181, v181, 24, 2
	v_and_b32_e32 v185, 0x4040404, v185
	v_sub_u16_e32 v188, v183, v185
	v_sub_u16_sdwa v191, v183, v185 dst_sel:BYTE_1 dst_unused:UNUSED_PAD src0_sel:BYTE_1 src1_sel:BYTE_1
	v_sub_u16_sdwa v181, v181, v185 dst_sel:BYTE_1 dst_unused:UNUSED_PAD src0_sel:DWORD src1_sel:BYTE_3
	v_sub_u16_sdwa v183, v183, v185 dst_sel:DWORD dst_unused:UNUSED_PAD src0_sel:WORD_1 src1_sel:WORD_1
	v_or_b32_sdwa v188, v188, v191 dst_sel:DWORD dst_unused:UNUSED_PAD src0_sel:BYTE_0 src1_sel:DWORD
	v_or_b32_sdwa v181, v183, v181 dst_sel:WORD_1 dst_unused:UNUSED_PAD src0_sel:BYTE_0 src1_sel:DWORD
	v_ashrrev_i32_e32 v185, s17, v189
	v_or_b32_sdwa v194, v188, v181 dst_sel:DWORD dst_unused:UNUSED_PAD src0_sel:WORD_0 src1_sel:DWORD
	v_ashrrev_i32_e32 v181, s21, v186
	v_lshlrev_b32_e32 v185, 2, v185
	v_and_b32_e32 v183, 0x3030303, v181
	v_bfe_u32 v181, v181, 24, 2
	v_and_b32_e32 v185, 0x4040404, v185
	v_sub_u16_e32 v186, v183, v185
	v_sub_u16_sdwa v188, v183, v185 dst_sel:BYTE_1 dst_unused:UNUSED_PAD src0_sel:BYTE_1 src1_sel:BYTE_1
	v_sub_u16_sdwa v181, v181, v185 dst_sel:BYTE_1 dst_unused:UNUSED_PAD src0_sel:DWORD src1_sel:BYTE_3
	v_sub_u16_sdwa v183, v183, v185 dst_sel:DWORD dst_unused:UNUSED_PAD src0_sel:WORD_1 src1_sel:WORD_1
	v_or_b32_sdwa v181, v183, v181 dst_sel:WORD_1 dst_unused:UNUSED_PAD src0_sel:BYTE_0 src1_sel:DWORD
	v_dot4_i32_i8 v183, v179, v38, 0
	v_dot4_i32_i8 v183, v180, v39, v183
	;; [unrolled: 1-line block ×5, first 2 shown]
	v_or_b32_sdwa v186, v186, v188 dst_sel:DWORD dst_unused:UNUSED_PAD src0_sel:BYTE_0 src1_sel:DWORD
	v_dot4_i32_i8 v183, v190, v35, v183
	v_or_b32_sdwa v197, v186, v181 dst_sel:DWORD dst_unused:UNUSED_PAD src0_sel:WORD_0 src1_sel:DWORD
	v_dot4_i32_i8 v183, v194, v36, v183
	v_add3_u32 v181, s23, v166, v126
	v_dot4_i32_i8 v212, v197, v37, v183
	v_add_u32_e32 v183, 0x2100, v205
	ds_read_b32 v181, v181
	ds_read2_b32 v[185:186], v183 offset1:1
	ds_read2_b32 v[188:189], v199 offset1:1
	s_waitcnt lgkmcnt(1)
	v_ashrrev_i32_e32 v183, s21, v185
	s_waitcnt lgkmcnt(0)
	v_ashrrev_i32_e32 v188, s17, v188
	v_lshlrev_b32_e32 v188, 2, v188
	v_and_b32_e32 v185, 0x3030303, v183
	v_bfe_u32 v183, v183, 24, 2
	v_and_b32_e32 v188, 0x4040404, v188
	v_sub_u16_e32 v191, v185, v188
	v_sub_u16_sdwa v192, v185, v188 dst_sel:BYTE_1 dst_unused:UNUSED_PAD src0_sel:BYTE_1 src1_sel:BYTE_1
	v_sub_u16_sdwa v183, v183, v188 dst_sel:BYTE_1 dst_unused:UNUSED_PAD src0_sel:DWORD src1_sel:BYTE_3
	v_sub_u16_sdwa v185, v185, v188 dst_sel:DWORD dst_unused:UNUSED_PAD src0_sel:WORD_1 src1_sel:WORD_1
	v_ashrrev_i32_e32 v188, s17, v189
	v_or_b32_sdwa v183, v185, v183 dst_sel:WORD_1 dst_unused:UNUSED_PAD src0_sel:BYTE_0 src1_sel:DWORD
	v_ashrrev_i32_e32 v185, s21, v186
	v_lshlrev_b32_e32 v188, 2, v188
	v_or_b32_sdwa v191, v191, v192 dst_sel:DWORD dst_unused:UNUSED_PAD src0_sel:BYTE_0 src1_sel:DWORD
	v_and_b32_e32 v186, 0x3030303, v185
	v_bfe_u32 v185, v185, 24, 2
	v_and_b32_e32 v188, 0x4040404, v188
	v_or_b32_sdwa v183, v191, v183 dst_sel:DWORD dst_unused:UNUSED_PAD src0_sel:WORD_0 src1_sel:DWORD
	v_sub_u16_e32 v189, v186, v188
	v_sub_u16_sdwa v191, v186, v188 dst_sel:BYTE_1 dst_unused:UNUSED_PAD src0_sel:BYTE_1 src1_sel:BYTE_1
	v_sub_u16_sdwa v185, v185, v188 dst_sel:BYTE_1 dst_unused:UNUSED_PAD src0_sel:DWORD src1_sel:BYTE_3
	v_sub_u16_sdwa v186, v186, v188 dst_sel:DWORD dst_unused:UNUSED_PAD src0_sel:WORD_1 src1_sel:WORD_1
	v_or_b32_sdwa v189, v189, v191 dst_sel:DWORD dst_unused:UNUSED_PAD src0_sel:BYTE_0 src1_sel:DWORD
	v_or_b32_sdwa v185, v186, v185 dst_sel:WORD_1 dst_unused:UNUSED_PAD src0_sel:BYTE_0 src1_sel:DWORD
	v_add_u32_e32 v186, 0x2108, v205
	v_or_b32_sdwa v185, v189, v185 dst_sel:DWORD dst_unused:UNUSED_PAD src0_sel:WORD_0 src1_sel:DWORD
	ds_read2_b32 v[188:189], v186 offset1:1
	ds_read2_b32 v[191:192], v199 offset0:2 offset1:3
	s_waitcnt lgkmcnt(1)
	v_ashrrev_i32_e32 v186, s21, v188
	s_waitcnt lgkmcnt(0)
	v_ashrrev_i32_e32 v191, s17, v191
	v_lshlrev_b32_e32 v191, 2, v191
	v_and_b32_e32 v188, 0x3030303, v186
	v_bfe_u32 v186, v186, 24, 2
	v_and_b32_e32 v191, 0x4040404, v191
	v_sub_u16_e32 v193, v188, v191
	v_sub_u16_sdwa v195, v188, v191 dst_sel:BYTE_1 dst_unused:UNUSED_PAD src0_sel:BYTE_1 src1_sel:BYTE_1
	v_sub_u16_sdwa v186, v186, v191 dst_sel:BYTE_1 dst_unused:UNUSED_PAD src0_sel:DWORD src1_sel:BYTE_3
	v_sub_u16_sdwa v188, v188, v191 dst_sel:DWORD dst_unused:UNUSED_PAD src0_sel:WORD_1 src1_sel:WORD_1
	v_or_b32_sdwa v193, v193, v195 dst_sel:DWORD dst_unused:UNUSED_PAD src0_sel:BYTE_0 src1_sel:DWORD
	v_or_b32_sdwa v186, v188, v186 dst_sel:WORD_1 dst_unused:UNUSED_PAD src0_sel:BYTE_0 src1_sel:DWORD
	v_ashrrev_i32_e32 v191, s17, v192
	v_or_b32_sdwa v188, v193, v186 dst_sel:DWORD dst_unused:UNUSED_PAD src0_sel:WORD_0 src1_sel:DWORD
	v_ashrrev_i32_e32 v186, s21, v189
	v_lshlrev_b32_e32 v191, 2, v191
	v_and_b32_e32 v189, 0x3030303, v186
	v_bfe_u32 v186, v186, 24, 2
	v_and_b32_e32 v191, 0x4040404, v191
	v_sub_u16_e32 v192, v189, v191
	v_sub_u16_sdwa v193, v189, v191 dst_sel:BYTE_1 dst_unused:UNUSED_PAD src0_sel:BYTE_1 src1_sel:BYTE_1
	v_sub_u16_sdwa v186, v186, v191 dst_sel:BYTE_1 dst_unused:UNUSED_PAD src0_sel:DWORD src1_sel:BYTE_3
	v_sub_u16_sdwa v189, v189, v191 dst_sel:DWORD dst_unused:UNUSED_PAD src0_sel:WORD_1 src1_sel:WORD_1
	v_or_b32_sdwa v192, v192, v193 dst_sel:DWORD dst_unused:UNUSED_PAD src0_sel:BYTE_0 src1_sel:DWORD
	v_or_b32_sdwa v186, v189, v186 dst_sel:WORD_1 dst_unused:UNUSED_PAD src0_sel:BYTE_0 src1_sel:DWORD
	v_or_b32_sdwa v191, v192, v186 dst_sel:DWORD dst_unused:UNUSED_PAD src0_sel:WORD_0 src1_sel:DWORD
	v_add_u32_e32 v186, 0x2110, v205
	ds_read2_b32 v[192:193], v186 offset1:1
	ds_read2_b32 v[195:196], v199 offset0:4 offset1:5
	s_waitcnt lgkmcnt(1)
	v_ashrrev_i32_e32 v186, s21, v192
	s_waitcnt lgkmcnt(0)
	v_ashrrev_i32_e32 v192, s17, v195
	v_lshlrev_b32_e32 v192, 2, v192
	v_and_b32_e32 v189, 0x3030303, v186
	v_bfe_u32 v186, v186, 24, 2
	v_and_b32_e32 v192, 0x4040404, v192
	v_sub_u16_e32 v195, v189, v192
	v_sub_u16_sdwa v198, v189, v192 dst_sel:BYTE_1 dst_unused:UNUSED_PAD src0_sel:BYTE_1 src1_sel:BYTE_1
	v_sub_u16_sdwa v186, v186, v192 dst_sel:BYTE_1 dst_unused:UNUSED_PAD src0_sel:DWORD src1_sel:BYTE_3
	v_sub_u16_sdwa v189, v189, v192 dst_sel:DWORD dst_unused:UNUSED_PAD src0_sel:WORD_1 src1_sel:WORD_1
	v_or_b32_sdwa v195, v195, v198 dst_sel:DWORD dst_unused:UNUSED_PAD src0_sel:BYTE_0 src1_sel:DWORD
	v_or_b32_sdwa v186, v189, v186 dst_sel:WORD_1 dst_unused:UNUSED_PAD src0_sel:BYTE_0 src1_sel:DWORD
	v_ashrrev_i32_e32 v192, s17, v196
	v_or_b32_sdwa v195, v195, v186 dst_sel:DWORD dst_unused:UNUSED_PAD src0_sel:WORD_0 src1_sel:DWORD
	v_ashrrev_i32_e32 v186, s21, v193
	v_lshlrev_b32_e32 v192, 2, v192
	v_and_b32_e32 v189, 0x3030303, v186
	v_bfe_u32 v186, v186, 24, 2
	v_and_b32_e32 v192, 0x4040404, v192
	v_sub_u16_e32 v193, v189, v192
	v_sub_u16_sdwa v196, v189, v192 dst_sel:BYTE_1 dst_unused:UNUSED_PAD src0_sel:BYTE_1 src1_sel:BYTE_1
	v_sub_u16_sdwa v186, v186, v192 dst_sel:BYTE_1 dst_unused:UNUSED_PAD src0_sel:DWORD src1_sel:BYTE_3
	v_sub_u16_sdwa v189, v189, v192 dst_sel:DWORD dst_unused:UNUSED_PAD src0_sel:WORD_1 src1_sel:WORD_1
	v_or_b32_sdwa v193, v193, v196 dst_sel:DWORD dst_unused:UNUSED_PAD src0_sel:BYTE_0 src1_sel:DWORD
	v_or_b32_sdwa v186, v189, v186 dst_sel:WORD_1 dst_unused:UNUSED_PAD src0_sel:BYTE_0 src1_sel:DWORD
	v_or_b32_sdwa v198, v193, v186 dst_sel:DWORD dst_unused:UNUSED_PAD src0_sel:WORD_0 src1_sel:DWORD
	v_add_u32_e32 v186, 0x2118, v205
	ds_read2_b32 v[192:193], v186 offset1:1
	s_waitcnt lgkmcnt(0)
	v_ashrrev_i32_e32 v186, s21, v192
	v_ashrrev_i32_e32 v192, s17, v200
	v_lshlrev_b32_e32 v192, 2, v192
	v_and_b32_e32 v189, 0x3030303, v186
	v_bfe_u32 v186, v186, 24, 2
	v_and_b32_e32 v192, 0x4040404, v192
	v_sub_u16_e32 v196, v189, v192
	v_sub_u16_sdwa v199, v189, v192 dst_sel:BYTE_1 dst_unused:UNUSED_PAD src0_sel:BYTE_1 src1_sel:BYTE_1
	v_sub_u16_sdwa v186, v186, v192 dst_sel:BYTE_1 dst_unused:UNUSED_PAD src0_sel:DWORD src1_sel:BYTE_3
	v_sub_u16_sdwa v189, v189, v192 dst_sel:DWORD dst_unused:UNUSED_PAD src0_sel:WORD_1 src1_sel:WORD_1
	v_or_b32_sdwa v196, v196, v199 dst_sel:DWORD dst_unused:UNUSED_PAD src0_sel:BYTE_0 src1_sel:DWORD
	v_or_b32_sdwa v186, v189, v186 dst_sel:WORD_1 dst_unused:UNUSED_PAD src0_sel:BYTE_0 src1_sel:DWORD
	v_ashrrev_i32_e32 v192, s17, v201
	v_or_b32_sdwa v200, v196, v186 dst_sel:DWORD dst_unused:UNUSED_PAD src0_sel:WORD_0 src1_sel:DWORD
	v_ashrrev_i32_e32 v186, s21, v193
	v_lshlrev_b32_e32 v192, 2, v192
	v_and_b32_e32 v189, 0x3030303, v186
	v_bfe_u32 v186, v186, 24, 2
	v_and_b32_e32 v192, 0x4040404, v192
	v_sub_u16_e32 v193, v189, v192
	v_sub_u16_sdwa v196, v189, v192 dst_sel:BYTE_1 dst_unused:UNUSED_PAD src0_sel:BYTE_1 src1_sel:BYTE_1
	v_sub_u16_sdwa v186, v186, v192 dst_sel:BYTE_1 dst_unused:UNUSED_PAD src0_sel:DWORD src1_sel:BYTE_3
	v_sub_u16_sdwa v189, v189, v192 dst_sel:DWORD dst_unused:UNUSED_PAD src0_sel:WORD_1 src1_sel:WORD_1
	v_or_b32_sdwa v186, v189, v186 dst_sel:WORD_1 dst_unused:UNUSED_PAD src0_sel:BYTE_0 src1_sel:DWORD
	v_dot4_i32_i8 v189, v183, v38, 0
	v_dot4_i32_i8 v189, v185, v39, v189
	;; [unrolled: 1-line block ×5, first 2 shown]
	v_or_b32_sdwa v193, v193, v196 dst_sel:DWORD dst_unused:UNUSED_PAD src0_sel:BYTE_0 src1_sel:DWORD
	v_dot4_i32_i8 v189, v198, v35, v189
	v_or_b32_sdwa v202, v193, v186 dst_sel:DWORD dst_unused:UNUSED_PAD src0_sel:WORD_0 src1_sel:DWORD
	v_dot4_i32_i8 v189, v200, v36, v189
	v_add3_u32 v186, s23, v168, v128
	v_dot4_i32_i8 v215, v202, v37, v189
	v_add_u32_e32 v189, 0x3180, v205
	ds_read_b32 v186, v186
	ds_read2_b32 v[192:193], v189 offset1:1
	v_ashrrev_i32_e32 v196, s17, v203
	v_lshlrev_b32_e32 v196, 2, v196
	v_and_b32_e32 v196, 0x4040404, v196
	s_waitcnt lgkmcnt(0)
	v_ashrrev_i32_e32 v189, s21, v192
	v_and_b32_e32 v192, 0x3030303, v189
	v_bfe_u32 v189, v189, 24, 2
	v_sub_u16_e32 v199, v192, v196
	v_sub_u16_sdwa v201, v192, v196 dst_sel:BYTE_1 dst_unused:UNUSED_PAD src0_sel:BYTE_1 src1_sel:BYTE_1
	v_sub_u16_sdwa v189, v189, v196 dst_sel:BYTE_1 dst_unused:UNUSED_PAD src0_sel:DWORD src1_sel:BYTE_3
	v_sub_u16_sdwa v192, v192, v196 dst_sel:DWORD dst_unused:UNUSED_PAD src0_sel:WORD_1 src1_sel:WORD_1
	v_ashrrev_i32_e32 v196, s17, v204
	v_or_b32_sdwa v189, v192, v189 dst_sel:WORD_1 dst_unused:UNUSED_PAD src0_sel:BYTE_0 src1_sel:DWORD
	v_ashrrev_i32_e32 v192, s21, v193
	v_lshlrev_b32_e32 v196, 2, v196
	v_or_b32_sdwa v199, v199, v201 dst_sel:DWORD dst_unused:UNUSED_PAD src0_sel:BYTE_0 src1_sel:DWORD
	v_and_b32_e32 v193, 0x3030303, v192
	v_bfe_u32 v192, v192, 24, 2
	v_and_b32_e32 v196, 0x4040404, v196
	v_or_b32_sdwa v189, v199, v189 dst_sel:DWORD dst_unused:UNUSED_PAD src0_sel:WORD_0 src1_sel:DWORD
	v_sub_u16_e32 v199, v193, v196
	v_sub_u16_sdwa v201, v193, v196 dst_sel:BYTE_1 dst_unused:UNUSED_PAD src0_sel:BYTE_1 src1_sel:BYTE_1
	v_sub_u16_sdwa v192, v192, v196 dst_sel:BYTE_1 dst_unused:UNUSED_PAD src0_sel:DWORD src1_sel:BYTE_3
	v_sub_u16_sdwa v193, v193, v196 dst_sel:DWORD dst_unused:UNUSED_PAD src0_sel:WORD_1 src1_sel:WORD_1
	v_or_b32_sdwa v192, v193, v192 dst_sel:WORD_1 dst_unused:UNUSED_PAD src0_sel:BYTE_0 src1_sel:DWORD
	v_add_u32_e32 v193, 0x3188, v205
	ds_read2_b32 v[203:204], v193 offset1:1
	v_or_b32_sdwa v199, v199, v201 dst_sel:DWORD dst_unused:UNUSED_PAD src0_sel:BYTE_0 src1_sel:DWORD
	v_or_b32_sdwa v192, v199, v192 dst_sel:DWORD dst_unused:UNUSED_PAD src0_sel:WORD_0 src1_sel:DWORD
	v_ashrrev_i32_e32 v199, s17, v216
	v_lshlrev_b32_e32 v199, 2, v199
	s_waitcnt lgkmcnt(0)
	v_ashrrev_i32_e32 v193, s21, v203
	v_and_b32_e32 v196, 0x3030303, v193
	v_bfe_u32 v193, v193, 24, 2
	v_and_b32_e32 v199, 0x4040404, v199
	v_sub_u16_e32 v201, v196, v199
	v_sub_u16_sdwa v203, v196, v199 dst_sel:BYTE_1 dst_unused:UNUSED_PAD src0_sel:BYTE_1 src1_sel:BYTE_1
	v_sub_u16_sdwa v193, v193, v199 dst_sel:BYTE_1 dst_unused:UNUSED_PAD src0_sel:DWORD src1_sel:BYTE_3
	v_sub_u16_sdwa v196, v196, v199 dst_sel:DWORD dst_unused:UNUSED_PAD src0_sel:WORD_1 src1_sel:WORD_1
	v_or_b32_sdwa v201, v201, v203 dst_sel:DWORD dst_unused:UNUSED_PAD src0_sel:BYTE_0 src1_sel:DWORD
	v_or_b32_sdwa v193, v196, v193 dst_sel:WORD_1 dst_unused:UNUSED_PAD src0_sel:BYTE_0 src1_sel:DWORD
	v_or_b32_sdwa v196, v201, v193 dst_sel:DWORD dst_unused:UNUSED_PAD src0_sel:WORD_0 src1_sel:DWORD
	v_ashrrev_i32_e32 v201, s17, v217
	v_ashrrev_i32_e32 v193, s21, v204
	v_lshlrev_b32_e32 v201, 2, v201
	v_and_b32_e32 v199, 0x3030303, v193
	v_bfe_u32 v193, v193, 24, 2
	v_and_b32_e32 v201, 0x4040404, v201
	v_sub_u16_e32 v203, v199, v201
	v_sub_u16_sdwa v204, v199, v201 dst_sel:BYTE_1 dst_unused:UNUSED_PAD src0_sel:BYTE_1 src1_sel:BYTE_1
	v_sub_u16_sdwa v193, v193, v201 dst_sel:BYTE_1 dst_unused:UNUSED_PAD src0_sel:DWORD src1_sel:BYTE_3
	v_sub_u16_sdwa v199, v199, v201 dst_sel:DWORD dst_unused:UNUSED_PAD src0_sel:WORD_1 src1_sel:WORD_1
	v_or_b32_sdwa v203, v203, v204 dst_sel:DWORD dst_unused:UNUSED_PAD src0_sel:BYTE_0 src1_sel:DWORD
	v_or_b32_sdwa v193, v199, v193 dst_sel:WORD_1 dst_unused:UNUSED_PAD src0_sel:BYTE_0 src1_sel:DWORD
	v_or_b32_sdwa v199, v203, v193 dst_sel:DWORD dst_unused:UNUSED_PAD src0_sel:WORD_0 src1_sel:DWORD
	v_add_u32_e32 v193, 0x3190, v205
	ds_read2_b32 v[203:204], v193 offset1:1
	ds_read2_b32 v[216:217], v218 offset0:4 offset1:5
	v_dot4_i32_i8 v38, v189, v38, 0
	v_dot4_i32_i8 v38, v192, v39, v38
	;; [unrolled: 1-line block ×3, first 2 shown]
	s_waitcnt lgkmcnt(1)
	v_ashrrev_i32_e32 v193, s21, v203
	s_waitcnt lgkmcnt(0)
	v_ashrrev_i32_e32 v203, s17, v216
	v_lshlrev_b32_e32 v203, 2, v203
	v_and_b32_e32 v201, 0x3030303, v193
	v_bfe_u32 v193, v193, 24, 2
	v_and_b32_e32 v203, 0x4040404, v203
	v_sub_u16_e32 v216, v201, v203
	v_sub_u16_sdwa v219, v201, v203 dst_sel:BYTE_1 dst_unused:UNUSED_PAD src0_sel:BYTE_1 src1_sel:BYTE_1
	v_sub_u16_sdwa v193, v193, v203 dst_sel:BYTE_1 dst_unused:UNUSED_PAD src0_sel:DWORD src1_sel:BYTE_3
	v_sub_u16_sdwa v201, v201, v203 dst_sel:DWORD dst_unused:UNUSED_PAD src0_sel:WORD_1 src1_sel:WORD_1
	v_or_b32_sdwa v216, v216, v219 dst_sel:DWORD dst_unused:UNUSED_PAD src0_sel:BYTE_0 src1_sel:DWORD
	v_or_b32_sdwa v193, v201, v193 dst_sel:WORD_1 dst_unused:UNUSED_PAD src0_sel:BYTE_0 src1_sel:DWORD
	v_or_b32_sdwa v201, v216, v193 dst_sel:DWORD dst_unused:UNUSED_PAD src0_sel:WORD_0 src1_sel:DWORD
	v_ashrrev_i32_e32 v193, s21, v204
	v_ashrrev_i32_e32 v204, s17, v217
	v_lshlrev_b32_e32 v204, 2, v204
	v_and_b32_e32 v203, 0x3030303, v193
	v_bfe_u32 v193, v193, 24, 2
	v_and_b32_e32 v204, 0x4040404, v204
	v_sub_u16_e32 v216, v203, v204
	v_sub_u16_sdwa v217, v203, v204 dst_sel:BYTE_1 dst_unused:UNUSED_PAD src0_sel:BYTE_1 src1_sel:BYTE_1
	v_sub_u16_sdwa v193, v193, v204 dst_sel:BYTE_1 dst_unused:UNUSED_PAD src0_sel:DWORD src1_sel:BYTE_3
	v_sub_u16_sdwa v203, v203, v204 dst_sel:DWORD dst_unused:UNUSED_PAD src0_sel:WORD_1 src1_sel:WORD_1
	v_or_b32_sdwa v216, v216, v217 dst_sel:DWORD dst_unused:UNUSED_PAD src0_sel:BYTE_0 src1_sel:DWORD
	v_or_b32_sdwa v193, v203, v193 dst_sel:WORD_1 dst_unused:UNUSED_PAD src0_sel:BYTE_0 src1_sel:DWORD
	v_or_b32_sdwa v203, v216, v193 dst_sel:DWORD dst_unused:UNUSED_PAD src0_sel:WORD_0 src1_sel:DWORD
	v_add_u32_e32 v193, 0x3198, v205
	ds_read2_b32 v[204:205], v193 offset1:1
	ds_read2_b32 v[216:217], v218 offset0:6 offset1:7
	v_dot4_i32_i8 v34, v201, v34, 0
	v_dot4_i32_i8 v34, v203, v35, v34
	;; [unrolled: 1-line block ×3, first 2 shown]
	s_waitcnt lgkmcnt(1)
	v_ashrrev_i32_e32 v193, s21, v204
	s_waitcnt lgkmcnt(0)
	v_ashrrev_i32_e32 v216, s17, v216
	v_lshlrev_b32_e32 v216, 2, v216
	v_and_b32_e32 v204, 0x3030303, v193
	v_bfe_u32 v193, v193, 24, 2
	v_and_b32_e32 v216, 0x4040404, v216
	v_sub_u16_e32 v218, v204, v216
	v_sub_u16_sdwa v219, v204, v216 dst_sel:BYTE_1 dst_unused:UNUSED_PAD src0_sel:BYTE_1 src1_sel:BYTE_1
	v_sub_u16_sdwa v193, v193, v216 dst_sel:BYTE_1 dst_unused:UNUSED_PAD src0_sel:DWORD src1_sel:BYTE_3
	v_sub_u16_sdwa v204, v204, v216 dst_sel:DWORD dst_unused:UNUSED_PAD src0_sel:WORD_1 src1_sel:WORD_1
	v_or_b32_sdwa v218, v218, v219 dst_sel:DWORD dst_unused:UNUSED_PAD src0_sel:BYTE_0 src1_sel:DWORD
	v_or_b32_sdwa v193, v204, v193 dst_sel:WORD_1 dst_unused:UNUSED_PAD src0_sel:BYTE_0 src1_sel:DWORD
	v_ashrrev_i32_e32 v216, s17, v217
	v_or_b32_sdwa v204, v218, v193 dst_sel:DWORD dst_unused:UNUSED_PAD src0_sel:WORD_0 src1_sel:DWORD
	v_ashrrev_i32_e32 v193, s21, v205
	v_lshlrev_b32_e32 v216, 2, v216
	v_and_b32_e32 v205, 0x3030303, v193
	v_bfe_u32 v193, v193, 24, 2
	v_and_b32_e32 v216, 0x4040404, v216
	v_sub_u16_e32 v217, v205, v216
	v_sub_u16_sdwa v218, v205, v216 dst_sel:BYTE_1 dst_unused:UNUSED_PAD src0_sel:BYTE_1 src1_sel:BYTE_1
	v_sub_u16_sdwa v193, v193, v216 dst_sel:BYTE_1 dst_unused:UNUSED_PAD src0_sel:DWORD src1_sel:BYTE_3
	v_sub_u16_sdwa v205, v205, v216 dst_sel:DWORD dst_unused:UNUSED_PAD src0_sel:WORD_1 src1_sel:WORD_1
	v_or_b32_sdwa v217, v217, v218 dst_sel:DWORD dst_unused:UNUSED_PAD src0_sel:BYTE_0 src1_sel:DWORD
	v_or_b32_sdwa v193, v205, v193 dst_sel:WORD_1 dst_unused:UNUSED_PAD src0_sel:BYTE_0 src1_sel:DWORD
	v_or_b32_sdwa v205, v217, v193 dst_sel:DWORD dst_unused:UNUSED_PAD src0_sel:WORD_0 src1_sel:DWORD
	v_add3_u32 v193, s23, v170, v130
	ds_read_b32 v193, v193
	ds_read_b128 v[217:220], v176 offset:1024
	ds_read_b128 v[221:224], v176 offset:1040
	v_dot4_i32_i8 v34, v204, v36, v34
	v_dot4_i32_i8 v34, v205, v37, v34
	v_add_u32_e32 v216, s20, v140
	s_waitcnt lgkmcnt(1)
	v_dot4_i32_i8 v35, v65, v217, 0
	v_dot4_i32_i8 v35, v66, v218, v35
	;; [unrolled: 1-line block ×4, first 2 shown]
	s_waitcnt lgkmcnt(0)
	v_dot4_i32_i8 v35, v69, v221, 0
	v_dot4_i32_i8 v35, v206, v222, v35
	;; [unrolled: 1-line block ×28, first 2 shown]
	ds_read2_b32 v[35:36], v177 offset0:64 offset1:96
	ds_read_b128 v[217:220], v176 offset:2048
	ds_read_b128 v[221:224], v176 offset:2064
	s_add_i32 s17, s17, 1
	s_cmp_lt_u32 s19, 14
	s_waitcnt lgkmcnt(1)
	v_dot4_i32_i8 v39, v65, v217, 0
	v_dot4_i32_i8 v39, v66, v218, v39
	v_dot4_i32_i8 v39, v67, v219, v39
	v_dot4_i32_i8 v228, v68, v220, v39
	s_waitcnt lgkmcnt(0)
	v_dot4_i32_i8 v39, v69, v221, 0
	v_dot4_i32_i8 v39, v206, v222, v39
	;; [unrolled: 1-line block ×28, first 2 shown]
	ds_read_b128 v[219:222], v176 offset:3072
	ds_read_b128 v[223:226], v176 offset:3088
	s_waitcnt lgkmcnt(1)
	v_dot4_i32_i8 v39, v65, v219, 0
	v_dot4_i32_i8 v39, v66, v220, v39
	;; [unrolled: 1-line block ×4, first 2 shown]
	s_waitcnt lgkmcnt(0)
	v_dot4_i32_i8 v39, v69, v223, 0
	v_dot4_i32_i8 v39, v206, v224, v39
	;; [unrolled: 1-line block ×4, first 2 shown]
	ds_read_u16 v39, v64 offset:33538
	s_waitcnt lgkmcnt(0)
	v_lshrrev_b16_e32 v64, 8, v39
	v_bfe_i32 v229, v64, 0, 8
	v_bfe_i32 v230, v39, 0, 8
	v_mul_lo_u32 v37, v37, v230
	v_mul_lo_u32 v41, v41, v229
	;; [unrolled: 1-line block ×4, first 2 shown]
	v_mad_u64_u32 v[217:218], s[20:21], v228, v230, v[41:42]
	v_mad_u64_u32 v[227:228], s[20:21], v227, v229, v[37:38]
                                        ; kill: def $vgpr41 killed $sgpr0 killed $exec
	v_mul_f32_e32 v37, v178, v62
	v_mad_u64_u32 v[40:41], s[20:21], v243, v229, v[40:41]
	v_cvt_f32_i32_e32 v209, v227
	v_mul_f32_e32 v41, v178, v36
	v_mad_u64_u32 v[63:64], s[20:21], v63, v230, v[39:40]
	v_cvt_f32_i32_e32 v40, v40
	v_fmac_f32_e32 v6, v37, v209
	v_dot4_i32_i8 v37, v179, v219, 0
	v_dot4_i32_i8 v37, v180, v220, v37
	;; [unrolled: 1-line block ×3, first 2 shown]
	v_fma_f32 v8, v41, v40, v8
	v_dot4_i32_i8 v40, v184, v222, v37
	v_dot4_i32_i8 v37, v187, v223, 0
	;; [unrolled: 1-line block ×5, first 2 shown]
	ds_read_u16 v37, v211 offset:34562
	v_cvt_f32_i32_e32 v63, v63
	v_cvt_f32_i32_e32 v217, v217
	v_mul_f32_e32 v39, v178, v61
	v_mul_f32_e32 v64, v178, v35
	v_fma_f32 v7, v39, v63, v7
	s_waitcnt lgkmcnt(0)
	v_lshrrev_b16_e32 v39, 8, v37
	v_fma_f32 v9, v64, v217, v9
	v_bfe_i32 v217, v39, 0, 8
	v_bfe_i32 v218, v37, 0, 8
	v_mul_lo_u32 v41, v238, v217
	v_mul_lo_u32 v40, v40, v218
	;; [unrolled: 1-line block ×4, first 2 shown]
	v_mad_u64_u32 v[63:64], s[20:21], v237, v218, v[41:42]
                                        ; kill: def $vgpr41 killed $sgpr0 killed $exec
	v_mul_f32_e32 v64, v181, v35
	v_mad_u64_u32 v[40:41], s[20:21], v209, v217, v[40:41]
	v_mul_f32_e32 v41, v181, v36
	v_cvt_f32_i32_e32 v63, v63
	v_mad_u64_u32 v[209:210], s[20:21], v210, v218, v[39:40]
	v_mad_u64_u32 v[210:211], s[20:21], v232, v217, v[37:38]
	v_mul_f32_e32 v37, v181, v62
	v_cvt_f32_i32_e32 v40, v40
	v_cvt_f32_i32_e32 v210, v210
	;; [unrolled: 1-line block ×3, first 2 shown]
	v_mul_f32_e32 v39, v181, v61
	v_fma_f32 v32, v41, v40, v32
	v_fmac_f32_e32 v30, v37, v210
	v_dot4_i32_i8 v37, v183, v219, 0
	v_dot4_i32_i8 v37, v185, v220, v37
	v_dot4_i32_i8 v37, v188, v221, v37
	v_dot4_i32_i8 v40, v191, v222, v37
	v_dot4_i32_i8 v37, v195, v223, 0
	v_dot4_i32_i8 v37, v198, v224, v37
	v_dot4_i32_i8 v37, v200, v225, v37
	v_fma_f32 v31, v39, v209, v31
	v_dot4_i32_i8 v209, v202, v226, v37
	ds_read_u16 v37, v214 offset:35586
	v_fma_f32 v33, v64, v63, v33
	s_waitcnt lgkmcnt(0)
	v_lshrrev_b16_e32 v39, 8, v37
	v_bfe_i32 v211, v39, 0, 8
	v_bfe_i32 v212, v37, 0, 8
	v_mul_lo_u32 v41, v240, v211
	v_mul_lo_u32 v40, v40, v212
	;; [unrolled: 1-line block ×4, first 2 shown]
	v_mad_u64_u32 v[63:64], s[20:21], v239, v212, v[41:42]
                                        ; kill: def $vgpr41 killed $sgpr0 killed $exec
	v_mul_f32_e32 v64, v186, v35
	v_mad_u64_u32 v[40:41], s[20:21], v209, v211, v[40:41]
	v_cvt_f32_i32_e32 v63, v63
	v_mul_f32_e32 v41, v186, v36
	v_mad_u64_u32 v[209:210], s[20:21], v213, v212, v[39:40]
	v_mad_u64_u32 v[213:214], s[20:21], v234, v211, v[37:38]
	v_mul_f32_e32 v37, v186, v62
	v_cvt_f32_i32_e32 v209, v209
	v_cvt_f32_i32_e32 v210, v213
	v_mul_f32_e32 v39, v186, v61
	v_fma_f32 v29, v64, v63, v29
	v_fma_f32 v27, v39, v209, v27
	v_fmac_f32_e32 v26, v37, v210
	v_dot4_i32_i8 v37, v189, v219, 0
	v_dot4_i32_i8 v37, v192, v220, v37
	;; [unrolled: 1-line block ×8, first 2 shown]
	ds_read_u16 v37, v216 offset:36610
	v_cvt_f32_i32_e32 v40, v40
	v_mul_f32_e32 v36, v193, v36
	v_fma_f32 v28, v41, v40, v28
	s_waitcnt lgkmcnt(0)
	v_lshrrev_b16_e32 v40, 8, v37
	v_bfe_i32 v209, v40, 0, 8
	v_mul_lo_u32 v40, v242, v209
	v_bfe_i32 v210, v37, 0, 8
                                        ; kill: def $vgpr41 killed $sgpr0 killed $exec
	v_mul_lo_u32 v34, v34, v209
	v_mul_lo_u32 v39, v39, v210
	v_mad_u64_u32 v[40:41], s[20:21], v241, v210, v[40:41]
	v_mul_lo_u32 v37, v235, v210
	v_mad_u64_u32 v[63:64], s[20:21], v63, v209, v[39:40]
	v_mad_u64_u32 v[38:39], s[20:21], v38, v210, v[34:35]
	v_cvt_f32_i32_e32 v41, v63
	v_cvt_f32_i32_e32 v40, v40
	v_mad_u64_u32 v[213:214], s[20:21], v236, v209, v[37:38]
	v_cvt_f32_i32_e32 v38, v38
	v_mul_f32_e32 v34, v193, v62
	v_cvt_f32_i32_e32 v39, v213
	v_mul_f32_e32 v37, v193, v61
	v_mul_f32_e32 v35, v193, v35
	v_fma_f32 v25, v35, v40, v25
	v_fma_f32 v24, v36, v41, v24
	v_fma_f32 v23, v37, v38, v23
	v_fmac_f32_e32 v22, v34, v39
	ds_read2_b32 v[61:62], v177 offset0:128 offset1:160
	ds_read_b128 v[34:37], v176 offset:4096
	ds_read_b128 v[38:41], v176 offset:4112
	s_waitcnt lgkmcnt(1)
	v_dot4_i32_i8 v63, v65, v34, 0
	v_dot4_i32_i8 v63, v66, v35, v63
	;; [unrolled: 1-line block ×4, first 2 shown]
	s_waitcnt lgkmcnt(0)
	v_dot4_i32_i8 v63, v69, v38, 0
	v_dot4_i32_i8 v63, v206, v39, v63
	;; [unrolled: 1-line block ×28, first 2 shown]
	ds_read_b128 v[34:37], v176 offset:5120
	ds_read_b128 v[38:41], v176 offset:5136
	s_waitcnt lgkmcnt(1)
	v_dot4_i32_i8 v63, v65, v34, 0
	v_dot4_i32_i8 v63, v66, v35, v63
	;; [unrolled: 1-line block ×4, first 2 shown]
	s_waitcnt lgkmcnt(0)
	v_dot4_i32_i8 v63, v69, v38, 0
	v_dot4_i32_i8 v63, v206, v39, v63
	;; [unrolled: 1-line block ×28, first 2 shown]
	ds_read2_b32 v[63:64], v177 offset0:192 offset1:224
	ds_read_b128 v[34:37], v176 offset:6144
	ds_read_b128 v[38:41], v176 offset:6160
	v_add_u32_e32 v177, 4, v177
	s_waitcnt lgkmcnt(1)
	v_dot4_i32_i8 v225, v65, v34, 0
	v_dot4_i32_i8 v225, v66, v35, v225
	;; [unrolled: 1-line block ×4, first 2 shown]
	s_waitcnt lgkmcnt(0)
	v_dot4_i32_i8 v225, v69, v38, 0
	v_dot4_i32_i8 v225, v206, v39, v225
	;; [unrolled: 1-line block ×28, first 2 shown]
	ds_read_b128 v[38:41], v176 offset:7168
	ds_read_b128 v[34:37], v176 offset:7184
	v_add_u32_e32 v176, 32, v176
	s_waitcnt lgkmcnt(1)
	v_dot4_i32_i8 v65, v65, v38, 0
	v_dot4_i32_i8 v65, v66, v39, v65
	;; [unrolled: 1-line block ×4, first 2 shown]
	s_waitcnt lgkmcnt(0)
	v_dot4_i32_i8 v66, v69, v34, 0
	v_mul_lo_u32 v67, v65, v230
	v_mul_lo_u32 v65, v240, v229
	v_dot4_i32_i8 v66, v206, v35, v66
	v_mul_lo_u32 v68, v236, v229
	v_dot4_i32_i8 v66, v207, v36, v66
	;; [unrolled: 2-line block ×3, first 2 shown]
                                        ; kill: def $vgpr66 killed $sgpr0 killed $exec
	v_mul_f32_e32 v207, v178, v64
	v_mad_u64_u32 v[65:66], s[20:21], v239, v230, v[65:66]
	v_mad_u64_u32 v[66:67], s[20:21], v206, v229, v[67:68]
	v_mad_u64_u32 v[67:68], s[20:21], v235, v230, v[68:69]
	v_mad_u64_u32 v[68:69], s[20:21], v238, v229, v[69:70]
	v_cvt_f32_i32_e32 v65, v65
	v_mul_f32_e32 v69, v178, v62
	v_cvt_f32_i32_e32 v68, v68
	v_mul_f32_e32 v206, v178, v61
	v_mul_f32_e32 v178, v178, v63
	v_cvt_f32_i32_e32 v67, v67
	v_fma_f32 v21, v178, v65, v21
	v_fmac_f32_e32 v18, v69, v68
	v_dot4_i32_i8 v65, v179, v38, 0
	v_mul_lo_u32 v68, v234, v217
	v_cvt_f32_i32_e32 v66, v66
	v_dot4_i32_i8 v65, v180, v39, v65
	v_dot4_i32_i8 v65, v182, v40, v65
	v_fma_f32 v19, v206, v67, v19
	v_dot4_i32_i8 v67, v184, v41, v65
                                        ; kill: def $vgpr69 killed $sgpr0 killed $exec
	v_dot4_i32_i8 v65, v187, v34, 0
	v_mul_lo_u32 v67, v67, v218
	v_mad_u64_u32 v[68:69], s[20:21], v233, v218, v[68:69]
	v_fma_f32 v20, v207, v66, v20
	v_dot4_i32_i8 v65, v190, v35, v65
	v_mul_lo_u32 v66, v224, v217
	v_dot4_i32_i8 v65, v194, v36, v65
	v_dot4_i32_i8 v178, v197, v37, v65
	v_mad_u64_u32 v[178:179], s[20:21], v178, v217, v[67:68]
                                        ; kill: def $vgpr67 killed $sgpr0 killed $exec
	v_mul_lo_u32 v65, v228, v218
	v_mad_u64_u32 v[66:67], s[20:21], v223, v218, v[66:67]
	v_mul_f32_e32 v67, v181, v61
	v_cvt_f32_i32_e32 v178, v178
	v_mad_u64_u32 v[179:180], s[20:21], v227, v217, v[65:66]
	v_mul_f32_e32 v65, v181, v62
	v_cvt_f32_i32_e32 v66, v66
	v_cvt_f32_i32_e32 v179, v179
	;; [unrolled: 1-line block ×3, first 2 shown]
	v_mul_f32_e32 v69, v181, v64
	v_fma_f32 v15, v67, v66, v15
	v_fmac_f32_e32 v14, v65, v179
	v_dot4_i32_i8 v65, v183, v38, 0
	v_dot4_i32_i8 v65, v185, v39, v65
	;; [unrolled: 1-line block ×8, first 2 shown]
	v_mul_f32_e32 v180, v181, v63
	v_dot4_i32_i8 v65, v200, v36, v65
	v_dot4_i32_i8 v38, v189, v38, 0
	;; [unrolled: 1-line block ×3, first 2 shown]
	v_fma_f32 v17, v180, v68, v17
	v_fma_f32 v16, v69, v178, v16
	v_dot4_i32_i8 v178, v202, v37, v65
	v_mul_lo_u32 v68, v232, v211
	v_dot4_i32_i8 v38, v192, v39, v38
	v_dot4_i32_i8 v39, v205, v37, v34
	v_mul_lo_u32 v37, v226, v209
	v_dot4_i32_i8 v38, v196, v40, v38
	v_dot4_i32_i8 v38, v199, v41, v38
                                        ; kill: def $vgpr69 killed $sgpr0 killed $exec
	v_mul_lo_u32 v36, v38, v210
                                        ; kill: def $vgpr38 killed $sgpr0 killed $exec
	v_mul_lo_u32 v67, v67, v212
	v_mad_u64_u32 v[68:69], s[20:21], v231, v212, v[68:69]
	v_mad_u64_u32 v[37:38], s[20:21], v225, v210, v[37:38]
	v_mul_lo_u32 v66, v220, v211
	v_mul_lo_u32 v35, v214, v209
	v_mad_u64_u32 v[178:179], s[20:21], v178, v211, v[67:68]
                                        ; kill: def $vgpr67 killed $sgpr0 killed $exec
	v_mad_u64_u32 v[38:39], s[20:21], v39, v209, v[36:37]
                                        ; kill: def $vgpr36 killed $sgpr0 killed $exec
	v_mul_lo_u32 v65, v222, v212
	v_mad_u64_u32 v[66:67], s[20:21], v219, v212, v[66:67]
	v_mul_lo_u32 v34, v216, v210
	v_mad_u64_u32 v[35:36], s[20:21], v213, v210, v[35:36]
	v_mad_u64_u32 v[179:180], s[20:21], v221, v211, v[65:66]
	;; [unrolled: 1-line block ×3, first 2 shown]
	v_cvt_f32_i32_e32 v179, v179
	v_cvt_f32_i32_e32 v66, v66
	;; [unrolled: 1-line block ×8, first 2 shown]
	v_mul_f32_e32 v65, v186, v62
	v_mul_f32_e32 v67, v186, v61
	;; [unrolled: 1-line block ×8, first 2 shown]
	v_fma_f32 v13, v180, v68, v13
	v_fma_f32 v12, v69, v178, v12
	;; [unrolled: 1-line block ×3, first 2 shown]
	v_fmac_f32_e32 v10, v65, v179
	v_fma_f32 v5, v41, v37, v5
	v_fma_f32 v4, v40, v38, v4
	;; [unrolled: 1-line block ×3, first 2 shown]
	v_fmac_f32_e32 v2, v34, v39
	s_mov_b32 s20, s19
	s_cbranch_scc1 .LBB130_9
; %bb.10:                               ;   in Loop: Header=BB130_6 Depth=1
	s_or_b32 s17, s7, 1
	s_cmp_ge_i32 s17, s4
	s_barrier
	s_cbranch_scc1 .LBB130_5
; %bb.11:                               ;   in Loop: Header=BB130_6 Depth=1
	v_add_u32_e32 v69, s16, v132
	v_add_u32_e32 v67, 8, v174
	;; [unrolled: 1-line block ×3, first 2 shown]
	v_mad_u64_u32 v[67:68], s[18:19], v67, 36, s[2:3]
	v_mad_i64_i32 v[34:35], s[18:19], v34, 36, v[59:60]
	v_add_u32_e32 v36, v69, v116
	v_mad_i64_i32 v[36:37], s[18:19], v36, 36, v[59:60]
	v_add_u32_e32 v38, v69, v117
	v_add_u32_e32 v40, v69, v118
	v_mad_i64_i32 v[38:39], s[18:19], v38, 36, v[59:60]
	v_mad_i64_i32 v[40:41], s[18:19], v40, 36, v[59:60]
	v_add_u32_e32 v61, v69, v119
	v_add_u32_e32 v63, v69, v120
	;; [unrolled: 1-line block ×4, first 2 shown]
	v_mad_i64_i32 v[61:62], s[18:19], v61, 36, v[59:60]
	v_mad_i64_i32 v[63:64], s[18:19], v63, 36, v[59:60]
	;; [unrolled: 1-line block ×4, first 2 shown]
	global_load_dword v67, v[67:68], off
	s_nop 0
	global_load_dword v34, v[34:35], off offset:4
	s_nop 0
	global_load_dword v35, v[36:37], off offset:4
	;; [unrolled: 2-line block ×3, first 2 shown]
	global_load_dword v37, v[40:41], off offset:4
	s_nop 0
	global_load_dword v38, v[61:62], off offset:4
	global_load_dword v39, v[63:64], off offset:4
	;; [unrolled: 1-line block ×4, first 2 shown]
	s_mov_b32 s17, 16
	s_mov_b32 s20, 14
	;; [unrolled: 1-line block ×3, first 2 shown]
	v_mov_b32_e32 v176, v143
	v_mov_b32_e32 v177, v142
	s_waitcnt vmcnt(8)
	v_cvt_f32_f16_e32 v61, v67
	s_waitcnt vmcnt(7)
	ds_write_b32 v175, v34
	s_waitcnt vmcnt(6)
	ds_write_b32 v158, v35
	;; [unrolled: 2-line block ×8, first 2 shown]
	ds_write_b32 v113, v61
	s_waitcnt lgkmcnt(0)
	s_barrier
.LBB130_12:                             ;   Parent Loop BB130_6 Depth=1
                                        ; =>  This Inner Loop Header: Depth=2
	s_add_i32 s19, s20, 2
	s_lshr_b32 s24, s19, 4
	s_and_b32 s22, s19, 0x3ffffff8
	v_lshl_add_u32 v205, s22, 2, v123
	s_lshl_b32 s22, s24, 5
	s_addk_i32 s22, 0x4200
	v_add3_u32 v180, s22, v171, v124
	ds_read2_b32 v[61:62], v177 offset1:32
	ds_read_b128 v[38:41], v176
	ds_read_b128 v[34:37], v176 offset:16
	ds_read2_b32 v[65:66], v180 offset1:1
	ds_read2_b32 v[63:64], v205 offset1:1
	v_add3_u32 v199, s22, v167, v127
	s_add_i32 s21, s20, -14
	ds_read2_b32 v[200:201], v199 offset0:6 offset1:7
	s_waitcnt lgkmcnt(2)
	v_ashrrev_i32_e32 v65, s18, v65
	s_waitcnt lgkmcnt(1)
	v_ashrrev_i32_e32 v63, s21, v63
	v_lshlrev_b32_e32 v65, 2, v65
	v_and_b32_e32 v67, 0x3030303, v63
	v_bfe_u32 v63, v63, 24, 2
	v_and_b32_e32 v65, 0x4040404, v65
	v_sub_u16_e32 v68, v67, v65
	v_sub_u16_sdwa v69, v67, v65 dst_sel:BYTE_1 dst_unused:UNUSED_PAD src0_sel:BYTE_1 src1_sel:BYTE_1
	v_sub_u16_sdwa v63, v63, v65 dst_sel:BYTE_1 dst_unused:UNUSED_PAD src0_sel:DWORD src1_sel:BYTE_3
	v_sub_u16_sdwa v65, v67, v65 dst_sel:DWORD dst_unused:UNUSED_PAD src0_sel:WORD_1 src1_sel:WORD_1
	v_or_b32_sdwa v68, v68, v69 dst_sel:DWORD dst_unused:UNUSED_PAD src0_sel:BYTE_0 src1_sel:DWORD
	v_or_b32_sdwa v63, v65, v63 dst_sel:WORD_1 dst_unused:UNUSED_PAD src0_sel:BYTE_0 src1_sel:DWORD
	v_ashrrev_i32_e32 v66, s18, v66
	v_or_b32_sdwa v65, v68, v63 dst_sel:DWORD dst_unused:UNUSED_PAD src0_sel:WORD_0 src1_sel:DWORD
	v_ashrrev_i32_e32 v63, s21, v64
	v_lshlrev_b32_e32 v66, 2, v66
	v_and_b32_e32 v64, 0x3030303, v63
	v_bfe_u32 v63, v63, 24, 2
	v_and_b32_e32 v66, 0x4040404, v66
	v_sub_u16_e32 v67, v64, v66
	v_sub_u16_sdwa v68, v64, v66 dst_sel:BYTE_1 dst_unused:UNUSED_PAD src0_sel:BYTE_1 src1_sel:BYTE_1
	v_sub_u16_sdwa v63, v63, v66 dst_sel:BYTE_1 dst_unused:UNUSED_PAD src0_sel:DWORD src1_sel:BYTE_3
	v_sub_u16_sdwa v64, v64, v66 dst_sel:DWORD dst_unused:UNUSED_PAD src0_sel:WORD_1 src1_sel:WORD_1
	v_or_b32_sdwa v67, v67, v68 dst_sel:DWORD dst_unused:UNUSED_PAD src0_sel:BYTE_0 src1_sel:DWORD
	v_or_b32_sdwa v63, v64, v63 dst_sel:WORD_1 dst_unused:UNUSED_PAD src0_sel:BYTE_0 src1_sel:DWORD
	v_or_b32_sdwa v66, v67, v63 dst_sel:DWORD dst_unused:UNUSED_PAD src0_sel:WORD_0 src1_sel:DWORD
	ds_read2_b32 v[63:64], v205 offset0:2 offset1:3
	ds_read2_b32 v[67:68], v180 offset0:2 offset1:3
	s_and_b32 s23, s17, -16
	s_add_i32 s20, s20, s23
	s_lshl_b32 s23, s24, 2
	s_waitcnt lgkmcnt(1)
	v_ashrrev_i32_e32 v63, s21, v63
	s_waitcnt lgkmcnt(0)
	v_ashrrev_i32_e32 v67, s18, v67
	v_lshlrev_b32_e32 v67, 2, v67
	v_and_b32_e32 v69, 0x3030303, v63
	v_bfe_u32 v63, v63, 24, 2
	v_and_b32_e32 v67, 0x4040404, v67
	v_sub_u16_e32 v178, v69, v67
	v_sub_u16_sdwa v179, v69, v67 dst_sel:BYTE_1 dst_unused:UNUSED_PAD src0_sel:BYTE_1 src1_sel:BYTE_1
	v_sub_u16_sdwa v63, v63, v67 dst_sel:BYTE_1 dst_unused:UNUSED_PAD src0_sel:DWORD src1_sel:BYTE_3
	v_sub_u16_sdwa v67, v69, v67 dst_sel:DWORD dst_unused:UNUSED_PAD src0_sel:WORD_1 src1_sel:WORD_1
	v_or_b32_sdwa v178, v178, v179 dst_sel:DWORD dst_unused:UNUSED_PAD src0_sel:BYTE_0 src1_sel:DWORD
	v_or_b32_sdwa v63, v67, v63 dst_sel:WORD_1 dst_unused:UNUSED_PAD src0_sel:BYTE_0 src1_sel:DWORD
	v_ashrrev_i32_e32 v68, s18, v68
	v_or_b32_sdwa v67, v178, v63 dst_sel:DWORD dst_unused:UNUSED_PAD src0_sel:WORD_0 src1_sel:DWORD
	v_ashrrev_i32_e32 v63, s21, v64
	v_lshlrev_b32_e32 v68, 2, v68
	v_and_b32_e32 v64, 0x3030303, v63
	v_bfe_u32 v63, v63, 24, 2
	v_and_b32_e32 v68, 0x4040404, v68
	v_sub_u16_e32 v69, v64, v68
	v_sub_u16_sdwa v178, v64, v68 dst_sel:BYTE_1 dst_unused:UNUSED_PAD src0_sel:BYTE_1 src1_sel:BYTE_1
	v_sub_u16_sdwa v63, v63, v68 dst_sel:BYTE_1 dst_unused:UNUSED_PAD src0_sel:DWORD src1_sel:BYTE_3
	v_sub_u16_sdwa v64, v64, v68 dst_sel:DWORD dst_unused:UNUSED_PAD src0_sel:WORD_1 src1_sel:WORD_1
	v_or_b32_sdwa v69, v69, v178 dst_sel:DWORD dst_unused:UNUSED_PAD src0_sel:BYTE_0 src1_sel:DWORD
	v_or_b32_sdwa v63, v64, v63 dst_sel:WORD_1 dst_unused:UNUSED_PAD src0_sel:BYTE_0 src1_sel:DWORD
	v_or_b32_sdwa v68, v69, v63 dst_sel:DWORD dst_unused:UNUSED_PAD src0_sel:WORD_0 src1_sel:DWORD
	ds_read2_b32 v[63:64], v205 offset0:4 offset1:5
	ds_read2_b32 v[178:179], v180 offset0:4 offset1:5
	s_add_i32 s23, s23, 0x9380
	v_add3_u32 v189, s22, v165, v125
	v_add3_u32 v218, s22, v169, v129
	s_waitcnt lgkmcnt(1)
	v_ashrrev_i32_e32 v63, s21, v63
	s_waitcnt lgkmcnt(0)
	v_ashrrev_i32_e32 v178, s18, v178
	v_lshlrev_b32_e32 v178, 2, v178
	v_and_b32_e32 v69, 0x3030303, v63
	v_bfe_u32 v63, v63, 24, 2
	v_and_b32_e32 v178, 0x4040404, v178
	v_sub_u16_e32 v181, v69, v178
	v_sub_u16_sdwa v182, v69, v178 dst_sel:BYTE_1 dst_unused:UNUSED_PAD src0_sel:BYTE_1 src1_sel:BYTE_1
	v_sub_u16_sdwa v63, v63, v178 dst_sel:BYTE_1 dst_unused:UNUSED_PAD src0_sel:DWORD src1_sel:BYTE_3
	v_sub_u16_sdwa v69, v69, v178 dst_sel:DWORD dst_unused:UNUSED_PAD src0_sel:WORD_1 src1_sel:WORD_1
	v_or_b32_sdwa v181, v181, v182 dst_sel:DWORD dst_unused:UNUSED_PAD src0_sel:BYTE_0 src1_sel:DWORD
	v_or_b32_sdwa v63, v69, v63 dst_sel:WORD_1 dst_unused:UNUSED_PAD src0_sel:BYTE_0 src1_sel:DWORD
	v_ashrrev_i32_e32 v178, s18, v179
	v_or_b32_sdwa v69, v181, v63 dst_sel:DWORD dst_unused:UNUSED_PAD src0_sel:WORD_0 src1_sel:DWORD
	v_ashrrev_i32_e32 v63, s21, v64
	v_lshlrev_b32_e32 v178, 2, v178
	v_and_b32_e32 v64, 0x3030303, v63
	v_bfe_u32 v63, v63, 24, 2
	v_and_b32_e32 v178, 0x4040404, v178
	v_sub_u16_e32 v179, v64, v178
	v_sub_u16_sdwa v181, v64, v178 dst_sel:BYTE_1 dst_unused:UNUSED_PAD src0_sel:BYTE_1 src1_sel:BYTE_1
	v_sub_u16_sdwa v63, v63, v178 dst_sel:BYTE_1 dst_unused:UNUSED_PAD src0_sel:DWORD src1_sel:BYTE_3
	v_sub_u16_sdwa v64, v64, v178 dst_sel:DWORD dst_unused:UNUSED_PAD src0_sel:WORD_1 src1_sel:WORD_1
	v_or_b32_sdwa v179, v179, v181 dst_sel:DWORD dst_unused:UNUSED_PAD src0_sel:BYTE_0 src1_sel:DWORD
	v_or_b32_sdwa v63, v64, v63 dst_sel:WORD_1 dst_unused:UNUSED_PAD src0_sel:BYTE_0 src1_sel:DWORD
	v_or_b32_sdwa v206, v179, v63 dst_sel:DWORD dst_unused:UNUSED_PAD src0_sel:WORD_0 src1_sel:DWORD
	ds_read2_b32 v[63:64], v205 offset0:6 offset1:7
	ds_read2_b32 v[178:179], v180 offset0:6 offset1:7
	;; [unrolled: 1-line block ×3, first 2 shown]
	v_add_u32_e32 v211, s20, v136
	v_add_u32_e32 v214, s20, v138
	s_waitcnt lgkmcnt(2)
	v_ashrrev_i32_e32 v63, s21, v63
	s_waitcnt lgkmcnt(1)
	v_ashrrev_i32_e32 v178, s18, v178
	v_lshlrev_b32_e32 v178, 2, v178
	v_and_b32_e32 v181, 0x3030303, v63
	v_bfe_u32 v63, v63, 24, 2
	v_and_b32_e32 v178, 0x4040404, v178
	v_sub_u16_e32 v180, v181, v178
	v_sub_u16_sdwa v182, v181, v178 dst_sel:BYTE_1 dst_unused:UNUSED_PAD src0_sel:BYTE_1 src1_sel:BYTE_1
	v_sub_u16_sdwa v63, v63, v178 dst_sel:BYTE_1 dst_unused:UNUSED_PAD src0_sel:DWORD src1_sel:BYTE_3
	v_sub_u16_sdwa v178, v181, v178 dst_sel:DWORD dst_unused:UNUSED_PAD src0_sel:WORD_1 src1_sel:WORD_1
	v_or_b32_sdwa v180, v180, v182 dst_sel:DWORD dst_unused:UNUSED_PAD src0_sel:BYTE_0 src1_sel:DWORD
	v_or_b32_sdwa v63, v178, v63 dst_sel:WORD_1 dst_unused:UNUSED_PAD src0_sel:BYTE_0 src1_sel:DWORD
	v_ashrrev_i32_e32 v178, s18, v179
	v_or_b32_sdwa v207, v180, v63 dst_sel:DWORD dst_unused:UNUSED_PAD src0_sel:WORD_0 src1_sel:DWORD
	v_ashrrev_i32_e32 v63, s21, v64
	v_lshlrev_b32_e32 v178, 2, v178
	v_and_b32_e32 v64, 0x3030303, v63
	v_bfe_u32 v63, v63, 24, 2
	v_and_b32_e32 v178, 0x4040404, v178
	v_sub_u16_e32 v179, v64, v178
	v_sub_u16_sdwa v180, v64, v178 dst_sel:BYTE_1 dst_unused:UNUSED_PAD src0_sel:BYTE_1 src1_sel:BYTE_1
	v_sub_u16_sdwa v63, v63, v178 dst_sel:BYTE_1 dst_unused:UNUSED_PAD src0_sel:DWORD src1_sel:BYTE_3
	v_sub_u16_sdwa v64, v64, v178 dst_sel:DWORD dst_unused:UNUSED_PAD src0_sel:WORD_1 src1_sel:WORD_1
	v_or_b32_sdwa v179, v179, v180 dst_sel:DWORD dst_unused:UNUSED_PAD src0_sel:BYTE_0 src1_sel:DWORD
	v_or_b32_sdwa v63, v64, v63 dst_sel:WORD_1 dst_unused:UNUSED_PAD src0_sel:BYTE_0 src1_sel:DWORD
	v_or_b32_sdwa v208, v179, v63 dst_sel:DWORD dst_unused:UNUSED_PAD src0_sel:WORD_0 src1_sel:DWORD
	v_dot4_i32_i8 v179, v69, v34, 0
	v_dot4_i32_i8 v179, v206, v35, v179
	v_dot4_i32_i8 v179, v207, v36, v179
	v_add3_u32 v63, s23, v172, v173
	v_dot4_i32_i8 v209, v208, v37, v179
	v_add_u32_e32 v179, 0x1080, v205
	ds_read_b32 v178, v63
	ds_read2_b32 v[179:180], v179 offset1:1
	ds_read2_b32 v[181:182], v189 offset1:1
	v_dot4_i32_i8 v63, v65, v38, 0
	v_dot4_i32_i8 v63, v66, v39, v63
	;; [unrolled: 1-line block ×3, first 2 shown]
	s_waitcnt lgkmcnt(1)
	v_ashrrev_i32_e32 v179, s21, v179
	s_waitcnt lgkmcnt(0)
	v_ashrrev_i32_e32 v181, s18, v181
	v_lshlrev_b32_e32 v181, 2, v181
	v_and_b32_e32 v183, 0x3030303, v179
	v_bfe_u32 v179, v179, 24, 2
	v_and_b32_e32 v181, 0x4040404, v181
	v_ashrrev_i32_e32 v182, s18, v182
	v_sub_u16_e32 v184, v183, v181
	v_sub_u16_sdwa v185, v183, v181 dst_sel:BYTE_1 dst_unused:UNUSED_PAD src0_sel:BYTE_1 src1_sel:BYTE_1
	v_sub_u16_sdwa v179, v179, v181 dst_sel:BYTE_1 dst_unused:UNUSED_PAD src0_sel:DWORD src1_sel:BYTE_3
	v_sub_u16_sdwa v181, v183, v181 dst_sel:DWORD dst_unused:UNUSED_PAD src0_sel:WORD_1 src1_sel:WORD_1
	v_ashrrev_i32_e32 v180, s21, v180
	v_lshlrev_b32_e32 v182, 2, v182
	v_or_b32_sdwa v184, v184, v185 dst_sel:DWORD dst_unused:UNUSED_PAD src0_sel:BYTE_0 src1_sel:DWORD
	v_or_b32_sdwa v179, v181, v179 dst_sel:WORD_1 dst_unused:UNUSED_PAD src0_sel:BYTE_0 src1_sel:DWORD
	v_and_b32_e32 v181, 0x3030303, v180
	v_bfe_u32 v180, v180, 24, 2
	v_and_b32_e32 v182, 0x4040404, v182
	v_or_b32_sdwa v179, v184, v179 dst_sel:DWORD dst_unused:UNUSED_PAD src0_sel:WORD_0 src1_sel:DWORD
	v_sub_u16_e32 v183, v181, v182
	v_sub_u16_sdwa v184, v181, v182 dst_sel:BYTE_1 dst_unused:UNUSED_PAD src0_sel:BYTE_1 src1_sel:BYTE_1
	v_sub_u16_sdwa v180, v180, v182 dst_sel:BYTE_1 dst_unused:UNUSED_PAD src0_sel:DWORD src1_sel:BYTE_3
	v_sub_u16_sdwa v181, v181, v182 dst_sel:DWORD dst_unused:UNUSED_PAD src0_sel:WORD_1 src1_sel:WORD_1
	v_or_b32_sdwa v183, v183, v184 dst_sel:DWORD dst_unused:UNUSED_PAD src0_sel:BYTE_0 src1_sel:DWORD
	v_or_b32_sdwa v180, v181, v180 dst_sel:WORD_1 dst_unused:UNUSED_PAD src0_sel:BYTE_0 src1_sel:DWORD
	v_add_u32_e32 v181, 0x1088, v205
	v_or_b32_sdwa v180, v183, v180 dst_sel:DWORD dst_unused:UNUSED_PAD src0_sel:WORD_0 src1_sel:DWORD
	ds_read2_b32 v[182:183], v181 offset1:1
	ds_read2_b32 v[184:185], v189 offset0:2 offset1:3
	ds_read2_b32 v[203:204], v218 offset1:1
	v_dot4_i32_i8 v63, v68, v41, v63
	v_add_u32_e32 v64, s20, v134
	s_waitcnt lgkmcnt(2)
	v_ashrrev_i32_e32 v181, s21, v182
	s_waitcnt lgkmcnt(1)
	v_ashrrev_i32_e32 v184, s18, v184
	v_lshlrev_b32_e32 v184, 2, v184
	v_and_b32_e32 v182, 0x3030303, v181
	v_bfe_u32 v181, v181, 24, 2
	v_and_b32_e32 v184, 0x4040404, v184
	v_sub_u16_e32 v186, v182, v184
	v_sub_u16_sdwa v187, v182, v184 dst_sel:BYTE_1 dst_unused:UNUSED_PAD src0_sel:BYTE_1 src1_sel:BYTE_1
	v_sub_u16_sdwa v181, v181, v184 dst_sel:BYTE_1 dst_unused:UNUSED_PAD src0_sel:DWORD src1_sel:BYTE_3
	v_sub_u16_sdwa v182, v182, v184 dst_sel:DWORD dst_unused:UNUSED_PAD src0_sel:WORD_1 src1_sel:WORD_1
	v_or_b32_sdwa v186, v186, v187 dst_sel:DWORD dst_unused:UNUSED_PAD src0_sel:BYTE_0 src1_sel:DWORD
	v_or_b32_sdwa v181, v182, v181 dst_sel:WORD_1 dst_unused:UNUSED_PAD src0_sel:BYTE_0 src1_sel:DWORD
	v_ashrrev_i32_e32 v184, s18, v185
	v_or_b32_sdwa v182, v186, v181 dst_sel:DWORD dst_unused:UNUSED_PAD src0_sel:WORD_0 src1_sel:DWORD
	v_ashrrev_i32_e32 v181, s21, v183
	v_lshlrev_b32_e32 v184, 2, v184
	v_and_b32_e32 v183, 0x3030303, v181
	v_bfe_u32 v181, v181, 24, 2
	v_and_b32_e32 v184, 0x4040404, v184
	v_sub_u16_e32 v185, v183, v184
	v_sub_u16_sdwa v186, v183, v184 dst_sel:BYTE_1 dst_unused:UNUSED_PAD src0_sel:BYTE_1 src1_sel:BYTE_1
	v_sub_u16_sdwa v181, v181, v184 dst_sel:BYTE_1 dst_unused:UNUSED_PAD src0_sel:DWORD src1_sel:BYTE_3
	v_sub_u16_sdwa v183, v183, v184 dst_sel:DWORD dst_unused:UNUSED_PAD src0_sel:WORD_1 src1_sel:WORD_1
	v_or_b32_sdwa v185, v185, v186 dst_sel:DWORD dst_unused:UNUSED_PAD src0_sel:BYTE_0 src1_sel:DWORD
	v_or_b32_sdwa v181, v183, v181 dst_sel:WORD_1 dst_unused:UNUSED_PAD src0_sel:BYTE_0 src1_sel:DWORD
	v_or_b32_sdwa v184, v185, v181 dst_sel:DWORD dst_unused:UNUSED_PAD src0_sel:WORD_0 src1_sel:DWORD
	v_add_u32_e32 v181, 0x1090, v205
	ds_read2_b32 v[185:186], v181 offset1:1
	ds_read2_b32 v[187:188], v189 offset0:4 offset1:5
	s_add_i32 s17, s17, 2
	s_waitcnt lgkmcnt(1)
	v_ashrrev_i32_e32 v181, s21, v185
	s_waitcnt lgkmcnt(0)
	v_ashrrev_i32_e32 v185, s18, v187
	v_lshlrev_b32_e32 v185, 2, v185
	v_and_b32_e32 v183, 0x3030303, v181
	v_bfe_u32 v181, v181, 24, 2
	v_and_b32_e32 v185, 0x4040404, v185
	v_sub_u16_e32 v187, v183, v185
	v_sub_u16_sdwa v190, v183, v185 dst_sel:BYTE_1 dst_unused:UNUSED_PAD src0_sel:BYTE_1 src1_sel:BYTE_1
	v_sub_u16_sdwa v181, v181, v185 dst_sel:BYTE_1 dst_unused:UNUSED_PAD src0_sel:DWORD src1_sel:BYTE_3
	v_sub_u16_sdwa v183, v183, v185 dst_sel:DWORD dst_unused:UNUSED_PAD src0_sel:WORD_1 src1_sel:WORD_1
	v_or_b32_sdwa v187, v187, v190 dst_sel:DWORD dst_unused:UNUSED_PAD src0_sel:BYTE_0 src1_sel:DWORD
	v_or_b32_sdwa v181, v183, v181 dst_sel:WORD_1 dst_unused:UNUSED_PAD src0_sel:BYTE_0 src1_sel:DWORD
	v_ashrrev_i32_e32 v185, s18, v188
	v_or_b32_sdwa v187, v187, v181 dst_sel:DWORD dst_unused:UNUSED_PAD src0_sel:WORD_0 src1_sel:DWORD
	v_ashrrev_i32_e32 v181, s21, v186
	v_lshlrev_b32_e32 v185, 2, v185
	v_and_b32_e32 v183, 0x3030303, v181
	v_bfe_u32 v181, v181, 24, 2
	v_and_b32_e32 v185, 0x4040404, v185
	v_sub_u16_e32 v186, v183, v185
	v_sub_u16_sdwa v188, v183, v185 dst_sel:BYTE_1 dst_unused:UNUSED_PAD src0_sel:BYTE_1 src1_sel:BYTE_1
	v_sub_u16_sdwa v181, v181, v185 dst_sel:BYTE_1 dst_unused:UNUSED_PAD src0_sel:DWORD src1_sel:BYTE_3
	v_sub_u16_sdwa v183, v183, v185 dst_sel:DWORD dst_unused:UNUSED_PAD src0_sel:WORD_1 src1_sel:WORD_1
	v_or_b32_sdwa v186, v186, v188 dst_sel:DWORD dst_unused:UNUSED_PAD src0_sel:BYTE_0 src1_sel:DWORD
	v_or_b32_sdwa v181, v183, v181 dst_sel:WORD_1 dst_unused:UNUSED_PAD src0_sel:BYTE_0 src1_sel:DWORD
	v_or_b32_sdwa v190, v186, v181 dst_sel:DWORD dst_unused:UNUSED_PAD src0_sel:WORD_0 src1_sel:DWORD
	v_add_u32_e32 v181, 0x1098, v205
	ds_read2_b32 v[185:186], v181 offset1:1
	ds_read2_b32 v[188:189], v189 offset0:6 offset1:7
	s_waitcnt lgkmcnt(1)
	v_ashrrev_i32_e32 v181, s21, v185
	s_waitcnt lgkmcnt(0)
	v_ashrrev_i32_e32 v185, s18, v188
	v_lshlrev_b32_e32 v185, 2, v185
	v_and_b32_e32 v183, 0x3030303, v181
	v_bfe_u32 v181, v181, 24, 2
	v_and_b32_e32 v185, 0x4040404, v185
	v_sub_u16_e32 v188, v183, v185
	v_sub_u16_sdwa v191, v183, v185 dst_sel:BYTE_1 dst_unused:UNUSED_PAD src0_sel:BYTE_1 src1_sel:BYTE_1
	v_sub_u16_sdwa v181, v181, v185 dst_sel:BYTE_1 dst_unused:UNUSED_PAD src0_sel:DWORD src1_sel:BYTE_3
	v_sub_u16_sdwa v183, v183, v185 dst_sel:DWORD dst_unused:UNUSED_PAD src0_sel:WORD_1 src1_sel:WORD_1
	v_or_b32_sdwa v188, v188, v191 dst_sel:DWORD dst_unused:UNUSED_PAD src0_sel:BYTE_0 src1_sel:DWORD
	v_or_b32_sdwa v181, v183, v181 dst_sel:WORD_1 dst_unused:UNUSED_PAD src0_sel:BYTE_0 src1_sel:DWORD
	v_ashrrev_i32_e32 v185, s18, v189
	v_or_b32_sdwa v194, v188, v181 dst_sel:DWORD dst_unused:UNUSED_PAD src0_sel:WORD_0 src1_sel:DWORD
	v_ashrrev_i32_e32 v181, s21, v186
	v_lshlrev_b32_e32 v185, 2, v185
	v_and_b32_e32 v183, 0x3030303, v181
	v_bfe_u32 v181, v181, 24, 2
	v_and_b32_e32 v185, 0x4040404, v185
	v_sub_u16_e32 v186, v183, v185
	v_sub_u16_sdwa v188, v183, v185 dst_sel:BYTE_1 dst_unused:UNUSED_PAD src0_sel:BYTE_1 src1_sel:BYTE_1
	v_sub_u16_sdwa v181, v181, v185 dst_sel:BYTE_1 dst_unused:UNUSED_PAD src0_sel:DWORD src1_sel:BYTE_3
	v_sub_u16_sdwa v183, v183, v185 dst_sel:DWORD dst_unused:UNUSED_PAD src0_sel:WORD_1 src1_sel:WORD_1
	v_or_b32_sdwa v181, v183, v181 dst_sel:WORD_1 dst_unused:UNUSED_PAD src0_sel:BYTE_0 src1_sel:DWORD
	v_dot4_i32_i8 v183, v179, v38, 0
	v_dot4_i32_i8 v183, v180, v39, v183
	;; [unrolled: 1-line block ×5, first 2 shown]
	v_or_b32_sdwa v186, v186, v188 dst_sel:DWORD dst_unused:UNUSED_PAD src0_sel:BYTE_0 src1_sel:DWORD
	v_dot4_i32_i8 v183, v190, v35, v183
	v_or_b32_sdwa v197, v186, v181 dst_sel:DWORD dst_unused:UNUSED_PAD src0_sel:WORD_0 src1_sel:DWORD
	v_dot4_i32_i8 v183, v194, v36, v183
	v_add3_u32 v181, s23, v166, v126
	v_dot4_i32_i8 v212, v197, v37, v183
	v_add_u32_e32 v183, 0x2100, v205
	ds_read_b32 v181, v181
	ds_read2_b32 v[185:186], v183 offset1:1
	ds_read2_b32 v[188:189], v199 offset1:1
	s_waitcnt lgkmcnt(1)
	v_ashrrev_i32_e32 v183, s21, v185
	s_waitcnt lgkmcnt(0)
	v_ashrrev_i32_e32 v188, s18, v188
	v_lshlrev_b32_e32 v188, 2, v188
	v_and_b32_e32 v185, 0x3030303, v183
	v_bfe_u32 v183, v183, 24, 2
	v_and_b32_e32 v188, 0x4040404, v188
	v_sub_u16_e32 v191, v185, v188
	v_sub_u16_sdwa v192, v185, v188 dst_sel:BYTE_1 dst_unused:UNUSED_PAD src0_sel:BYTE_1 src1_sel:BYTE_1
	v_sub_u16_sdwa v183, v183, v188 dst_sel:BYTE_1 dst_unused:UNUSED_PAD src0_sel:DWORD src1_sel:BYTE_3
	v_sub_u16_sdwa v185, v185, v188 dst_sel:DWORD dst_unused:UNUSED_PAD src0_sel:WORD_1 src1_sel:WORD_1
	v_ashrrev_i32_e32 v188, s18, v189
	v_or_b32_sdwa v183, v185, v183 dst_sel:WORD_1 dst_unused:UNUSED_PAD src0_sel:BYTE_0 src1_sel:DWORD
	v_ashrrev_i32_e32 v185, s21, v186
	v_lshlrev_b32_e32 v188, 2, v188
	v_or_b32_sdwa v191, v191, v192 dst_sel:DWORD dst_unused:UNUSED_PAD src0_sel:BYTE_0 src1_sel:DWORD
	v_and_b32_e32 v186, 0x3030303, v185
	v_bfe_u32 v185, v185, 24, 2
	v_and_b32_e32 v188, 0x4040404, v188
	v_or_b32_sdwa v183, v191, v183 dst_sel:DWORD dst_unused:UNUSED_PAD src0_sel:WORD_0 src1_sel:DWORD
	v_sub_u16_e32 v189, v186, v188
	v_sub_u16_sdwa v191, v186, v188 dst_sel:BYTE_1 dst_unused:UNUSED_PAD src0_sel:BYTE_1 src1_sel:BYTE_1
	v_sub_u16_sdwa v185, v185, v188 dst_sel:BYTE_1 dst_unused:UNUSED_PAD src0_sel:DWORD src1_sel:BYTE_3
	v_sub_u16_sdwa v186, v186, v188 dst_sel:DWORD dst_unused:UNUSED_PAD src0_sel:WORD_1 src1_sel:WORD_1
	v_or_b32_sdwa v189, v189, v191 dst_sel:DWORD dst_unused:UNUSED_PAD src0_sel:BYTE_0 src1_sel:DWORD
	v_or_b32_sdwa v185, v186, v185 dst_sel:WORD_1 dst_unused:UNUSED_PAD src0_sel:BYTE_0 src1_sel:DWORD
	v_add_u32_e32 v186, 0x2108, v205
	v_or_b32_sdwa v185, v189, v185 dst_sel:DWORD dst_unused:UNUSED_PAD src0_sel:WORD_0 src1_sel:DWORD
	ds_read2_b32 v[188:189], v186 offset1:1
	ds_read2_b32 v[191:192], v199 offset0:2 offset1:3
	s_waitcnt lgkmcnt(1)
	v_ashrrev_i32_e32 v186, s21, v188
	s_waitcnt lgkmcnt(0)
	v_ashrrev_i32_e32 v191, s18, v191
	v_lshlrev_b32_e32 v191, 2, v191
	v_and_b32_e32 v188, 0x3030303, v186
	v_bfe_u32 v186, v186, 24, 2
	v_and_b32_e32 v191, 0x4040404, v191
	v_sub_u16_e32 v193, v188, v191
	v_sub_u16_sdwa v195, v188, v191 dst_sel:BYTE_1 dst_unused:UNUSED_PAD src0_sel:BYTE_1 src1_sel:BYTE_1
	v_sub_u16_sdwa v186, v186, v191 dst_sel:BYTE_1 dst_unused:UNUSED_PAD src0_sel:DWORD src1_sel:BYTE_3
	v_sub_u16_sdwa v188, v188, v191 dst_sel:DWORD dst_unused:UNUSED_PAD src0_sel:WORD_1 src1_sel:WORD_1
	v_or_b32_sdwa v193, v193, v195 dst_sel:DWORD dst_unused:UNUSED_PAD src0_sel:BYTE_0 src1_sel:DWORD
	v_or_b32_sdwa v186, v188, v186 dst_sel:WORD_1 dst_unused:UNUSED_PAD src0_sel:BYTE_0 src1_sel:DWORD
	v_ashrrev_i32_e32 v191, s18, v192
	v_or_b32_sdwa v188, v193, v186 dst_sel:DWORD dst_unused:UNUSED_PAD src0_sel:WORD_0 src1_sel:DWORD
	v_ashrrev_i32_e32 v186, s21, v189
	v_lshlrev_b32_e32 v191, 2, v191
	v_and_b32_e32 v189, 0x3030303, v186
	v_bfe_u32 v186, v186, 24, 2
	v_and_b32_e32 v191, 0x4040404, v191
	v_sub_u16_e32 v192, v189, v191
	v_sub_u16_sdwa v193, v189, v191 dst_sel:BYTE_1 dst_unused:UNUSED_PAD src0_sel:BYTE_1 src1_sel:BYTE_1
	v_sub_u16_sdwa v186, v186, v191 dst_sel:BYTE_1 dst_unused:UNUSED_PAD src0_sel:DWORD src1_sel:BYTE_3
	v_sub_u16_sdwa v189, v189, v191 dst_sel:DWORD dst_unused:UNUSED_PAD src0_sel:WORD_1 src1_sel:WORD_1
	v_or_b32_sdwa v192, v192, v193 dst_sel:DWORD dst_unused:UNUSED_PAD src0_sel:BYTE_0 src1_sel:DWORD
	v_or_b32_sdwa v186, v189, v186 dst_sel:WORD_1 dst_unused:UNUSED_PAD src0_sel:BYTE_0 src1_sel:DWORD
	v_or_b32_sdwa v191, v192, v186 dst_sel:DWORD dst_unused:UNUSED_PAD src0_sel:WORD_0 src1_sel:DWORD
	v_add_u32_e32 v186, 0x2110, v205
	ds_read2_b32 v[192:193], v186 offset1:1
	ds_read2_b32 v[195:196], v199 offset0:4 offset1:5
	s_waitcnt lgkmcnt(1)
	v_ashrrev_i32_e32 v186, s21, v192
	s_waitcnt lgkmcnt(0)
	v_ashrrev_i32_e32 v192, s18, v195
	v_lshlrev_b32_e32 v192, 2, v192
	v_and_b32_e32 v189, 0x3030303, v186
	v_bfe_u32 v186, v186, 24, 2
	v_and_b32_e32 v192, 0x4040404, v192
	v_sub_u16_e32 v195, v189, v192
	v_sub_u16_sdwa v198, v189, v192 dst_sel:BYTE_1 dst_unused:UNUSED_PAD src0_sel:BYTE_1 src1_sel:BYTE_1
	v_sub_u16_sdwa v186, v186, v192 dst_sel:BYTE_1 dst_unused:UNUSED_PAD src0_sel:DWORD src1_sel:BYTE_3
	v_sub_u16_sdwa v189, v189, v192 dst_sel:DWORD dst_unused:UNUSED_PAD src0_sel:WORD_1 src1_sel:WORD_1
	v_or_b32_sdwa v195, v195, v198 dst_sel:DWORD dst_unused:UNUSED_PAD src0_sel:BYTE_0 src1_sel:DWORD
	v_or_b32_sdwa v186, v189, v186 dst_sel:WORD_1 dst_unused:UNUSED_PAD src0_sel:BYTE_0 src1_sel:DWORD
	v_ashrrev_i32_e32 v192, s18, v196
	v_or_b32_sdwa v195, v195, v186 dst_sel:DWORD dst_unused:UNUSED_PAD src0_sel:WORD_0 src1_sel:DWORD
	v_ashrrev_i32_e32 v186, s21, v193
	v_lshlrev_b32_e32 v192, 2, v192
	v_and_b32_e32 v189, 0x3030303, v186
	v_bfe_u32 v186, v186, 24, 2
	v_and_b32_e32 v192, 0x4040404, v192
	v_sub_u16_e32 v193, v189, v192
	v_sub_u16_sdwa v196, v189, v192 dst_sel:BYTE_1 dst_unused:UNUSED_PAD src0_sel:BYTE_1 src1_sel:BYTE_1
	v_sub_u16_sdwa v186, v186, v192 dst_sel:BYTE_1 dst_unused:UNUSED_PAD src0_sel:DWORD src1_sel:BYTE_3
	v_sub_u16_sdwa v189, v189, v192 dst_sel:DWORD dst_unused:UNUSED_PAD src0_sel:WORD_1 src1_sel:WORD_1
	v_or_b32_sdwa v193, v193, v196 dst_sel:DWORD dst_unused:UNUSED_PAD src0_sel:BYTE_0 src1_sel:DWORD
	v_or_b32_sdwa v186, v189, v186 dst_sel:WORD_1 dst_unused:UNUSED_PAD src0_sel:BYTE_0 src1_sel:DWORD
	v_or_b32_sdwa v198, v193, v186 dst_sel:DWORD dst_unused:UNUSED_PAD src0_sel:WORD_0 src1_sel:DWORD
	v_add_u32_e32 v186, 0x2118, v205
	ds_read2_b32 v[192:193], v186 offset1:1
	s_waitcnt lgkmcnt(0)
	v_ashrrev_i32_e32 v186, s21, v192
	v_ashrrev_i32_e32 v192, s18, v200
	v_lshlrev_b32_e32 v192, 2, v192
	v_and_b32_e32 v189, 0x3030303, v186
	v_bfe_u32 v186, v186, 24, 2
	v_and_b32_e32 v192, 0x4040404, v192
	v_sub_u16_e32 v196, v189, v192
	v_sub_u16_sdwa v199, v189, v192 dst_sel:BYTE_1 dst_unused:UNUSED_PAD src0_sel:BYTE_1 src1_sel:BYTE_1
	v_sub_u16_sdwa v186, v186, v192 dst_sel:BYTE_1 dst_unused:UNUSED_PAD src0_sel:DWORD src1_sel:BYTE_3
	v_sub_u16_sdwa v189, v189, v192 dst_sel:DWORD dst_unused:UNUSED_PAD src0_sel:WORD_1 src1_sel:WORD_1
	v_or_b32_sdwa v196, v196, v199 dst_sel:DWORD dst_unused:UNUSED_PAD src0_sel:BYTE_0 src1_sel:DWORD
	v_or_b32_sdwa v186, v189, v186 dst_sel:WORD_1 dst_unused:UNUSED_PAD src0_sel:BYTE_0 src1_sel:DWORD
	v_ashrrev_i32_e32 v192, s18, v201
	v_or_b32_sdwa v200, v196, v186 dst_sel:DWORD dst_unused:UNUSED_PAD src0_sel:WORD_0 src1_sel:DWORD
	v_ashrrev_i32_e32 v186, s21, v193
	v_lshlrev_b32_e32 v192, 2, v192
	v_and_b32_e32 v189, 0x3030303, v186
	v_bfe_u32 v186, v186, 24, 2
	v_and_b32_e32 v192, 0x4040404, v192
	v_sub_u16_e32 v193, v189, v192
	v_sub_u16_sdwa v196, v189, v192 dst_sel:BYTE_1 dst_unused:UNUSED_PAD src0_sel:BYTE_1 src1_sel:BYTE_1
	v_sub_u16_sdwa v186, v186, v192 dst_sel:BYTE_1 dst_unused:UNUSED_PAD src0_sel:DWORD src1_sel:BYTE_3
	v_sub_u16_sdwa v189, v189, v192 dst_sel:DWORD dst_unused:UNUSED_PAD src0_sel:WORD_1 src1_sel:WORD_1
	v_or_b32_sdwa v186, v189, v186 dst_sel:WORD_1 dst_unused:UNUSED_PAD src0_sel:BYTE_0 src1_sel:DWORD
	v_dot4_i32_i8 v189, v183, v38, 0
	v_dot4_i32_i8 v189, v185, v39, v189
	v_dot4_i32_i8 v189, v188, v40, v189
	v_dot4_i32_i8 v213, v191, v41, v189
	v_dot4_i32_i8 v189, v195, v34, 0
	v_or_b32_sdwa v193, v193, v196 dst_sel:DWORD dst_unused:UNUSED_PAD src0_sel:BYTE_0 src1_sel:DWORD
	v_dot4_i32_i8 v189, v198, v35, v189
	v_or_b32_sdwa v202, v193, v186 dst_sel:DWORD dst_unused:UNUSED_PAD src0_sel:WORD_0 src1_sel:DWORD
	v_dot4_i32_i8 v189, v200, v36, v189
	v_add3_u32 v186, s23, v168, v128
	v_dot4_i32_i8 v215, v202, v37, v189
	v_add_u32_e32 v189, 0x3180, v205
	ds_read_b32 v186, v186
	ds_read2_b32 v[192:193], v189 offset1:1
	v_ashrrev_i32_e32 v196, s18, v203
	v_lshlrev_b32_e32 v196, 2, v196
	v_and_b32_e32 v196, 0x4040404, v196
	s_waitcnt lgkmcnt(0)
	v_ashrrev_i32_e32 v189, s21, v192
	v_and_b32_e32 v192, 0x3030303, v189
	v_bfe_u32 v189, v189, 24, 2
	v_sub_u16_e32 v199, v192, v196
	v_sub_u16_sdwa v201, v192, v196 dst_sel:BYTE_1 dst_unused:UNUSED_PAD src0_sel:BYTE_1 src1_sel:BYTE_1
	v_sub_u16_sdwa v189, v189, v196 dst_sel:BYTE_1 dst_unused:UNUSED_PAD src0_sel:DWORD src1_sel:BYTE_3
	v_sub_u16_sdwa v192, v192, v196 dst_sel:DWORD dst_unused:UNUSED_PAD src0_sel:WORD_1 src1_sel:WORD_1
	v_ashrrev_i32_e32 v196, s18, v204
	v_or_b32_sdwa v189, v192, v189 dst_sel:WORD_1 dst_unused:UNUSED_PAD src0_sel:BYTE_0 src1_sel:DWORD
	v_ashrrev_i32_e32 v192, s21, v193
	v_lshlrev_b32_e32 v196, 2, v196
	v_or_b32_sdwa v199, v199, v201 dst_sel:DWORD dst_unused:UNUSED_PAD src0_sel:BYTE_0 src1_sel:DWORD
	v_and_b32_e32 v193, 0x3030303, v192
	v_bfe_u32 v192, v192, 24, 2
	v_and_b32_e32 v196, 0x4040404, v196
	v_or_b32_sdwa v189, v199, v189 dst_sel:DWORD dst_unused:UNUSED_PAD src0_sel:WORD_0 src1_sel:DWORD
	v_sub_u16_e32 v199, v193, v196
	v_sub_u16_sdwa v201, v193, v196 dst_sel:BYTE_1 dst_unused:UNUSED_PAD src0_sel:BYTE_1 src1_sel:BYTE_1
	v_sub_u16_sdwa v192, v192, v196 dst_sel:BYTE_1 dst_unused:UNUSED_PAD src0_sel:DWORD src1_sel:BYTE_3
	v_sub_u16_sdwa v193, v193, v196 dst_sel:DWORD dst_unused:UNUSED_PAD src0_sel:WORD_1 src1_sel:WORD_1
	v_or_b32_sdwa v192, v193, v192 dst_sel:WORD_1 dst_unused:UNUSED_PAD src0_sel:BYTE_0 src1_sel:DWORD
	v_add_u32_e32 v193, 0x3188, v205
	ds_read2_b32 v[203:204], v193 offset1:1
	v_or_b32_sdwa v199, v199, v201 dst_sel:DWORD dst_unused:UNUSED_PAD src0_sel:BYTE_0 src1_sel:DWORD
	v_or_b32_sdwa v192, v199, v192 dst_sel:DWORD dst_unused:UNUSED_PAD src0_sel:WORD_0 src1_sel:DWORD
	v_ashrrev_i32_e32 v199, s18, v216
	v_lshlrev_b32_e32 v199, 2, v199
	s_waitcnt lgkmcnt(0)
	v_ashrrev_i32_e32 v193, s21, v203
	v_and_b32_e32 v196, 0x3030303, v193
	v_bfe_u32 v193, v193, 24, 2
	v_and_b32_e32 v199, 0x4040404, v199
	v_sub_u16_e32 v201, v196, v199
	v_sub_u16_sdwa v203, v196, v199 dst_sel:BYTE_1 dst_unused:UNUSED_PAD src0_sel:BYTE_1 src1_sel:BYTE_1
	v_sub_u16_sdwa v193, v193, v199 dst_sel:BYTE_1 dst_unused:UNUSED_PAD src0_sel:DWORD src1_sel:BYTE_3
	v_sub_u16_sdwa v196, v196, v199 dst_sel:DWORD dst_unused:UNUSED_PAD src0_sel:WORD_1 src1_sel:WORD_1
	v_or_b32_sdwa v201, v201, v203 dst_sel:DWORD dst_unused:UNUSED_PAD src0_sel:BYTE_0 src1_sel:DWORD
	v_or_b32_sdwa v193, v196, v193 dst_sel:WORD_1 dst_unused:UNUSED_PAD src0_sel:BYTE_0 src1_sel:DWORD
	v_or_b32_sdwa v196, v201, v193 dst_sel:DWORD dst_unused:UNUSED_PAD src0_sel:WORD_0 src1_sel:DWORD
	v_ashrrev_i32_e32 v201, s18, v217
	v_ashrrev_i32_e32 v193, s21, v204
	v_lshlrev_b32_e32 v201, 2, v201
	v_and_b32_e32 v199, 0x3030303, v193
	v_bfe_u32 v193, v193, 24, 2
	v_and_b32_e32 v201, 0x4040404, v201
	v_sub_u16_e32 v203, v199, v201
	v_sub_u16_sdwa v204, v199, v201 dst_sel:BYTE_1 dst_unused:UNUSED_PAD src0_sel:BYTE_1 src1_sel:BYTE_1
	v_sub_u16_sdwa v193, v193, v201 dst_sel:BYTE_1 dst_unused:UNUSED_PAD src0_sel:DWORD src1_sel:BYTE_3
	v_sub_u16_sdwa v199, v199, v201 dst_sel:DWORD dst_unused:UNUSED_PAD src0_sel:WORD_1 src1_sel:WORD_1
	v_or_b32_sdwa v203, v203, v204 dst_sel:DWORD dst_unused:UNUSED_PAD src0_sel:BYTE_0 src1_sel:DWORD
	v_or_b32_sdwa v193, v199, v193 dst_sel:WORD_1 dst_unused:UNUSED_PAD src0_sel:BYTE_0 src1_sel:DWORD
	v_or_b32_sdwa v199, v203, v193 dst_sel:DWORD dst_unused:UNUSED_PAD src0_sel:WORD_0 src1_sel:DWORD
	v_add_u32_e32 v193, 0x3190, v205
	ds_read2_b32 v[203:204], v193 offset1:1
	ds_read2_b32 v[216:217], v218 offset0:4 offset1:5
	v_dot4_i32_i8 v38, v189, v38, 0
	v_dot4_i32_i8 v38, v192, v39, v38
	;; [unrolled: 1-line block ×3, first 2 shown]
	s_waitcnt lgkmcnt(1)
	v_ashrrev_i32_e32 v193, s21, v203
	s_waitcnt lgkmcnt(0)
	v_ashrrev_i32_e32 v203, s18, v216
	v_lshlrev_b32_e32 v203, 2, v203
	v_and_b32_e32 v201, 0x3030303, v193
	v_bfe_u32 v193, v193, 24, 2
	v_and_b32_e32 v203, 0x4040404, v203
	v_sub_u16_e32 v216, v201, v203
	v_sub_u16_sdwa v219, v201, v203 dst_sel:BYTE_1 dst_unused:UNUSED_PAD src0_sel:BYTE_1 src1_sel:BYTE_1
	v_sub_u16_sdwa v193, v193, v203 dst_sel:BYTE_1 dst_unused:UNUSED_PAD src0_sel:DWORD src1_sel:BYTE_3
	v_sub_u16_sdwa v201, v201, v203 dst_sel:DWORD dst_unused:UNUSED_PAD src0_sel:WORD_1 src1_sel:WORD_1
	v_or_b32_sdwa v216, v216, v219 dst_sel:DWORD dst_unused:UNUSED_PAD src0_sel:BYTE_0 src1_sel:DWORD
	v_or_b32_sdwa v193, v201, v193 dst_sel:WORD_1 dst_unused:UNUSED_PAD src0_sel:BYTE_0 src1_sel:DWORD
	v_or_b32_sdwa v201, v216, v193 dst_sel:DWORD dst_unused:UNUSED_PAD src0_sel:WORD_0 src1_sel:DWORD
	v_ashrrev_i32_e32 v193, s21, v204
	v_ashrrev_i32_e32 v204, s18, v217
	v_lshlrev_b32_e32 v204, 2, v204
	v_and_b32_e32 v203, 0x3030303, v193
	v_bfe_u32 v193, v193, 24, 2
	v_and_b32_e32 v204, 0x4040404, v204
	v_sub_u16_e32 v216, v203, v204
	v_sub_u16_sdwa v217, v203, v204 dst_sel:BYTE_1 dst_unused:UNUSED_PAD src0_sel:BYTE_1 src1_sel:BYTE_1
	v_sub_u16_sdwa v193, v193, v204 dst_sel:BYTE_1 dst_unused:UNUSED_PAD src0_sel:DWORD src1_sel:BYTE_3
	v_sub_u16_sdwa v203, v203, v204 dst_sel:DWORD dst_unused:UNUSED_PAD src0_sel:WORD_1 src1_sel:WORD_1
	v_or_b32_sdwa v216, v216, v217 dst_sel:DWORD dst_unused:UNUSED_PAD src0_sel:BYTE_0 src1_sel:DWORD
	v_or_b32_sdwa v193, v203, v193 dst_sel:WORD_1 dst_unused:UNUSED_PAD src0_sel:BYTE_0 src1_sel:DWORD
	v_or_b32_sdwa v203, v216, v193 dst_sel:DWORD dst_unused:UNUSED_PAD src0_sel:WORD_0 src1_sel:DWORD
	v_add_u32_e32 v193, 0x3198, v205
	ds_read2_b32 v[204:205], v193 offset1:1
	ds_read2_b32 v[216:217], v218 offset0:6 offset1:7
	v_dot4_i32_i8 v34, v201, v34, 0
	v_dot4_i32_i8 v34, v203, v35, v34
	;; [unrolled: 1-line block ×3, first 2 shown]
	s_waitcnt lgkmcnt(1)
	v_ashrrev_i32_e32 v193, s21, v204
	s_waitcnt lgkmcnt(0)
	v_ashrrev_i32_e32 v216, s18, v216
	v_lshlrev_b32_e32 v216, 2, v216
	v_and_b32_e32 v204, 0x3030303, v193
	v_bfe_u32 v193, v193, 24, 2
	v_and_b32_e32 v216, 0x4040404, v216
	v_sub_u16_e32 v218, v204, v216
	v_sub_u16_sdwa v219, v204, v216 dst_sel:BYTE_1 dst_unused:UNUSED_PAD src0_sel:BYTE_1 src1_sel:BYTE_1
	v_sub_u16_sdwa v193, v193, v216 dst_sel:BYTE_1 dst_unused:UNUSED_PAD src0_sel:DWORD src1_sel:BYTE_3
	v_sub_u16_sdwa v204, v204, v216 dst_sel:DWORD dst_unused:UNUSED_PAD src0_sel:WORD_1 src1_sel:WORD_1
	v_or_b32_sdwa v218, v218, v219 dst_sel:DWORD dst_unused:UNUSED_PAD src0_sel:BYTE_0 src1_sel:DWORD
	v_or_b32_sdwa v193, v204, v193 dst_sel:WORD_1 dst_unused:UNUSED_PAD src0_sel:BYTE_0 src1_sel:DWORD
	v_ashrrev_i32_e32 v216, s18, v217
	v_or_b32_sdwa v204, v218, v193 dst_sel:DWORD dst_unused:UNUSED_PAD src0_sel:WORD_0 src1_sel:DWORD
	v_ashrrev_i32_e32 v193, s21, v205
	v_lshlrev_b32_e32 v216, 2, v216
	v_and_b32_e32 v205, 0x3030303, v193
	v_bfe_u32 v193, v193, 24, 2
	v_and_b32_e32 v216, 0x4040404, v216
	v_sub_u16_e32 v217, v205, v216
	v_sub_u16_sdwa v218, v205, v216 dst_sel:BYTE_1 dst_unused:UNUSED_PAD src0_sel:BYTE_1 src1_sel:BYTE_1
	v_sub_u16_sdwa v193, v193, v216 dst_sel:BYTE_1 dst_unused:UNUSED_PAD src0_sel:DWORD src1_sel:BYTE_3
	v_sub_u16_sdwa v205, v205, v216 dst_sel:DWORD dst_unused:UNUSED_PAD src0_sel:WORD_1 src1_sel:WORD_1
	v_or_b32_sdwa v217, v217, v218 dst_sel:DWORD dst_unused:UNUSED_PAD src0_sel:BYTE_0 src1_sel:DWORD
	v_or_b32_sdwa v193, v205, v193 dst_sel:WORD_1 dst_unused:UNUSED_PAD src0_sel:BYTE_0 src1_sel:DWORD
	v_or_b32_sdwa v205, v217, v193 dst_sel:DWORD dst_unused:UNUSED_PAD src0_sel:WORD_0 src1_sel:DWORD
	v_add3_u32 v193, s23, v170, v130
	ds_read_b32 v193, v193
	ds_read_b128 v[217:220], v176 offset:1024
	ds_read_b128 v[221:224], v176 offset:1040
	v_dot4_i32_i8 v34, v204, v36, v34
	v_dot4_i32_i8 v34, v205, v37, v34
	v_add_u32_e32 v216, s20, v140
	s_waitcnt lgkmcnt(1)
	v_dot4_i32_i8 v35, v65, v217, 0
	v_dot4_i32_i8 v35, v66, v218, v35
	;; [unrolled: 1-line block ×4, first 2 shown]
	s_waitcnt lgkmcnt(0)
	v_dot4_i32_i8 v35, v69, v221, 0
	v_dot4_i32_i8 v35, v206, v222, v35
	;; [unrolled: 1-line block ×28, first 2 shown]
	ds_read2_b32 v[35:36], v177 offset0:64 offset1:96
	ds_read_b128 v[217:220], v176 offset:2048
	ds_read_b128 v[221:224], v176 offset:2064
	s_add_i32 s18, s18, 1
	s_cmp_lt_u32 s19, 22
	s_waitcnt lgkmcnt(1)
	v_dot4_i32_i8 v39, v65, v217, 0
	v_dot4_i32_i8 v39, v66, v218, v39
	;; [unrolled: 1-line block ×4, first 2 shown]
	s_waitcnt lgkmcnt(0)
	v_dot4_i32_i8 v39, v69, v221, 0
	v_dot4_i32_i8 v39, v206, v222, v39
	;; [unrolled: 1-line block ×28, first 2 shown]
	ds_read_b128 v[219:222], v176 offset:3072
	ds_read_b128 v[223:226], v176 offset:3088
	s_waitcnt lgkmcnt(1)
	v_dot4_i32_i8 v39, v65, v219, 0
	v_dot4_i32_i8 v39, v66, v220, v39
	;; [unrolled: 1-line block ×4, first 2 shown]
	s_waitcnt lgkmcnt(0)
	v_dot4_i32_i8 v39, v69, v223, 0
	v_dot4_i32_i8 v39, v206, v224, v39
	;; [unrolled: 1-line block ×4, first 2 shown]
	ds_read_u16 v39, v64 offset:33522
	s_waitcnt lgkmcnt(0)
	v_lshrrev_b16_e32 v64, 8, v39
	v_bfe_i32 v229, v64, 0, 8
	v_bfe_i32 v230, v39, 0, 8
	v_mul_lo_u32 v37, v37, v230
	v_mul_lo_u32 v41, v41, v229
	;; [unrolled: 1-line block ×4, first 2 shown]
	v_mad_u64_u32 v[217:218], s[20:21], v228, v230, v[41:42]
	v_mad_u64_u32 v[227:228], s[20:21], v227, v229, v[37:38]
                                        ; kill: def $vgpr41 killed $sgpr0 killed $exec
	v_mul_f32_e32 v37, v178, v62
	v_mad_u64_u32 v[40:41], s[20:21], v243, v229, v[40:41]
	v_cvt_f32_i32_e32 v209, v227
	v_mul_f32_e32 v41, v178, v36
	v_mad_u64_u32 v[63:64], s[20:21], v63, v230, v[39:40]
	v_cvt_f32_i32_e32 v40, v40
	v_fmac_f32_e32 v6, v37, v209
	v_dot4_i32_i8 v37, v179, v219, 0
	v_dot4_i32_i8 v37, v180, v220, v37
	;; [unrolled: 1-line block ×3, first 2 shown]
	v_fma_f32 v8, v41, v40, v8
	v_dot4_i32_i8 v40, v184, v222, v37
	v_dot4_i32_i8 v37, v187, v223, 0
	;; [unrolled: 1-line block ×5, first 2 shown]
	ds_read_u16 v37, v211 offset:34546
	v_cvt_f32_i32_e32 v63, v63
	v_cvt_f32_i32_e32 v217, v217
	v_mul_f32_e32 v39, v178, v61
	v_mul_f32_e32 v64, v178, v35
	v_fma_f32 v7, v39, v63, v7
	s_waitcnt lgkmcnt(0)
	v_lshrrev_b16_e32 v39, 8, v37
	v_fma_f32 v9, v64, v217, v9
	v_bfe_i32 v217, v39, 0, 8
	v_bfe_i32 v218, v37, 0, 8
	v_mul_lo_u32 v41, v238, v217
	v_mul_lo_u32 v40, v40, v218
	;; [unrolled: 1-line block ×4, first 2 shown]
	v_mad_u64_u32 v[63:64], s[20:21], v237, v218, v[41:42]
                                        ; kill: def $vgpr41 killed $sgpr0 killed $exec
	v_mul_f32_e32 v64, v181, v35
	v_mad_u64_u32 v[40:41], s[20:21], v209, v217, v[40:41]
	v_mul_f32_e32 v41, v181, v36
	v_cvt_f32_i32_e32 v63, v63
	v_mad_u64_u32 v[209:210], s[20:21], v210, v218, v[39:40]
	v_mad_u64_u32 v[210:211], s[20:21], v232, v217, v[37:38]
	v_mul_f32_e32 v37, v181, v62
	v_cvt_f32_i32_e32 v40, v40
	v_cvt_f32_i32_e32 v210, v210
	;; [unrolled: 1-line block ×3, first 2 shown]
	v_mul_f32_e32 v39, v181, v61
	v_fma_f32 v32, v41, v40, v32
	v_fmac_f32_e32 v30, v37, v210
	v_dot4_i32_i8 v37, v183, v219, 0
	v_dot4_i32_i8 v37, v185, v220, v37
	;; [unrolled: 1-line block ×7, first 2 shown]
	v_fma_f32 v31, v39, v209, v31
	v_dot4_i32_i8 v209, v202, v226, v37
	ds_read_u16 v37, v214 offset:35570
	v_fma_f32 v33, v64, v63, v33
	s_waitcnt lgkmcnt(0)
	v_lshrrev_b16_e32 v39, 8, v37
	v_bfe_i32 v211, v39, 0, 8
	v_bfe_i32 v212, v37, 0, 8
	v_mul_lo_u32 v41, v240, v211
	v_mul_lo_u32 v40, v40, v212
	v_mul_lo_u32 v37, v233, v212
	v_mul_lo_u32 v39, v215, v211
	v_mad_u64_u32 v[63:64], s[20:21], v239, v212, v[41:42]
                                        ; kill: def $vgpr41 killed $sgpr0 killed $exec
	v_mul_f32_e32 v64, v186, v35
	v_mad_u64_u32 v[40:41], s[20:21], v209, v211, v[40:41]
	v_cvt_f32_i32_e32 v63, v63
	v_mul_f32_e32 v41, v186, v36
	v_mad_u64_u32 v[209:210], s[20:21], v213, v212, v[39:40]
	v_mad_u64_u32 v[213:214], s[20:21], v234, v211, v[37:38]
	v_mul_f32_e32 v37, v186, v62
	v_cvt_f32_i32_e32 v209, v209
	v_cvt_f32_i32_e32 v210, v213
	v_mul_f32_e32 v39, v186, v61
	v_fma_f32 v29, v64, v63, v29
	v_fma_f32 v27, v39, v209, v27
	v_fmac_f32_e32 v26, v37, v210
	v_dot4_i32_i8 v37, v189, v219, 0
	v_dot4_i32_i8 v37, v192, v220, v37
	;; [unrolled: 1-line block ×8, first 2 shown]
	ds_read_u16 v37, v216 offset:36594
	v_cvt_f32_i32_e32 v40, v40
	v_mul_f32_e32 v36, v193, v36
	v_fma_f32 v28, v41, v40, v28
	s_waitcnt lgkmcnt(0)
	v_lshrrev_b16_e32 v40, 8, v37
	v_bfe_i32 v209, v40, 0, 8
	v_mul_lo_u32 v40, v242, v209
	v_bfe_i32 v210, v37, 0, 8
                                        ; kill: def $vgpr41 killed $sgpr0 killed $exec
	v_mul_lo_u32 v34, v34, v209
	v_mul_lo_u32 v39, v39, v210
	v_mad_u64_u32 v[40:41], s[20:21], v241, v210, v[40:41]
	v_mul_lo_u32 v37, v235, v210
	v_mad_u64_u32 v[63:64], s[20:21], v63, v209, v[39:40]
	v_mad_u64_u32 v[38:39], s[20:21], v38, v210, v[34:35]
	v_cvt_f32_i32_e32 v41, v63
	v_cvt_f32_i32_e32 v40, v40
	v_mad_u64_u32 v[213:214], s[20:21], v236, v209, v[37:38]
	v_cvt_f32_i32_e32 v38, v38
	v_mul_f32_e32 v34, v193, v62
	v_cvt_f32_i32_e32 v39, v213
	v_mul_f32_e32 v37, v193, v61
	v_mul_f32_e32 v35, v193, v35
	v_fma_f32 v25, v35, v40, v25
	v_fma_f32 v24, v36, v41, v24
	;; [unrolled: 1-line block ×3, first 2 shown]
	v_fmac_f32_e32 v22, v34, v39
	ds_read2_b32 v[61:62], v177 offset0:128 offset1:160
	ds_read_b128 v[34:37], v176 offset:4096
	ds_read_b128 v[38:41], v176 offset:4112
	s_waitcnt lgkmcnt(1)
	v_dot4_i32_i8 v63, v65, v34, 0
	v_dot4_i32_i8 v63, v66, v35, v63
	;; [unrolled: 1-line block ×4, first 2 shown]
	s_waitcnt lgkmcnt(0)
	v_dot4_i32_i8 v63, v69, v38, 0
	v_dot4_i32_i8 v63, v206, v39, v63
	;; [unrolled: 1-line block ×28, first 2 shown]
	ds_read_b128 v[34:37], v176 offset:5120
	ds_read_b128 v[38:41], v176 offset:5136
	s_waitcnt lgkmcnt(1)
	v_dot4_i32_i8 v63, v65, v34, 0
	v_dot4_i32_i8 v63, v66, v35, v63
	;; [unrolled: 1-line block ×4, first 2 shown]
	s_waitcnt lgkmcnt(0)
	v_dot4_i32_i8 v63, v69, v38, 0
	v_dot4_i32_i8 v63, v206, v39, v63
	;; [unrolled: 1-line block ×28, first 2 shown]
	ds_read2_b32 v[63:64], v177 offset0:192 offset1:224
	ds_read_b128 v[34:37], v176 offset:6144
	ds_read_b128 v[38:41], v176 offset:6160
	v_add_u32_e32 v177, 4, v177
	s_waitcnt lgkmcnt(1)
	v_dot4_i32_i8 v225, v65, v34, 0
	v_dot4_i32_i8 v225, v66, v35, v225
	;; [unrolled: 1-line block ×4, first 2 shown]
	s_waitcnt lgkmcnt(0)
	v_dot4_i32_i8 v225, v69, v38, 0
	v_dot4_i32_i8 v225, v206, v39, v225
	;; [unrolled: 1-line block ×28, first 2 shown]
	ds_read_b128 v[38:41], v176 offset:7168
	ds_read_b128 v[34:37], v176 offset:7184
	v_add_u32_e32 v176, 32, v176
	s_waitcnt lgkmcnt(1)
	v_dot4_i32_i8 v65, v65, v38, 0
	v_dot4_i32_i8 v65, v66, v39, v65
	;; [unrolled: 1-line block ×4, first 2 shown]
	s_waitcnt lgkmcnt(0)
	v_dot4_i32_i8 v66, v69, v34, 0
	v_mul_lo_u32 v67, v65, v230
	v_mul_lo_u32 v65, v240, v229
	v_dot4_i32_i8 v66, v206, v35, v66
	v_mul_lo_u32 v68, v236, v229
	v_dot4_i32_i8 v66, v207, v36, v66
	;; [unrolled: 2-line block ×3, first 2 shown]
                                        ; kill: def $vgpr66 killed $sgpr0 killed $exec
	v_mul_f32_e32 v207, v178, v64
	v_mad_u64_u32 v[65:66], s[20:21], v239, v230, v[65:66]
	v_mad_u64_u32 v[66:67], s[20:21], v206, v229, v[67:68]
	;; [unrolled: 1-line block ×4, first 2 shown]
	v_cvt_f32_i32_e32 v65, v65
	v_mul_f32_e32 v69, v178, v62
	v_cvt_f32_i32_e32 v68, v68
	v_mul_f32_e32 v206, v178, v61
	v_mul_f32_e32 v178, v178, v63
	v_cvt_f32_i32_e32 v67, v67
	v_fma_f32 v21, v178, v65, v21
	v_fmac_f32_e32 v18, v69, v68
	v_dot4_i32_i8 v65, v179, v38, 0
	v_mul_lo_u32 v68, v234, v217
	v_cvt_f32_i32_e32 v66, v66
	v_dot4_i32_i8 v65, v180, v39, v65
	v_dot4_i32_i8 v65, v182, v40, v65
	v_fma_f32 v19, v206, v67, v19
	v_dot4_i32_i8 v67, v184, v41, v65
                                        ; kill: def $vgpr69 killed $sgpr0 killed $exec
	v_dot4_i32_i8 v65, v187, v34, 0
	v_mul_lo_u32 v67, v67, v218
	v_mad_u64_u32 v[68:69], s[20:21], v233, v218, v[68:69]
	v_fma_f32 v20, v207, v66, v20
	v_dot4_i32_i8 v65, v190, v35, v65
	v_mul_lo_u32 v66, v224, v217
	v_dot4_i32_i8 v65, v194, v36, v65
	v_dot4_i32_i8 v178, v197, v37, v65
	v_mad_u64_u32 v[178:179], s[20:21], v178, v217, v[67:68]
                                        ; kill: def $vgpr67 killed $sgpr0 killed $exec
	v_mul_lo_u32 v65, v228, v218
	v_mad_u64_u32 v[66:67], s[20:21], v223, v218, v[66:67]
	v_mul_f32_e32 v67, v181, v61
	v_cvt_f32_i32_e32 v178, v178
	v_mad_u64_u32 v[179:180], s[20:21], v227, v217, v[65:66]
	v_mul_f32_e32 v65, v181, v62
	v_cvt_f32_i32_e32 v66, v66
	v_cvt_f32_i32_e32 v179, v179
	;; [unrolled: 1-line block ×3, first 2 shown]
	v_mul_f32_e32 v69, v181, v64
	v_fma_f32 v15, v67, v66, v15
	v_fmac_f32_e32 v14, v65, v179
	v_dot4_i32_i8 v65, v183, v38, 0
	v_dot4_i32_i8 v65, v185, v39, v65
	;; [unrolled: 1-line block ×8, first 2 shown]
	v_mul_f32_e32 v180, v181, v63
	v_dot4_i32_i8 v65, v200, v36, v65
	v_dot4_i32_i8 v38, v189, v38, 0
	;; [unrolled: 1-line block ×3, first 2 shown]
	v_fma_f32 v17, v180, v68, v17
	v_fma_f32 v16, v69, v178, v16
	v_dot4_i32_i8 v178, v202, v37, v65
	v_mul_lo_u32 v68, v232, v211
	v_dot4_i32_i8 v38, v192, v39, v38
	v_dot4_i32_i8 v39, v205, v37, v34
	v_mul_lo_u32 v37, v226, v209
	v_dot4_i32_i8 v38, v196, v40, v38
	v_dot4_i32_i8 v38, v199, v41, v38
                                        ; kill: def $vgpr69 killed $sgpr0 killed $exec
	v_mul_lo_u32 v36, v38, v210
                                        ; kill: def $vgpr38 killed $sgpr0 killed $exec
	v_mul_lo_u32 v67, v67, v212
	v_mad_u64_u32 v[68:69], s[20:21], v231, v212, v[68:69]
	v_mad_u64_u32 v[37:38], s[20:21], v225, v210, v[37:38]
	v_mul_lo_u32 v66, v220, v211
	v_mul_lo_u32 v35, v214, v209
	v_mad_u64_u32 v[178:179], s[20:21], v178, v211, v[67:68]
                                        ; kill: def $vgpr67 killed $sgpr0 killed $exec
	v_mad_u64_u32 v[38:39], s[20:21], v39, v209, v[36:37]
                                        ; kill: def $vgpr36 killed $sgpr0 killed $exec
	v_mul_lo_u32 v65, v222, v212
	v_mad_u64_u32 v[66:67], s[20:21], v219, v212, v[66:67]
	v_mul_lo_u32 v34, v216, v210
	v_mad_u64_u32 v[35:36], s[20:21], v213, v210, v[35:36]
	v_mad_u64_u32 v[179:180], s[20:21], v221, v211, v[65:66]
	;; [unrolled: 1-line block ×3, first 2 shown]
	v_cvt_f32_i32_e32 v179, v179
	v_cvt_f32_i32_e32 v66, v66
	;; [unrolled: 1-line block ×8, first 2 shown]
	v_mul_f32_e32 v65, v186, v62
	v_mul_f32_e32 v67, v186, v61
	;; [unrolled: 1-line block ×8, first 2 shown]
	v_fma_f32 v13, v180, v68, v13
	v_fma_f32 v12, v69, v178, v12
	v_fma_f32 v11, v67, v66, v11
	v_fmac_f32_e32 v10, v65, v179
	v_fma_f32 v5, v41, v37, v5
	v_fma_f32 v4, v40, v38, v4
	;; [unrolled: 1-line block ×3, first 2 shown]
	v_fmac_f32_e32 v2, v34, v39
	s_mov_b32 s20, s19
	s_cbranch_scc1 .LBB130_12
; %bb.13:                               ;   in Loop: Header=BB130_6 Depth=1
	v_add_u32_e32 v69, s16, v133
	v_add_u32_e32 v67, 12, v174
	;; [unrolled: 1-line block ×3, first 2 shown]
	v_mad_u64_u32 v[67:68], s[16:17], v67, 36, s[2:3]
	v_mad_i64_i32 v[34:35], s[16:17], v34, 36, v[59:60]
	v_add_u32_e32 v36, v69, v116
	v_mad_i64_i32 v[36:37], s[16:17], v36, 36, v[59:60]
	v_add_u32_e32 v38, v69, v117
	v_add_u32_e32 v40, v69, v118
	v_mad_i64_i32 v[38:39], s[16:17], v38, 36, v[59:60]
	v_mad_i64_i32 v[40:41], s[16:17], v40, 36, v[59:60]
	v_add_u32_e32 v61, v69, v119
	v_add_u32_e32 v63, v69, v120
	;; [unrolled: 1-line block ×4, first 2 shown]
	s_barrier
	v_mad_i64_i32 v[61:62], s[16:17], v61, 36, v[59:60]
	v_mad_i64_i32 v[63:64], s[16:17], v63, 36, v[59:60]
	;; [unrolled: 1-line block ×4, first 2 shown]
	global_load_dword v67, v[67:68], off
	s_nop 0
	global_load_dword v34, v[34:35], off offset:4
	s_nop 0
	global_load_dword v35, v[36:37], off offset:4
	;; [unrolled: 2-line block ×3, first 2 shown]
	global_load_dword v37, v[40:41], off offset:4
	s_nop 0
	global_load_dword v38, v[61:62], off offset:4
	global_load_dword v39, v[63:64], off offset:4
	;; [unrolled: 1-line block ×4, first 2 shown]
	s_mov_b32 s16, 24
	s_mov_b32 s19, 22
	;; [unrolled: 1-line block ×3, first 2 shown]
	v_mov_b32_e32 v174, v143
	s_waitcnt vmcnt(8)
	v_cvt_f32_f16_e32 v61, v67
	s_waitcnt vmcnt(7)
	ds_write_b32 v175, v34
	s_waitcnt vmcnt(6)
	ds_write_b32 v158, v35
	;; [unrolled: 2-line block ×8, first 2 shown]
	ds_write_b32 v113, v61
	v_mov_b32_e32 v175, v142
	s_waitcnt lgkmcnt(0)
	s_barrier
.LBB130_14:                             ;   Parent Loop BB130_6 Depth=1
                                        ; =>  This Inner Loop Header: Depth=2
	s_add_i32 s18, s19, 2
	s_lshr_b32 s23, s18, 4
	s_and_b32 s21, s18, 0x3ffffff8
	v_lshl_add_u32 v203, s21, 2, v123
	s_lshl_b32 s21, s23, 5
	s_addk_i32 s21, 0x4200
	v_add3_u32 v178, s21, v171, v124
	ds_read2_b32 v[61:62], v175 offset1:32
	ds_read_b128 v[38:41], v174
	ds_read_b128 v[34:37], v174 offset:16
	ds_read2_b32 v[65:66], v178 offset1:1
	ds_read2_b32 v[63:64], v203 offset1:1
	v_add3_u32 v197, s21, v167, v127
	s_sub_i32 s20, s19, 22
	ds_read2_b32 v[198:199], v197 offset0:6 offset1:7
	s_waitcnt lgkmcnt(2)
	v_ashrrev_i32_e32 v65, s17, v65
	s_waitcnt lgkmcnt(1)
	v_ashrrev_i32_e32 v63, s20, v63
	v_lshlrev_b32_e32 v65, 2, v65
	v_and_b32_e32 v67, 0x3030303, v63
	v_bfe_u32 v63, v63, 24, 2
	v_and_b32_e32 v65, 0x4040404, v65
	v_sub_u16_e32 v68, v67, v65
	v_sub_u16_sdwa v69, v67, v65 dst_sel:BYTE_1 dst_unused:UNUSED_PAD src0_sel:BYTE_1 src1_sel:BYTE_1
	v_sub_u16_sdwa v63, v63, v65 dst_sel:BYTE_1 dst_unused:UNUSED_PAD src0_sel:DWORD src1_sel:BYTE_3
	v_sub_u16_sdwa v65, v67, v65 dst_sel:DWORD dst_unused:UNUSED_PAD src0_sel:WORD_1 src1_sel:WORD_1
	v_or_b32_sdwa v68, v68, v69 dst_sel:DWORD dst_unused:UNUSED_PAD src0_sel:BYTE_0 src1_sel:DWORD
	v_or_b32_sdwa v63, v65, v63 dst_sel:WORD_1 dst_unused:UNUSED_PAD src0_sel:BYTE_0 src1_sel:DWORD
	v_ashrrev_i32_e32 v66, s17, v66
	v_or_b32_sdwa v65, v68, v63 dst_sel:DWORD dst_unused:UNUSED_PAD src0_sel:WORD_0 src1_sel:DWORD
	v_ashrrev_i32_e32 v63, s20, v64
	v_lshlrev_b32_e32 v66, 2, v66
	v_and_b32_e32 v64, 0x3030303, v63
	v_bfe_u32 v63, v63, 24, 2
	v_and_b32_e32 v66, 0x4040404, v66
	v_sub_u16_e32 v67, v64, v66
	v_sub_u16_sdwa v68, v64, v66 dst_sel:BYTE_1 dst_unused:UNUSED_PAD src0_sel:BYTE_1 src1_sel:BYTE_1
	v_sub_u16_sdwa v63, v63, v66 dst_sel:BYTE_1 dst_unused:UNUSED_PAD src0_sel:DWORD src1_sel:BYTE_3
	v_sub_u16_sdwa v64, v64, v66 dst_sel:DWORD dst_unused:UNUSED_PAD src0_sel:WORD_1 src1_sel:WORD_1
	v_or_b32_sdwa v67, v67, v68 dst_sel:DWORD dst_unused:UNUSED_PAD src0_sel:BYTE_0 src1_sel:DWORD
	v_or_b32_sdwa v63, v64, v63 dst_sel:WORD_1 dst_unused:UNUSED_PAD src0_sel:BYTE_0 src1_sel:DWORD
	v_or_b32_sdwa v66, v67, v63 dst_sel:DWORD dst_unused:UNUSED_PAD src0_sel:WORD_0 src1_sel:DWORD
	ds_read2_b32 v[63:64], v203 offset0:2 offset1:3
	ds_read2_b32 v[67:68], v178 offset0:2 offset1:3
	s_and_b32 s22, s16, -16
	s_add_i32 s19, s19, s22
	s_lshl_b32 s22, s23, 2
	s_waitcnt lgkmcnt(1)
	v_ashrrev_i32_e32 v63, s20, v63
	s_waitcnt lgkmcnt(0)
	v_ashrrev_i32_e32 v67, s17, v67
	v_lshlrev_b32_e32 v67, 2, v67
	v_and_b32_e32 v69, 0x3030303, v63
	v_bfe_u32 v63, v63, 24, 2
	v_and_b32_e32 v67, 0x4040404, v67
	v_sub_u16_e32 v176, v69, v67
	v_sub_u16_sdwa v177, v69, v67 dst_sel:BYTE_1 dst_unused:UNUSED_PAD src0_sel:BYTE_1 src1_sel:BYTE_1
	v_sub_u16_sdwa v63, v63, v67 dst_sel:BYTE_1 dst_unused:UNUSED_PAD src0_sel:DWORD src1_sel:BYTE_3
	v_sub_u16_sdwa v67, v69, v67 dst_sel:DWORD dst_unused:UNUSED_PAD src0_sel:WORD_1 src1_sel:WORD_1
	v_or_b32_sdwa v176, v176, v177 dst_sel:DWORD dst_unused:UNUSED_PAD src0_sel:BYTE_0 src1_sel:DWORD
	v_or_b32_sdwa v63, v67, v63 dst_sel:WORD_1 dst_unused:UNUSED_PAD src0_sel:BYTE_0 src1_sel:DWORD
	v_ashrrev_i32_e32 v68, s17, v68
	v_or_b32_sdwa v67, v176, v63 dst_sel:DWORD dst_unused:UNUSED_PAD src0_sel:WORD_0 src1_sel:DWORD
	v_ashrrev_i32_e32 v63, s20, v64
	v_lshlrev_b32_e32 v68, 2, v68
	v_and_b32_e32 v64, 0x3030303, v63
	v_bfe_u32 v63, v63, 24, 2
	v_and_b32_e32 v68, 0x4040404, v68
	v_sub_u16_e32 v69, v64, v68
	v_sub_u16_sdwa v176, v64, v68 dst_sel:BYTE_1 dst_unused:UNUSED_PAD src0_sel:BYTE_1 src1_sel:BYTE_1
	v_sub_u16_sdwa v63, v63, v68 dst_sel:BYTE_1 dst_unused:UNUSED_PAD src0_sel:DWORD src1_sel:BYTE_3
	v_sub_u16_sdwa v64, v64, v68 dst_sel:DWORD dst_unused:UNUSED_PAD src0_sel:WORD_1 src1_sel:WORD_1
	v_or_b32_sdwa v69, v69, v176 dst_sel:DWORD dst_unused:UNUSED_PAD src0_sel:BYTE_0 src1_sel:DWORD
	v_or_b32_sdwa v63, v64, v63 dst_sel:WORD_1 dst_unused:UNUSED_PAD src0_sel:BYTE_0 src1_sel:DWORD
	v_or_b32_sdwa v68, v69, v63 dst_sel:DWORD dst_unused:UNUSED_PAD src0_sel:WORD_0 src1_sel:DWORD
	ds_read2_b32 v[63:64], v203 offset0:4 offset1:5
	ds_read2_b32 v[176:177], v178 offset0:4 offset1:5
	s_add_i32 s22, s22, 0x9380
	v_add3_u32 v187, s21, v165, v125
	v_add3_u32 v216, s21, v169, v129
	s_waitcnt lgkmcnt(1)
	v_ashrrev_i32_e32 v63, s20, v63
	s_waitcnt lgkmcnt(0)
	v_ashrrev_i32_e32 v176, s17, v176
	v_lshlrev_b32_e32 v176, 2, v176
	v_and_b32_e32 v69, 0x3030303, v63
	v_bfe_u32 v63, v63, 24, 2
	v_and_b32_e32 v176, 0x4040404, v176
	v_sub_u16_e32 v179, v69, v176
	v_sub_u16_sdwa v180, v69, v176 dst_sel:BYTE_1 dst_unused:UNUSED_PAD src0_sel:BYTE_1 src1_sel:BYTE_1
	v_sub_u16_sdwa v63, v63, v176 dst_sel:BYTE_1 dst_unused:UNUSED_PAD src0_sel:DWORD src1_sel:BYTE_3
	v_sub_u16_sdwa v69, v69, v176 dst_sel:DWORD dst_unused:UNUSED_PAD src0_sel:WORD_1 src1_sel:WORD_1
	v_or_b32_sdwa v179, v179, v180 dst_sel:DWORD dst_unused:UNUSED_PAD src0_sel:BYTE_0 src1_sel:DWORD
	v_or_b32_sdwa v63, v69, v63 dst_sel:WORD_1 dst_unused:UNUSED_PAD src0_sel:BYTE_0 src1_sel:DWORD
	v_ashrrev_i32_e32 v176, s17, v177
	v_or_b32_sdwa v69, v179, v63 dst_sel:DWORD dst_unused:UNUSED_PAD src0_sel:WORD_0 src1_sel:DWORD
	v_ashrrev_i32_e32 v63, s20, v64
	v_lshlrev_b32_e32 v176, 2, v176
	v_and_b32_e32 v64, 0x3030303, v63
	v_bfe_u32 v63, v63, 24, 2
	v_and_b32_e32 v176, 0x4040404, v176
	v_sub_u16_e32 v177, v64, v176
	v_sub_u16_sdwa v179, v64, v176 dst_sel:BYTE_1 dst_unused:UNUSED_PAD src0_sel:BYTE_1 src1_sel:BYTE_1
	v_sub_u16_sdwa v63, v63, v176 dst_sel:BYTE_1 dst_unused:UNUSED_PAD src0_sel:DWORD src1_sel:BYTE_3
	v_sub_u16_sdwa v64, v64, v176 dst_sel:DWORD dst_unused:UNUSED_PAD src0_sel:WORD_1 src1_sel:WORD_1
	v_or_b32_sdwa v177, v177, v179 dst_sel:DWORD dst_unused:UNUSED_PAD src0_sel:BYTE_0 src1_sel:DWORD
	v_or_b32_sdwa v63, v64, v63 dst_sel:WORD_1 dst_unused:UNUSED_PAD src0_sel:BYTE_0 src1_sel:DWORD
	v_or_b32_sdwa v204, v177, v63 dst_sel:DWORD dst_unused:UNUSED_PAD src0_sel:WORD_0 src1_sel:DWORD
	ds_read2_b32 v[63:64], v203 offset0:6 offset1:7
	ds_read2_b32 v[176:177], v178 offset0:6 offset1:7
	;; [unrolled: 1-line block ×3, first 2 shown]
	v_add_u32_e32 v209, s19, v136
	v_add_u32_e32 v212, s19, v138
	s_waitcnt lgkmcnt(2)
	v_ashrrev_i32_e32 v63, s20, v63
	s_waitcnt lgkmcnt(1)
	v_ashrrev_i32_e32 v176, s17, v176
	v_lshlrev_b32_e32 v176, 2, v176
	v_and_b32_e32 v179, 0x3030303, v63
	v_bfe_u32 v63, v63, 24, 2
	v_and_b32_e32 v176, 0x4040404, v176
	v_sub_u16_e32 v178, v179, v176
	v_sub_u16_sdwa v180, v179, v176 dst_sel:BYTE_1 dst_unused:UNUSED_PAD src0_sel:BYTE_1 src1_sel:BYTE_1
	v_sub_u16_sdwa v63, v63, v176 dst_sel:BYTE_1 dst_unused:UNUSED_PAD src0_sel:DWORD src1_sel:BYTE_3
	v_sub_u16_sdwa v176, v179, v176 dst_sel:DWORD dst_unused:UNUSED_PAD src0_sel:WORD_1 src1_sel:WORD_1
	v_or_b32_sdwa v178, v178, v180 dst_sel:DWORD dst_unused:UNUSED_PAD src0_sel:BYTE_0 src1_sel:DWORD
	v_or_b32_sdwa v63, v176, v63 dst_sel:WORD_1 dst_unused:UNUSED_PAD src0_sel:BYTE_0 src1_sel:DWORD
	v_ashrrev_i32_e32 v176, s17, v177
	v_or_b32_sdwa v205, v178, v63 dst_sel:DWORD dst_unused:UNUSED_PAD src0_sel:WORD_0 src1_sel:DWORD
	v_ashrrev_i32_e32 v63, s20, v64
	v_lshlrev_b32_e32 v176, 2, v176
	v_and_b32_e32 v64, 0x3030303, v63
	v_bfe_u32 v63, v63, 24, 2
	v_and_b32_e32 v176, 0x4040404, v176
	v_sub_u16_e32 v177, v64, v176
	v_sub_u16_sdwa v178, v64, v176 dst_sel:BYTE_1 dst_unused:UNUSED_PAD src0_sel:BYTE_1 src1_sel:BYTE_1
	v_sub_u16_sdwa v63, v63, v176 dst_sel:BYTE_1 dst_unused:UNUSED_PAD src0_sel:DWORD src1_sel:BYTE_3
	v_sub_u16_sdwa v64, v64, v176 dst_sel:DWORD dst_unused:UNUSED_PAD src0_sel:WORD_1 src1_sel:WORD_1
	v_or_b32_sdwa v177, v177, v178 dst_sel:DWORD dst_unused:UNUSED_PAD src0_sel:BYTE_0 src1_sel:DWORD
	v_or_b32_sdwa v63, v64, v63 dst_sel:WORD_1 dst_unused:UNUSED_PAD src0_sel:BYTE_0 src1_sel:DWORD
	v_or_b32_sdwa v206, v177, v63 dst_sel:DWORD dst_unused:UNUSED_PAD src0_sel:WORD_0 src1_sel:DWORD
	v_dot4_i32_i8 v177, v69, v34, 0
	v_dot4_i32_i8 v177, v204, v35, v177
	;; [unrolled: 1-line block ×3, first 2 shown]
	v_add3_u32 v63, s22, v172, v173
	v_dot4_i32_i8 v207, v206, v37, v177
	v_add_u32_e32 v177, 0x1080, v203
	ds_read_b32 v176, v63
	ds_read2_b32 v[177:178], v177 offset1:1
	ds_read2_b32 v[179:180], v187 offset1:1
	v_dot4_i32_i8 v63, v65, v38, 0
	v_dot4_i32_i8 v63, v66, v39, v63
	;; [unrolled: 1-line block ×3, first 2 shown]
	s_waitcnt lgkmcnt(1)
	v_ashrrev_i32_e32 v177, s20, v177
	s_waitcnt lgkmcnt(0)
	v_ashrrev_i32_e32 v179, s17, v179
	v_lshlrev_b32_e32 v179, 2, v179
	v_and_b32_e32 v181, 0x3030303, v177
	v_bfe_u32 v177, v177, 24, 2
	v_and_b32_e32 v179, 0x4040404, v179
	v_ashrrev_i32_e32 v180, s17, v180
	v_sub_u16_e32 v182, v181, v179
	v_sub_u16_sdwa v183, v181, v179 dst_sel:BYTE_1 dst_unused:UNUSED_PAD src0_sel:BYTE_1 src1_sel:BYTE_1
	v_sub_u16_sdwa v177, v177, v179 dst_sel:BYTE_1 dst_unused:UNUSED_PAD src0_sel:DWORD src1_sel:BYTE_3
	v_sub_u16_sdwa v179, v181, v179 dst_sel:DWORD dst_unused:UNUSED_PAD src0_sel:WORD_1 src1_sel:WORD_1
	v_ashrrev_i32_e32 v178, s20, v178
	v_lshlrev_b32_e32 v180, 2, v180
	v_or_b32_sdwa v182, v182, v183 dst_sel:DWORD dst_unused:UNUSED_PAD src0_sel:BYTE_0 src1_sel:DWORD
	v_or_b32_sdwa v177, v179, v177 dst_sel:WORD_1 dst_unused:UNUSED_PAD src0_sel:BYTE_0 src1_sel:DWORD
	v_and_b32_e32 v179, 0x3030303, v178
	v_bfe_u32 v178, v178, 24, 2
	v_and_b32_e32 v180, 0x4040404, v180
	v_or_b32_sdwa v177, v182, v177 dst_sel:DWORD dst_unused:UNUSED_PAD src0_sel:WORD_0 src1_sel:DWORD
	v_sub_u16_e32 v181, v179, v180
	v_sub_u16_sdwa v182, v179, v180 dst_sel:BYTE_1 dst_unused:UNUSED_PAD src0_sel:BYTE_1 src1_sel:BYTE_1
	v_sub_u16_sdwa v178, v178, v180 dst_sel:BYTE_1 dst_unused:UNUSED_PAD src0_sel:DWORD src1_sel:BYTE_3
	v_sub_u16_sdwa v179, v179, v180 dst_sel:DWORD dst_unused:UNUSED_PAD src0_sel:WORD_1 src1_sel:WORD_1
	v_or_b32_sdwa v181, v181, v182 dst_sel:DWORD dst_unused:UNUSED_PAD src0_sel:BYTE_0 src1_sel:DWORD
	v_or_b32_sdwa v178, v179, v178 dst_sel:WORD_1 dst_unused:UNUSED_PAD src0_sel:BYTE_0 src1_sel:DWORD
	v_add_u32_e32 v179, 0x1088, v203
	v_or_b32_sdwa v178, v181, v178 dst_sel:DWORD dst_unused:UNUSED_PAD src0_sel:WORD_0 src1_sel:DWORD
	ds_read2_b32 v[180:181], v179 offset1:1
	ds_read2_b32 v[182:183], v187 offset0:2 offset1:3
	ds_read2_b32 v[201:202], v216 offset1:1
	v_dot4_i32_i8 v63, v68, v41, v63
	v_add_u32_e32 v64, s19, v134
	s_waitcnt lgkmcnt(2)
	v_ashrrev_i32_e32 v179, s20, v180
	s_waitcnt lgkmcnt(1)
	v_ashrrev_i32_e32 v182, s17, v182
	v_lshlrev_b32_e32 v182, 2, v182
	v_and_b32_e32 v180, 0x3030303, v179
	v_bfe_u32 v179, v179, 24, 2
	v_and_b32_e32 v182, 0x4040404, v182
	v_sub_u16_e32 v184, v180, v182
	v_sub_u16_sdwa v185, v180, v182 dst_sel:BYTE_1 dst_unused:UNUSED_PAD src0_sel:BYTE_1 src1_sel:BYTE_1
	v_sub_u16_sdwa v179, v179, v182 dst_sel:BYTE_1 dst_unused:UNUSED_PAD src0_sel:DWORD src1_sel:BYTE_3
	v_sub_u16_sdwa v180, v180, v182 dst_sel:DWORD dst_unused:UNUSED_PAD src0_sel:WORD_1 src1_sel:WORD_1
	v_or_b32_sdwa v184, v184, v185 dst_sel:DWORD dst_unused:UNUSED_PAD src0_sel:BYTE_0 src1_sel:DWORD
	v_or_b32_sdwa v179, v180, v179 dst_sel:WORD_1 dst_unused:UNUSED_PAD src0_sel:BYTE_0 src1_sel:DWORD
	v_ashrrev_i32_e32 v182, s17, v183
	v_or_b32_sdwa v180, v184, v179 dst_sel:DWORD dst_unused:UNUSED_PAD src0_sel:WORD_0 src1_sel:DWORD
	v_ashrrev_i32_e32 v179, s20, v181
	v_lshlrev_b32_e32 v182, 2, v182
	v_and_b32_e32 v181, 0x3030303, v179
	v_bfe_u32 v179, v179, 24, 2
	v_and_b32_e32 v182, 0x4040404, v182
	v_sub_u16_e32 v183, v181, v182
	v_sub_u16_sdwa v184, v181, v182 dst_sel:BYTE_1 dst_unused:UNUSED_PAD src0_sel:BYTE_1 src1_sel:BYTE_1
	v_sub_u16_sdwa v179, v179, v182 dst_sel:BYTE_1 dst_unused:UNUSED_PAD src0_sel:DWORD src1_sel:BYTE_3
	v_sub_u16_sdwa v181, v181, v182 dst_sel:DWORD dst_unused:UNUSED_PAD src0_sel:WORD_1 src1_sel:WORD_1
	v_or_b32_sdwa v183, v183, v184 dst_sel:DWORD dst_unused:UNUSED_PAD src0_sel:BYTE_0 src1_sel:DWORD
	v_or_b32_sdwa v179, v181, v179 dst_sel:WORD_1 dst_unused:UNUSED_PAD src0_sel:BYTE_0 src1_sel:DWORD
	v_or_b32_sdwa v182, v183, v179 dst_sel:DWORD dst_unused:UNUSED_PAD src0_sel:WORD_0 src1_sel:DWORD
	v_add_u32_e32 v179, 0x1090, v203
	ds_read2_b32 v[183:184], v179 offset1:1
	ds_read2_b32 v[185:186], v187 offset0:4 offset1:5
	s_add_i32 s16, s16, 2
	s_waitcnt lgkmcnt(1)
	v_ashrrev_i32_e32 v179, s20, v183
	s_waitcnt lgkmcnt(0)
	v_ashrrev_i32_e32 v183, s17, v185
	v_lshlrev_b32_e32 v183, 2, v183
	v_and_b32_e32 v181, 0x3030303, v179
	v_bfe_u32 v179, v179, 24, 2
	v_and_b32_e32 v183, 0x4040404, v183
	v_sub_u16_e32 v185, v181, v183
	v_sub_u16_sdwa v188, v181, v183 dst_sel:BYTE_1 dst_unused:UNUSED_PAD src0_sel:BYTE_1 src1_sel:BYTE_1
	v_sub_u16_sdwa v179, v179, v183 dst_sel:BYTE_1 dst_unused:UNUSED_PAD src0_sel:DWORD src1_sel:BYTE_3
	v_sub_u16_sdwa v181, v181, v183 dst_sel:DWORD dst_unused:UNUSED_PAD src0_sel:WORD_1 src1_sel:WORD_1
	v_or_b32_sdwa v185, v185, v188 dst_sel:DWORD dst_unused:UNUSED_PAD src0_sel:BYTE_0 src1_sel:DWORD
	v_or_b32_sdwa v179, v181, v179 dst_sel:WORD_1 dst_unused:UNUSED_PAD src0_sel:BYTE_0 src1_sel:DWORD
	v_ashrrev_i32_e32 v183, s17, v186
	v_or_b32_sdwa v185, v185, v179 dst_sel:DWORD dst_unused:UNUSED_PAD src0_sel:WORD_0 src1_sel:DWORD
	v_ashrrev_i32_e32 v179, s20, v184
	v_lshlrev_b32_e32 v183, 2, v183
	v_and_b32_e32 v181, 0x3030303, v179
	v_bfe_u32 v179, v179, 24, 2
	v_and_b32_e32 v183, 0x4040404, v183
	v_sub_u16_e32 v184, v181, v183
	v_sub_u16_sdwa v186, v181, v183 dst_sel:BYTE_1 dst_unused:UNUSED_PAD src0_sel:BYTE_1 src1_sel:BYTE_1
	v_sub_u16_sdwa v179, v179, v183 dst_sel:BYTE_1 dst_unused:UNUSED_PAD src0_sel:DWORD src1_sel:BYTE_3
	v_sub_u16_sdwa v181, v181, v183 dst_sel:DWORD dst_unused:UNUSED_PAD src0_sel:WORD_1 src1_sel:WORD_1
	v_or_b32_sdwa v184, v184, v186 dst_sel:DWORD dst_unused:UNUSED_PAD src0_sel:BYTE_0 src1_sel:DWORD
	v_or_b32_sdwa v179, v181, v179 dst_sel:WORD_1 dst_unused:UNUSED_PAD src0_sel:BYTE_0 src1_sel:DWORD
	v_or_b32_sdwa v188, v184, v179 dst_sel:DWORD dst_unused:UNUSED_PAD src0_sel:WORD_0 src1_sel:DWORD
	v_add_u32_e32 v179, 0x1098, v203
	ds_read2_b32 v[183:184], v179 offset1:1
	ds_read2_b32 v[186:187], v187 offset0:6 offset1:7
	s_waitcnt lgkmcnt(1)
	v_ashrrev_i32_e32 v179, s20, v183
	s_waitcnt lgkmcnt(0)
	v_ashrrev_i32_e32 v183, s17, v186
	v_lshlrev_b32_e32 v183, 2, v183
	v_and_b32_e32 v181, 0x3030303, v179
	v_bfe_u32 v179, v179, 24, 2
	v_and_b32_e32 v183, 0x4040404, v183
	v_sub_u16_e32 v186, v181, v183
	v_sub_u16_sdwa v189, v181, v183 dst_sel:BYTE_1 dst_unused:UNUSED_PAD src0_sel:BYTE_1 src1_sel:BYTE_1
	v_sub_u16_sdwa v179, v179, v183 dst_sel:BYTE_1 dst_unused:UNUSED_PAD src0_sel:DWORD src1_sel:BYTE_3
	v_sub_u16_sdwa v181, v181, v183 dst_sel:DWORD dst_unused:UNUSED_PAD src0_sel:WORD_1 src1_sel:WORD_1
	v_or_b32_sdwa v186, v186, v189 dst_sel:DWORD dst_unused:UNUSED_PAD src0_sel:BYTE_0 src1_sel:DWORD
	v_or_b32_sdwa v179, v181, v179 dst_sel:WORD_1 dst_unused:UNUSED_PAD src0_sel:BYTE_0 src1_sel:DWORD
	v_ashrrev_i32_e32 v183, s17, v187
	v_or_b32_sdwa v192, v186, v179 dst_sel:DWORD dst_unused:UNUSED_PAD src0_sel:WORD_0 src1_sel:DWORD
	v_ashrrev_i32_e32 v179, s20, v184
	v_lshlrev_b32_e32 v183, 2, v183
	v_and_b32_e32 v181, 0x3030303, v179
	v_bfe_u32 v179, v179, 24, 2
	v_and_b32_e32 v183, 0x4040404, v183
	v_sub_u16_e32 v184, v181, v183
	v_sub_u16_sdwa v186, v181, v183 dst_sel:BYTE_1 dst_unused:UNUSED_PAD src0_sel:BYTE_1 src1_sel:BYTE_1
	v_sub_u16_sdwa v179, v179, v183 dst_sel:BYTE_1 dst_unused:UNUSED_PAD src0_sel:DWORD src1_sel:BYTE_3
	v_sub_u16_sdwa v181, v181, v183 dst_sel:DWORD dst_unused:UNUSED_PAD src0_sel:WORD_1 src1_sel:WORD_1
	v_or_b32_sdwa v179, v181, v179 dst_sel:WORD_1 dst_unused:UNUSED_PAD src0_sel:BYTE_0 src1_sel:DWORD
	v_dot4_i32_i8 v181, v177, v38, 0
	v_dot4_i32_i8 v181, v178, v39, v181
	;; [unrolled: 1-line block ×5, first 2 shown]
	v_or_b32_sdwa v184, v184, v186 dst_sel:DWORD dst_unused:UNUSED_PAD src0_sel:BYTE_0 src1_sel:DWORD
	v_dot4_i32_i8 v181, v188, v35, v181
	v_or_b32_sdwa v195, v184, v179 dst_sel:DWORD dst_unused:UNUSED_PAD src0_sel:WORD_0 src1_sel:DWORD
	v_dot4_i32_i8 v181, v192, v36, v181
	v_add3_u32 v179, s22, v166, v126
	v_dot4_i32_i8 v210, v195, v37, v181
	v_add_u32_e32 v181, 0x2100, v203
	ds_read_b32 v179, v179
	ds_read2_b32 v[183:184], v181 offset1:1
	ds_read2_b32 v[186:187], v197 offset1:1
	s_waitcnt lgkmcnt(1)
	v_ashrrev_i32_e32 v181, s20, v183
	s_waitcnt lgkmcnt(0)
	v_ashrrev_i32_e32 v186, s17, v186
	v_lshlrev_b32_e32 v186, 2, v186
	v_and_b32_e32 v183, 0x3030303, v181
	v_bfe_u32 v181, v181, 24, 2
	v_and_b32_e32 v186, 0x4040404, v186
	v_sub_u16_e32 v189, v183, v186
	v_sub_u16_sdwa v190, v183, v186 dst_sel:BYTE_1 dst_unused:UNUSED_PAD src0_sel:BYTE_1 src1_sel:BYTE_1
	v_sub_u16_sdwa v181, v181, v186 dst_sel:BYTE_1 dst_unused:UNUSED_PAD src0_sel:DWORD src1_sel:BYTE_3
	v_sub_u16_sdwa v183, v183, v186 dst_sel:DWORD dst_unused:UNUSED_PAD src0_sel:WORD_1 src1_sel:WORD_1
	v_ashrrev_i32_e32 v186, s17, v187
	v_or_b32_sdwa v181, v183, v181 dst_sel:WORD_1 dst_unused:UNUSED_PAD src0_sel:BYTE_0 src1_sel:DWORD
	v_ashrrev_i32_e32 v183, s20, v184
	v_lshlrev_b32_e32 v186, 2, v186
	v_or_b32_sdwa v189, v189, v190 dst_sel:DWORD dst_unused:UNUSED_PAD src0_sel:BYTE_0 src1_sel:DWORD
	v_and_b32_e32 v184, 0x3030303, v183
	v_bfe_u32 v183, v183, 24, 2
	v_and_b32_e32 v186, 0x4040404, v186
	v_or_b32_sdwa v181, v189, v181 dst_sel:DWORD dst_unused:UNUSED_PAD src0_sel:WORD_0 src1_sel:DWORD
	v_sub_u16_e32 v187, v184, v186
	v_sub_u16_sdwa v189, v184, v186 dst_sel:BYTE_1 dst_unused:UNUSED_PAD src0_sel:BYTE_1 src1_sel:BYTE_1
	v_sub_u16_sdwa v183, v183, v186 dst_sel:BYTE_1 dst_unused:UNUSED_PAD src0_sel:DWORD src1_sel:BYTE_3
	v_sub_u16_sdwa v184, v184, v186 dst_sel:DWORD dst_unused:UNUSED_PAD src0_sel:WORD_1 src1_sel:WORD_1
	v_or_b32_sdwa v187, v187, v189 dst_sel:DWORD dst_unused:UNUSED_PAD src0_sel:BYTE_0 src1_sel:DWORD
	v_or_b32_sdwa v183, v184, v183 dst_sel:WORD_1 dst_unused:UNUSED_PAD src0_sel:BYTE_0 src1_sel:DWORD
	v_add_u32_e32 v184, 0x2108, v203
	v_or_b32_sdwa v183, v187, v183 dst_sel:DWORD dst_unused:UNUSED_PAD src0_sel:WORD_0 src1_sel:DWORD
	ds_read2_b32 v[186:187], v184 offset1:1
	ds_read2_b32 v[189:190], v197 offset0:2 offset1:3
	s_waitcnt lgkmcnt(1)
	v_ashrrev_i32_e32 v184, s20, v186
	s_waitcnt lgkmcnt(0)
	v_ashrrev_i32_e32 v189, s17, v189
	v_lshlrev_b32_e32 v189, 2, v189
	v_and_b32_e32 v186, 0x3030303, v184
	v_bfe_u32 v184, v184, 24, 2
	v_and_b32_e32 v189, 0x4040404, v189
	v_sub_u16_e32 v191, v186, v189
	v_sub_u16_sdwa v193, v186, v189 dst_sel:BYTE_1 dst_unused:UNUSED_PAD src0_sel:BYTE_1 src1_sel:BYTE_1
	v_sub_u16_sdwa v184, v184, v189 dst_sel:BYTE_1 dst_unused:UNUSED_PAD src0_sel:DWORD src1_sel:BYTE_3
	v_sub_u16_sdwa v186, v186, v189 dst_sel:DWORD dst_unused:UNUSED_PAD src0_sel:WORD_1 src1_sel:WORD_1
	v_or_b32_sdwa v191, v191, v193 dst_sel:DWORD dst_unused:UNUSED_PAD src0_sel:BYTE_0 src1_sel:DWORD
	v_or_b32_sdwa v184, v186, v184 dst_sel:WORD_1 dst_unused:UNUSED_PAD src0_sel:BYTE_0 src1_sel:DWORD
	v_ashrrev_i32_e32 v189, s17, v190
	v_or_b32_sdwa v186, v191, v184 dst_sel:DWORD dst_unused:UNUSED_PAD src0_sel:WORD_0 src1_sel:DWORD
	v_ashrrev_i32_e32 v184, s20, v187
	v_lshlrev_b32_e32 v189, 2, v189
	v_and_b32_e32 v187, 0x3030303, v184
	v_bfe_u32 v184, v184, 24, 2
	v_and_b32_e32 v189, 0x4040404, v189
	v_sub_u16_e32 v190, v187, v189
	v_sub_u16_sdwa v191, v187, v189 dst_sel:BYTE_1 dst_unused:UNUSED_PAD src0_sel:BYTE_1 src1_sel:BYTE_1
	v_sub_u16_sdwa v184, v184, v189 dst_sel:BYTE_1 dst_unused:UNUSED_PAD src0_sel:DWORD src1_sel:BYTE_3
	v_sub_u16_sdwa v187, v187, v189 dst_sel:DWORD dst_unused:UNUSED_PAD src0_sel:WORD_1 src1_sel:WORD_1
	v_or_b32_sdwa v190, v190, v191 dst_sel:DWORD dst_unused:UNUSED_PAD src0_sel:BYTE_0 src1_sel:DWORD
	v_or_b32_sdwa v184, v187, v184 dst_sel:WORD_1 dst_unused:UNUSED_PAD src0_sel:BYTE_0 src1_sel:DWORD
	v_or_b32_sdwa v189, v190, v184 dst_sel:DWORD dst_unused:UNUSED_PAD src0_sel:WORD_0 src1_sel:DWORD
	v_add_u32_e32 v184, 0x2110, v203
	ds_read2_b32 v[190:191], v184 offset1:1
	ds_read2_b32 v[193:194], v197 offset0:4 offset1:5
	s_waitcnt lgkmcnt(1)
	v_ashrrev_i32_e32 v184, s20, v190
	s_waitcnt lgkmcnt(0)
	v_ashrrev_i32_e32 v190, s17, v193
	v_lshlrev_b32_e32 v190, 2, v190
	v_and_b32_e32 v187, 0x3030303, v184
	v_bfe_u32 v184, v184, 24, 2
	v_and_b32_e32 v190, 0x4040404, v190
	v_sub_u16_e32 v193, v187, v190
	v_sub_u16_sdwa v196, v187, v190 dst_sel:BYTE_1 dst_unused:UNUSED_PAD src0_sel:BYTE_1 src1_sel:BYTE_1
	v_sub_u16_sdwa v184, v184, v190 dst_sel:BYTE_1 dst_unused:UNUSED_PAD src0_sel:DWORD src1_sel:BYTE_3
	v_sub_u16_sdwa v187, v187, v190 dst_sel:DWORD dst_unused:UNUSED_PAD src0_sel:WORD_1 src1_sel:WORD_1
	v_or_b32_sdwa v193, v193, v196 dst_sel:DWORD dst_unused:UNUSED_PAD src0_sel:BYTE_0 src1_sel:DWORD
	v_or_b32_sdwa v184, v187, v184 dst_sel:WORD_1 dst_unused:UNUSED_PAD src0_sel:BYTE_0 src1_sel:DWORD
	v_ashrrev_i32_e32 v190, s17, v194
	v_or_b32_sdwa v193, v193, v184 dst_sel:DWORD dst_unused:UNUSED_PAD src0_sel:WORD_0 src1_sel:DWORD
	v_ashrrev_i32_e32 v184, s20, v191
	v_lshlrev_b32_e32 v190, 2, v190
	v_and_b32_e32 v187, 0x3030303, v184
	v_bfe_u32 v184, v184, 24, 2
	v_and_b32_e32 v190, 0x4040404, v190
	v_sub_u16_e32 v191, v187, v190
	v_sub_u16_sdwa v194, v187, v190 dst_sel:BYTE_1 dst_unused:UNUSED_PAD src0_sel:BYTE_1 src1_sel:BYTE_1
	v_sub_u16_sdwa v184, v184, v190 dst_sel:BYTE_1 dst_unused:UNUSED_PAD src0_sel:DWORD src1_sel:BYTE_3
	v_sub_u16_sdwa v187, v187, v190 dst_sel:DWORD dst_unused:UNUSED_PAD src0_sel:WORD_1 src1_sel:WORD_1
	v_or_b32_sdwa v191, v191, v194 dst_sel:DWORD dst_unused:UNUSED_PAD src0_sel:BYTE_0 src1_sel:DWORD
	v_or_b32_sdwa v184, v187, v184 dst_sel:WORD_1 dst_unused:UNUSED_PAD src0_sel:BYTE_0 src1_sel:DWORD
	v_or_b32_sdwa v196, v191, v184 dst_sel:DWORD dst_unused:UNUSED_PAD src0_sel:WORD_0 src1_sel:DWORD
	v_add_u32_e32 v184, 0x2118, v203
	ds_read2_b32 v[190:191], v184 offset1:1
	s_waitcnt lgkmcnt(0)
	v_ashrrev_i32_e32 v184, s20, v190
	v_ashrrev_i32_e32 v190, s17, v198
	v_lshlrev_b32_e32 v190, 2, v190
	v_and_b32_e32 v187, 0x3030303, v184
	v_bfe_u32 v184, v184, 24, 2
	v_and_b32_e32 v190, 0x4040404, v190
	v_sub_u16_e32 v194, v187, v190
	v_sub_u16_sdwa v197, v187, v190 dst_sel:BYTE_1 dst_unused:UNUSED_PAD src0_sel:BYTE_1 src1_sel:BYTE_1
	v_sub_u16_sdwa v184, v184, v190 dst_sel:BYTE_1 dst_unused:UNUSED_PAD src0_sel:DWORD src1_sel:BYTE_3
	v_sub_u16_sdwa v187, v187, v190 dst_sel:DWORD dst_unused:UNUSED_PAD src0_sel:WORD_1 src1_sel:WORD_1
	v_or_b32_sdwa v194, v194, v197 dst_sel:DWORD dst_unused:UNUSED_PAD src0_sel:BYTE_0 src1_sel:DWORD
	v_or_b32_sdwa v184, v187, v184 dst_sel:WORD_1 dst_unused:UNUSED_PAD src0_sel:BYTE_0 src1_sel:DWORD
	v_ashrrev_i32_e32 v190, s17, v199
	v_or_b32_sdwa v198, v194, v184 dst_sel:DWORD dst_unused:UNUSED_PAD src0_sel:WORD_0 src1_sel:DWORD
	v_ashrrev_i32_e32 v184, s20, v191
	v_lshlrev_b32_e32 v190, 2, v190
	v_and_b32_e32 v187, 0x3030303, v184
	v_bfe_u32 v184, v184, 24, 2
	v_and_b32_e32 v190, 0x4040404, v190
	v_sub_u16_e32 v191, v187, v190
	v_sub_u16_sdwa v194, v187, v190 dst_sel:BYTE_1 dst_unused:UNUSED_PAD src0_sel:BYTE_1 src1_sel:BYTE_1
	v_sub_u16_sdwa v184, v184, v190 dst_sel:BYTE_1 dst_unused:UNUSED_PAD src0_sel:DWORD src1_sel:BYTE_3
	v_sub_u16_sdwa v187, v187, v190 dst_sel:DWORD dst_unused:UNUSED_PAD src0_sel:WORD_1 src1_sel:WORD_1
	v_or_b32_sdwa v184, v187, v184 dst_sel:WORD_1 dst_unused:UNUSED_PAD src0_sel:BYTE_0 src1_sel:DWORD
	v_dot4_i32_i8 v187, v181, v38, 0
	v_dot4_i32_i8 v187, v183, v39, v187
	;; [unrolled: 1-line block ×5, first 2 shown]
	v_or_b32_sdwa v191, v191, v194 dst_sel:DWORD dst_unused:UNUSED_PAD src0_sel:BYTE_0 src1_sel:DWORD
	v_dot4_i32_i8 v187, v196, v35, v187
	v_or_b32_sdwa v200, v191, v184 dst_sel:DWORD dst_unused:UNUSED_PAD src0_sel:WORD_0 src1_sel:DWORD
	v_dot4_i32_i8 v187, v198, v36, v187
	v_add3_u32 v184, s22, v168, v128
	v_dot4_i32_i8 v213, v200, v37, v187
	v_add_u32_e32 v187, 0x3180, v203
	ds_read_b32 v184, v184
	ds_read2_b32 v[190:191], v187 offset1:1
	v_ashrrev_i32_e32 v194, s17, v201
	v_lshlrev_b32_e32 v194, 2, v194
	v_and_b32_e32 v194, 0x4040404, v194
	s_waitcnt lgkmcnt(0)
	v_ashrrev_i32_e32 v187, s20, v190
	v_and_b32_e32 v190, 0x3030303, v187
	v_bfe_u32 v187, v187, 24, 2
	v_sub_u16_e32 v197, v190, v194
	v_sub_u16_sdwa v199, v190, v194 dst_sel:BYTE_1 dst_unused:UNUSED_PAD src0_sel:BYTE_1 src1_sel:BYTE_1
	v_sub_u16_sdwa v187, v187, v194 dst_sel:BYTE_1 dst_unused:UNUSED_PAD src0_sel:DWORD src1_sel:BYTE_3
	v_sub_u16_sdwa v190, v190, v194 dst_sel:DWORD dst_unused:UNUSED_PAD src0_sel:WORD_1 src1_sel:WORD_1
	v_ashrrev_i32_e32 v194, s17, v202
	v_or_b32_sdwa v187, v190, v187 dst_sel:WORD_1 dst_unused:UNUSED_PAD src0_sel:BYTE_0 src1_sel:DWORD
	v_ashrrev_i32_e32 v190, s20, v191
	v_lshlrev_b32_e32 v194, 2, v194
	v_or_b32_sdwa v197, v197, v199 dst_sel:DWORD dst_unused:UNUSED_PAD src0_sel:BYTE_0 src1_sel:DWORD
	v_and_b32_e32 v191, 0x3030303, v190
	v_bfe_u32 v190, v190, 24, 2
	v_and_b32_e32 v194, 0x4040404, v194
	v_or_b32_sdwa v187, v197, v187 dst_sel:DWORD dst_unused:UNUSED_PAD src0_sel:WORD_0 src1_sel:DWORD
	v_sub_u16_e32 v197, v191, v194
	v_sub_u16_sdwa v199, v191, v194 dst_sel:BYTE_1 dst_unused:UNUSED_PAD src0_sel:BYTE_1 src1_sel:BYTE_1
	v_sub_u16_sdwa v190, v190, v194 dst_sel:BYTE_1 dst_unused:UNUSED_PAD src0_sel:DWORD src1_sel:BYTE_3
	v_sub_u16_sdwa v191, v191, v194 dst_sel:DWORD dst_unused:UNUSED_PAD src0_sel:WORD_1 src1_sel:WORD_1
	v_or_b32_sdwa v190, v191, v190 dst_sel:WORD_1 dst_unused:UNUSED_PAD src0_sel:BYTE_0 src1_sel:DWORD
	v_add_u32_e32 v191, 0x3188, v203
	ds_read2_b32 v[201:202], v191 offset1:1
	v_or_b32_sdwa v197, v197, v199 dst_sel:DWORD dst_unused:UNUSED_PAD src0_sel:BYTE_0 src1_sel:DWORD
	v_or_b32_sdwa v190, v197, v190 dst_sel:DWORD dst_unused:UNUSED_PAD src0_sel:WORD_0 src1_sel:DWORD
	v_ashrrev_i32_e32 v197, s17, v214
	v_lshlrev_b32_e32 v197, 2, v197
	s_waitcnt lgkmcnt(0)
	v_ashrrev_i32_e32 v191, s20, v201
	v_and_b32_e32 v194, 0x3030303, v191
	v_bfe_u32 v191, v191, 24, 2
	v_and_b32_e32 v197, 0x4040404, v197
	v_sub_u16_e32 v199, v194, v197
	v_sub_u16_sdwa v201, v194, v197 dst_sel:BYTE_1 dst_unused:UNUSED_PAD src0_sel:BYTE_1 src1_sel:BYTE_1
	v_sub_u16_sdwa v191, v191, v197 dst_sel:BYTE_1 dst_unused:UNUSED_PAD src0_sel:DWORD src1_sel:BYTE_3
	v_sub_u16_sdwa v194, v194, v197 dst_sel:DWORD dst_unused:UNUSED_PAD src0_sel:WORD_1 src1_sel:WORD_1
	v_or_b32_sdwa v199, v199, v201 dst_sel:DWORD dst_unused:UNUSED_PAD src0_sel:BYTE_0 src1_sel:DWORD
	v_or_b32_sdwa v191, v194, v191 dst_sel:WORD_1 dst_unused:UNUSED_PAD src0_sel:BYTE_0 src1_sel:DWORD
	v_or_b32_sdwa v194, v199, v191 dst_sel:DWORD dst_unused:UNUSED_PAD src0_sel:WORD_0 src1_sel:DWORD
	v_ashrrev_i32_e32 v199, s17, v215
	v_ashrrev_i32_e32 v191, s20, v202
	v_lshlrev_b32_e32 v199, 2, v199
	v_and_b32_e32 v197, 0x3030303, v191
	v_bfe_u32 v191, v191, 24, 2
	v_and_b32_e32 v199, 0x4040404, v199
	v_sub_u16_e32 v201, v197, v199
	v_sub_u16_sdwa v202, v197, v199 dst_sel:BYTE_1 dst_unused:UNUSED_PAD src0_sel:BYTE_1 src1_sel:BYTE_1
	v_sub_u16_sdwa v191, v191, v199 dst_sel:BYTE_1 dst_unused:UNUSED_PAD src0_sel:DWORD src1_sel:BYTE_3
	v_sub_u16_sdwa v197, v197, v199 dst_sel:DWORD dst_unused:UNUSED_PAD src0_sel:WORD_1 src1_sel:WORD_1
	v_or_b32_sdwa v201, v201, v202 dst_sel:DWORD dst_unused:UNUSED_PAD src0_sel:BYTE_0 src1_sel:DWORD
	v_or_b32_sdwa v191, v197, v191 dst_sel:WORD_1 dst_unused:UNUSED_PAD src0_sel:BYTE_0 src1_sel:DWORD
	v_or_b32_sdwa v197, v201, v191 dst_sel:DWORD dst_unused:UNUSED_PAD src0_sel:WORD_0 src1_sel:DWORD
	v_add_u32_e32 v191, 0x3190, v203
	ds_read2_b32 v[201:202], v191 offset1:1
	ds_read2_b32 v[214:215], v216 offset0:4 offset1:5
	v_dot4_i32_i8 v38, v187, v38, 0
	v_dot4_i32_i8 v38, v190, v39, v38
	v_dot4_i32_i8 v38, v194, v40, v38
	s_waitcnt lgkmcnt(1)
	v_ashrrev_i32_e32 v191, s20, v201
	s_waitcnt lgkmcnt(0)
	v_ashrrev_i32_e32 v201, s17, v214
	v_lshlrev_b32_e32 v201, 2, v201
	v_and_b32_e32 v199, 0x3030303, v191
	v_bfe_u32 v191, v191, 24, 2
	v_and_b32_e32 v201, 0x4040404, v201
	v_sub_u16_e32 v214, v199, v201
	v_sub_u16_sdwa v217, v199, v201 dst_sel:BYTE_1 dst_unused:UNUSED_PAD src0_sel:BYTE_1 src1_sel:BYTE_1
	v_sub_u16_sdwa v191, v191, v201 dst_sel:BYTE_1 dst_unused:UNUSED_PAD src0_sel:DWORD src1_sel:BYTE_3
	v_sub_u16_sdwa v199, v199, v201 dst_sel:DWORD dst_unused:UNUSED_PAD src0_sel:WORD_1 src1_sel:WORD_1
	v_or_b32_sdwa v214, v214, v217 dst_sel:DWORD dst_unused:UNUSED_PAD src0_sel:BYTE_0 src1_sel:DWORD
	v_or_b32_sdwa v191, v199, v191 dst_sel:WORD_1 dst_unused:UNUSED_PAD src0_sel:BYTE_0 src1_sel:DWORD
	v_or_b32_sdwa v199, v214, v191 dst_sel:DWORD dst_unused:UNUSED_PAD src0_sel:WORD_0 src1_sel:DWORD
	v_ashrrev_i32_e32 v191, s20, v202
	v_ashrrev_i32_e32 v202, s17, v215
	v_lshlrev_b32_e32 v202, 2, v202
	v_and_b32_e32 v201, 0x3030303, v191
	v_bfe_u32 v191, v191, 24, 2
	v_and_b32_e32 v202, 0x4040404, v202
	v_sub_u16_e32 v214, v201, v202
	v_sub_u16_sdwa v215, v201, v202 dst_sel:BYTE_1 dst_unused:UNUSED_PAD src0_sel:BYTE_1 src1_sel:BYTE_1
	v_sub_u16_sdwa v191, v191, v202 dst_sel:BYTE_1 dst_unused:UNUSED_PAD src0_sel:DWORD src1_sel:BYTE_3
	v_sub_u16_sdwa v201, v201, v202 dst_sel:DWORD dst_unused:UNUSED_PAD src0_sel:WORD_1 src1_sel:WORD_1
	v_or_b32_sdwa v214, v214, v215 dst_sel:DWORD dst_unused:UNUSED_PAD src0_sel:BYTE_0 src1_sel:DWORD
	v_or_b32_sdwa v191, v201, v191 dst_sel:WORD_1 dst_unused:UNUSED_PAD src0_sel:BYTE_0 src1_sel:DWORD
	v_or_b32_sdwa v201, v214, v191 dst_sel:DWORD dst_unused:UNUSED_PAD src0_sel:WORD_0 src1_sel:DWORD
	v_add_u32_e32 v191, 0x3198, v203
	ds_read2_b32 v[202:203], v191 offset1:1
	ds_read2_b32 v[214:215], v216 offset0:6 offset1:7
	v_dot4_i32_i8 v34, v199, v34, 0
	v_dot4_i32_i8 v34, v201, v35, v34
	;; [unrolled: 1-line block ×3, first 2 shown]
	s_waitcnt lgkmcnt(1)
	v_ashrrev_i32_e32 v191, s20, v202
	s_waitcnt lgkmcnt(0)
	v_ashrrev_i32_e32 v214, s17, v214
	v_lshlrev_b32_e32 v214, 2, v214
	v_and_b32_e32 v202, 0x3030303, v191
	v_bfe_u32 v191, v191, 24, 2
	v_and_b32_e32 v214, 0x4040404, v214
	v_sub_u16_e32 v216, v202, v214
	v_sub_u16_sdwa v217, v202, v214 dst_sel:BYTE_1 dst_unused:UNUSED_PAD src0_sel:BYTE_1 src1_sel:BYTE_1
	v_sub_u16_sdwa v191, v191, v214 dst_sel:BYTE_1 dst_unused:UNUSED_PAD src0_sel:DWORD src1_sel:BYTE_3
	v_sub_u16_sdwa v202, v202, v214 dst_sel:DWORD dst_unused:UNUSED_PAD src0_sel:WORD_1 src1_sel:WORD_1
	v_or_b32_sdwa v216, v216, v217 dst_sel:DWORD dst_unused:UNUSED_PAD src0_sel:BYTE_0 src1_sel:DWORD
	v_or_b32_sdwa v191, v202, v191 dst_sel:WORD_1 dst_unused:UNUSED_PAD src0_sel:BYTE_0 src1_sel:DWORD
	v_ashrrev_i32_e32 v214, s17, v215
	v_or_b32_sdwa v202, v216, v191 dst_sel:DWORD dst_unused:UNUSED_PAD src0_sel:WORD_0 src1_sel:DWORD
	v_ashrrev_i32_e32 v191, s20, v203
	v_lshlrev_b32_e32 v214, 2, v214
	v_and_b32_e32 v203, 0x3030303, v191
	v_bfe_u32 v191, v191, 24, 2
	v_and_b32_e32 v214, 0x4040404, v214
	v_sub_u16_e32 v215, v203, v214
	v_sub_u16_sdwa v216, v203, v214 dst_sel:BYTE_1 dst_unused:UNUSED_PAD src0_sel:BYTE_1 src1_sel:BYTE_1
	v_sub_u16_sdwa v191, v191, v214 dst_sel:BYTE_1 dst_unused:UNUSED_PAD src0_sel:DWORD src1_sel:BYTE_3
	v_sub_u16_sdwa v203, v203, v214 dst_sel:DWORD dst_unused:UNUSED_PAD src0_sel:WORD_1 src1_sel:WORD_1
	v_or_b32_sdwa v215, v215, v216 dst_sel:DWORD dst_unused:UNUSED_PAD src0_sel:BYTE_0 src1_sel:DWORD
	v_or_b32_sdwa v191, v203, v191 dst_sel:WORD_1 dst_unused:UNUSED_PAD src0_sel:BYTE_0 src1_sel:DWORD
	v_or_b32_sdwa v203, v215, v191 dst_sel:DWORD dst_unused:UNUSED_PAD src0_sel:WORD_0 src1_sel:DWORD
	v_add3_u32 v191, s22, v170, v130
	ds_read_b32 v191, v191
	ds_read_b128 v[215:218], v174 offset:1024
	ds_read_b128 v[219:222], v174 offset:1040
	v_dot4_i32_i8 v34, v202, v36, v34
	v_dot4_i32_i8 v34, v203, v37, v34
	v_add_u32_e32 v214, s19, v140
	s_waitcnt lgkmcnt(1)
	v_dot4_i32_i8 v35, v65, v215, 0
	v_dot4_i32_i8 v35, v66, v216, v35
	;; [unrolled: 1-line block ×4, first 2 shown]
	s_waitcnt lgkmcnt(0)
	v_dot4_i32_i8 v35, v69, v219, 0
	v_dot4_i32_i8 v35, v204, v220, v35
	;; [unrolled: 1-line block ×28, first 2 shown]
	ds_read2_b32 v[35:36], v175 offset0:64 offset1:96
	ds_read_b128 v[215:218], v174 offset:2048
	ds_read_b128 v[219:222], v174 offset:2064
	s_add_i32 s17, s17, 1
	s_cmp_lt_u32 s18, 30
	s_mov_b32 s19, s18
	s_waitcnt lgkmcnt(1)
	v_dot4_i32_i8 v39, v65, v215, 0
	v_dot4_i32_i8 v39, v66, v216, v39
	v_dot4_i32_i8 v39, v67, v217, v39
	v_dot4_i32_i8 v226, v68, v218, v39
	s_waitcnt lgkmcnt(0)
	v_dot4_i32_i8 v39, v69, v219, 0
	v_dot4_i32_i8 v39, v204, v220, v39
	;; [unrolled: 1-line block ×28, first 2 shown]
	ds_read_b128 v[217:220], v174 offset:3072
	ds_read_b128 v[221:224], v174 offset:3088
	s_waitcnt lgkmcnt(1)
	v_dot4_i32_i8 v39, v65, v217, 0
	v_dot4_i32_i8 v39, v66, v218, v39
	;; [unrolled: 1-line block ×4, first 2 shown]
	s_waitcnt lgkmcnt(0)
	v_dot4_i32_i8 v39, v69, v221, 0
	v_dot4_i32_i8 v39, v204, v222, v39
	;; [unrolled: 1-line block ×4, first 2 shown]
	ds_read_u16 v39, v64 offset:33522
	s_waitcnt lgkmcnt(0)
	v_lshrrev_b16_e32 v64, 8, v39
	v_bfe_i32 v227, v64, 0, 8
	v_bfe_i32 v228, v39, 0, 8
	v_mul_lo_u32 v37, v37, v228
	v_mul_lo_u32 v41, v41, v227
	;; [unrolled: 1-line block ×4, first 2 shown]
	v_mad_u64_u32 v[215:216], s[20:21], v226, v228, v[41:42]
	v_mad_u64_u32 v[225:226], s[20:21], v225, v227, v[37:38]
                                        ; kill: def $vgpr41 killed $sgpr0 killed $exec
	v_mul_f32_e32 v37, v176, v62
	v_mad_u64_u32 v[40:41], s[20:21], v241, v227, v[40:41]
	v_cvt_f32_i32_e32 v207, v225
	v_mul_f32_e32 v41, v176, v36
	v_mad_u64_u32 v[63:64], s[20:21], v63, v228, v[39:40]
	v_cvt_f32_i32_e32 v40, v40
	v_fmac_f32_e32 v6, v37, v207
	v_dot4_i32_i8 v37, v177, v217, 0
	v_dot4_i32_i8 v37, v178, v218, v37
	;; [unrolled: 1-line block ×3, first 2 shown]
	v_fma_f32 v8, v41, v40, v8
	v_dot4_i32_i8 v40, v182, v220, v37
	v_dot4_i32_i8 v37, v185, v221, 0
	;; [unrolled: 1-line block ×5, first 2 shown]
	ds_read_u16 v37, v209 offset:34546
	v_cvt_f32_i32_e32 v63, v63
	v_cvt_f32_i32_e32 v215, v215
	v_mul_f32_e32 v39, v176, v61
	v_mul_f32_e32 v64, v176, v35
	v_fma_f32 v7, v39, v63, v7
	s_waitcnt lgkmcnt(0)
	v_lshrrev_b16_e32 v39, 8, v37
	v_fma_f32 v9, v64, v215, v9
	v_bfe_i32 v215, v39, 0, 8
	v_bfe_i32 v216, v37, 0, 8
	v_mul_lo_u32 v41, v236, v215
	v_mul_lo_u32 v40, v40, v216
	;; [unrolled: 1-line block ×4, first 2 shown]
	v_mad_u64_u32 v[63:64], s[20:21], v235, v216, v[41:42]
                                        ; kill: def $vgpr41 killed $sgpr0 killed $exec
	v_mul_f32_e32 v64, v179, v35
	v_mad_u64_u32 v[40:41], s[20:21], v207, v215, v[40:41]
	v_mul_f32_e32 v41, v179, v36
	v_cvt_f32_i32_e32 v63, v63
	v_mad_u64_u32 v[207:208], s[20:21], v208, v216, v[39:40]
	v_mad_u64_u32 v[208:209], s[20:21], v230, v215, v[37:38]
	v_mul_f32_e32 v37, v179, v62
	v_cvt_f32_i32_e32 v40, v40
	v_cvt_f32_i32_e32 v208, v208
	;; [unrolled: 1-line block ×3, first 2 shown]
	v_mul_f32_e32 v39, v179, v61
	v_fma_f32 v32, v41, v40, v32
	v_fmac_f32_e32 v30, v37, v208
	v_dot4_i32_i8 v37, v181, v217, 0
	v_dot4_i32_i8 v37, v183, v218, v37
	;; [unrolled: 1-line block ×7, first 2 shown]
	v_fma_f32 v31, v39, v207, v31
	v_dot4_i32_i8 v207, v200, v224, v37
	ds_read_u16 v37, v212 offset:35570
	v_fma_f32 v33, v64, v63, v33
	s_waitcnt lgkmcnt(0)
	v_lshrrev_b16_e32 v39, 8, v37
	v_bfe_i32 v209, v39, 0, 8
	v_bfe_i32 v210, v37, 0, 8
	v_mul_lo_u32 v41, v238, v209
	v_mul_lo_u32 v40, v40, v210
	v_mul_lo_u32 v37, v231, v210
	v_mul_lo_u32 v39, v213, v209
	v_mad_u64_u32 v[63:64], s[20:21], v237, v210, v[41:42]
                                        ; kill: def $vgpr41 killed $sgpr0 killed $exec
	v_mul_f32_e32 v64, v184, v35
	v_mad_u64_u32 v[40:41], s[20:21], v207, v209, v[40:41]
	v_cvt_f32_i32_e32 v63, v63
	v_mul_f32_e32 v41, v184, v36
	v_mad_u64_u32 v[207:208], s[20:21], v211, v210, v[39:40]
	v_mad_u64_u32 v[211:212], s[20:21], v232, v209, v[37:38]
	v_mul_f32_e32 v37, v184, v62
	v_cvt_f32_i32_e32 v207, v207
	v_cvt_f32_i32_e32 v208, v211
	v_mul_f32_e32 v39, v184, v61
	v_fma_f32 v29, v64, v63, v29
	v_fma_f32 v27, v39, v207, v27
	v_fmac_f32_e32 v26, v37, v208
	v_dot4_i32_i8 v37, v187, v217, 0
	v_dot4_i32_i8 v37, v190, v218, v37
	;; [unrolled: 1-line block ×8, first 2 shown]
	ds_read_u16 v37, v214 offset:36594
	v_cvt_f32_i32_e32 v40, v40
	v_mul_f32_e32 v36, v191, v36
	v_fma_f32 v28, v41, v40, v28
	s_waitcnt lgkmcnt(0)
	v_lshrrev_b16_e32 v40, 8, v37
	v_bfe_i32 v207, v40, 0, 8
	v_mul_lo_u32 v40, v240, v207
	v_bfe_i32 v208, v37, 0, 8
                                        ; kill: def $vgpr41 killed $sgpr0 killed $exec
	v_mul_lo_u32 v34, v34, v207
	v_mul_lo_u32 v39, v39, v208
	v_mad_u64_u32 v[40:41], s[20:21], v239, v208, v[40:41]
	v_mul_lo_u32 v37, v233, v208
	v_mad_u64_u32 v[63:64], s[20:21], v63, v207, v[39:40]
	v_mad_u64_u32 v[38:39], s[20:21], v38, v208, v[34:35]
	v_cvt_f32_i32_e32 v41, v63
	v_cvt_f32_i32_e32 v40, v40
	v_mad_u64_u32 v[211:212], s[20:21], v234, v207, v[37:38]
	v_cvt_f32_i32_e32 v38, v38
	v_mul_f32_e32 v34, v191, v62
	v_cvt_f32_i32_e32 v39, v211
	v_mul_f32_e32 v37, v191, v61
	v_mul_f32_e32 v35, v191, v35
	v_fma_f32 v25, v35, v40, v25
	v_fma_f32 v24, v36, v41, v24
	;; [unrolled: 1-line block ×3, first 2 shown]
	v_fmac_f32_e32 v22, v34, v39
	ds_read2_b32 v[61:62], v175 offset0:128 offset1:160
	ds_read_b128 v[34:37], v174 offset:4096
	ds_read_b128 v[38:41], v174 offset:4112
	s_waitcnt lgkmcnt(1)
	v_dot4_i32_i8 v63, v65, v34, 0
	v_dot4_i32_i8 v63, v66, v35, v63
	;; [unrolled: 1-line block ×4, first 2 shown]
	s_waitcnt lgkmcnt(0)
	v_dot4_i32_i8 v63, v69, v38, 0
	v_dot4_i32_i8 v63, v204, v39, v63
	;; [unrolled: 1-line block ×28, first 2 shown]
	ds_read_b128 v[34:37], v174 offset:5120
	ds_read_b128 v[38:41], v174 offset:5136
	s_waitcnt lgkmcnt(1)
	v_dot4_i32_i8 v63, v65, v34, 0
	v_dot4_i32_i8 v63, v66, v35, v63
	;; [unrolled: 1-line block ×4, first 2 shown]
	s_waitcnt lgkmcnt(0)
	v_dot4_i32_i8 v63, v69, v38, 0
	v_dot4_i32_i8 v63, v204, v39, v63
	;; [unrolled: 1-line block ×28, first 2 shown]
	ds_read2_b32 v[63:64], v175 offset0:192 offset1:224
	ds_read_b128 v[34:37], v174 offset:6144
	ds_read_b128 v[38:41], v174 offset:6160
	v_add_u32_e32 v175, 4, v175
	s_waitcnt lgkmcnt(1)
	v_dot4_i32_i8 v223, v65, v34, 0
	v_dot4_i32_i8 v223, v66, v35, v223
	;; [unrolled: 1-line block ×4, first 2 shown]
	s_waitcnt lgkmcnt(0)
	v_dot4_i32_i8 v223, v69, v38, 0
	v_dot4_i32_i8 v223, v204, v39, v223
	;; [unrolled: 1-line block ×28, first 2 shown]
	ds_read_b128 v[38:41], v174 offset:7168
	ds_read_b128 v[34:37], v174 offset:7184
	v_add_u32_e32 v174, 32, v174
	s_waitcnt lgkmcnt(1)
	v_dot4_i32_i8 v65, v65, v38, 0
	v_dot4_i32_i8 v65, v66, v39, v65
	;; [unrolled: 1-line block ×4, first 2 shown]
	s_waitcnt lgkmcnt(0)
	v_dot4_i32_i8 v66, v69, v34, 0
	v_mul_lo_u32 v67, v65, v228
	v_mul_lo_u32 v65, v238, v227
	v_dot4_i32_i8 v66, v204, v35, v66
	v_mul_lo_u32 v68, v234, v227
	v_dot4_i32_i8 v66, v205, v36, v66
	;; [unrolled: 2-line block ×3, first 2 shown]
                                        ; kill: def $vgpr66 killed $sgpr0 killed $exec
	v_mul_f32_e32 v205, v176, v64
	v_mad_u64_u32 v[65:66], s[20:21], v237, v228, v[65:66]
	v_mad_u64_u32 v[66:67], s[20:21], v204, v227, v[67:68]
	;; [unrolled: 1-line block ×4, first 2 shown]
	v_cvt_f32_i32_e32 v65, v65
	v_mul_f32_e32 v69, v176, v62
	v_cvt_f32_i32_e32 v68, v68
	v_mul_f32_e32 v204, v176, v61
	v_mul_f32_e32 v176, v176, v63
	v_cvt_f32_i32_e32 v67, v67
	v_fma_f32 v21, v176, v65, v21
	v_fmac_f32_e32 v18, v69, v68
	v_dot4_i32_i8 v65, v177, v38, 0
	v_mul_lo_u32 v68, v232, v215
	v_cvt_f32_i32_e32 v66, v66
	v_dot4_i32_i8 v65, v178, v39, v65
	v_dot4_i32_i8 v65, v180, v40, v65
	v_fma_f32 v19, v204, v67, v19
	v_dot4_i32_i8 v67, v182, v41, v65
                                        ; kill: def $vgpr69 killed $sgpr0 killed $exec
	v_dot4_i32_i8 v65, v185, v34, 0
	v_mul_lo_u32 v67, v67, v216
	v_mad_u64_u32 v[68:69], s[20:21], v231, v216, v[68:69]
	v_fma_f32 v20, v205, v66, v20
	v_dot4_i32_i8 v65, v188, v35, v65
	v_mul_lo_u32 v66, v222, v215
	v_dot4_i32_i8 v65, v192, v36, v65
	v_dot4_i32_i8 v176, v195, v37, v65
	v_mad_u64_u32 v[176:177], s[20:21], v176, v215, v[67:68]
                                        ; kill: def $vgpr67 killed $sgpr0 killed $exec
	v_mul_lo_u32 v65, v226, v216
	v_mad_u64_u32 v[66:67], s[20:21], v221, v216, v[66:67]
	v_mul_f32_e32 v67, v179, v61
	v_cvt_f32_i32_e32 v176, v176
	v_mad_u64_u32 v[177:178], s[20:21], v225, v215, v[65:66]
	v_mul_f32_e32 v65, v179, v62
	v_cvt_f32_i32_e32 v66, v66
	v_cvt_f32_i32_e32 v177, v177
	v_cvt_f32_i32_e32 v68, v68
	v_mul_f32_e32 v69, v179, v64
	v_fma_f32 v15, v67, v66, v15
	v_fmac_f32_e32 v14, v65, v177
	v_dot4_i32_i8 v65, v181, v38, 0
	v_dot4_i32_i8 v65, v183, v39, v65
	;; [unrolled: 1-line block ×8, first 2 shown]
	v_mul_f32_e32 v178, v179, v63
	v_dot4_i32_i8 v65, v198, v36, v65
	v_dot4_i32_i8 v38, v187, v38, 0
	v_dot4_i32_i8 v34, v202, v36, v34
	v_fma_f32 v17, v178, v68, v17
	v_fma_f32 v16, v69, v176, v16
	v_dot4_i32_i8 v176, v200, v37, v65
	v_mul_lo_u32 v68, v230, v209
	v_dot4_i32_i8 v38, v190, v39, v38
	v_dot4_i32_i8 v39, v203, v37, v34
	v_mul_lo_u32 v37, v224, v207
	v_dot4_i32_i8 v38, v194, v40, v38
	v_dot4_i32_i8 v38, v197, v41, v38
                                        ; kill: def $vgpr69 killed $sgpr0 killed $exec
	v_mul_lo_u32 v36, v38, v208
                                        ; kill: def $vgpr38 killed $sgpr0 killed $exec
	v_mul_lo_u32 v67, v67, v210
	v_mad_u64_u32 v[68:69], s[20:21], v229, v210, v[68:69]
	v_mad_u64_u32 v[37:38], s[20:21], v223, v208, v[37:38]
	v_mul_lo_u32 v66, v218, v209
	v_mul_lo_u32 v35, v212, v207
	v_mad_u64_u32 v[176:177], s[20:21], v176, v209, v[67:68]
                                        ; kill: def $vgpr67 killed $sgpr0 killed $exec
	v_mad_u64_u32 v[38:39], s[20:21], v39, v207, v[36:37]
                                        ; kill: def $vgpr36 killed $sgpr0 killed $exec
	v_mul_lo_u32 v65, v220, v210
	v_mad_u64_u32 v[66:67], s[20:21], v217, v210, v[66:67]
	v_mul_lo_u32 v34, v214, v208
	v_mad_u64_u32 v[35:36], s[20:21], v211, v208, v[35:36]
	v_mad_u64_u32 v[177:178], s[20:21], v219, v209, v[65:66]
	v_mad_u64_u32 v[39:40], s[20:21], v213, v207, v[34:35]
	v_cvt_f32_i32_e32 v177, v177
	v_cvt_f32_i32_e32 v66, v66
	;; [unrolled: 1-line block ×8, first 2 shown]
	v_mul_f32_e32 v65, v184, v62
	v_mul_f32_e32 v67, v184, v61
	;; [unrolled: 1-line block ×8, first 2 shown]
	v_fma_f32 v13, v178, v68, v13
	v_fma_f32 v12, v69, v176, v12
	;; [unrolled: 1-line block ×3, first 2 shown]
	v_fmac_f32_e32 v10, v65, v177
	v_fma_f32 v5, v41, v37, v5
	v_fma_f32 v4, v40, v38, v4
	;; [unrolled: 1-line block ×3, first 2 shown]
	v_fmac_f32_e32 v2, v34, v39
	s_cbranch_scc1 .LBB130_14
; %bb.15:                               ;   in Loop: Header=BB130_6 Depth=1
	s_barrier
	s_branch .LBB130_5
.LBB130_16:
	v_mov_b32_e32 v2, 0
	v_mov_b32_e32 v5, v2
	;; [unrolled: 1-line block ×32, first 2 shown]
	v_cmp_gt_u32_e32 vcc, s10, v34
	s_and_saveexec_b64 s[0:1], vcc
	s_cbranch_execnz .LBB130_19
.LBB130_17:
	s_endpgm
.LBB130_18:
	v_mov_b32_e32 v34, v70
	v_cmp_gt_u32_e32 vcc, s10, v34
	s_and_saveexec_b64 s[0:1], vcc
	s_cbranch_execz .LBB130_17
.LBB130_19:
	v_mul_lo_u32 v34, v34, s14
	v_add_u32_e32 v0, s6, v0
	v_cmp_gt_u32_e32 vcc, s14, v0
	s_and_saveexec_b64 s[2:3], vcc
	s_cbranch_execz .LBB130_21
; %bb.20:
	v_add_u32_e32 v35, v0, v34
	v_mov_b32_e32 v36, 0
	v_lshlrev_b64 v[35:36], 2, v[35:36]
	s_waitcnt lgkmcnt(0)
	v_mov_b32_e32 v37, s13
	v_add_co_u32_e64 v35, s[0:1], s12, v35
	v_addc_co_u32_e64 v36, s[0:1], v37, v36, s[0:1]
	global_store_dword v[35:36], v7, off
.LBB130_21:
	s_or_b64 exec, exec, s[2:3]
	v_add_u32_e32 v7, 32, v0
	v_cmp_gt_u32_e64 s[0:1], s14, v7
	s_and_saveexec_b64 s[4:5], s[0:1]
	s_cbranch_execz .LBB130_23
; %bb.22:
	v_add_u32_e32 v35, v7, v34
	v_mov_b32_e32 v36, 0
	v_lshlrev_b64 v[35:36], 2, v[35:36]
	s_waitcnt lgkmcnt(0)
	v_mov_b32_e32 v37, s13
	v_add_co_u32_e64 v35, s[2:3], s12, v35
	v_addc_co_u32_e64 v36, s[2:3], v37, v36, s[2:3]
	global_store_dword v[35:36], v31, off
.LBB130_23:
	s_or_b64 exec, exec, s[4:5]
	v_add_u32_e32 v31, 64, v0
	v_cmp_gt_u32_e64 s[2:3], s14, v31
	s_and_saveexec_b64 s[6:7], s[2:3]
	;; [unrolled: 15-line block ×3, first 2 shown]
	s_cbranch_execz .LBB130_27
; %bb.26:
	v_add_u32_e32 v34, v27, v34
	v_mov_b32_e32 v35, 0
	v_lshlrev_b64 v[34:35], 2, v[34:35]
	s_waitcnt lgkmcnt(0)
	v_mov_b32_e32 v36, s13
	v_add_co_u32_e64 v34, s[6:7], s12, v34
	v_addc_co_u32_e64 v35, s[6:7], v36, v35, s[6:7]
	global_store_dword v[34:35], v23, off
.LBB130_27:
	s_or_b64 exec, exec, s[8:9]
	v_add3_u32 v23, v1, s15, 8
	v_cmp_gt_u32_e64 s[6:7], s10, v23
	s_and_b64 exec, exec, s[6:7]
	s_cbranch_execz .LBB130_17
; %bb.28:
	v_mul_lo_u32 v23, v23, s14
	s_and_saveexec_b64 s[8:9], vcc
	s_cbranch_execnz .LBB130_68
; %bb.29:
	s_or_b64 exec, exec, s[8:9]
	s_and_saveexec_b64 s[8:9], s[0:1]
	s_cbranch_execnz .LBB130_69
.LBB130_30:
	s_or_b64 exec, exec, s[8:9]
	s_and_saveexec_b64 s[8:9], s[2:3]
	s_cbranch_execnz .LBB130_70
.LBB130_31:
	s_or_b64 exec, exec, s[8:9]
	s_and_saveexec_b64 s[8:9], s[4:5]
	s_cbranch_execz .LBB130_33
.LBB130_32:
	v_add_u32_e32 v34, v23, v27
	v_mov_b32_e32 v35, 0
	v_lshlrev_b64 v[34:35], 2, v[34:35]
	s_waitcnt lgkmcnt(0)
	v_mov_b32_e32 v6, s13
	v_add_co_u32_e64 v34, s[6:7], s12, v34
	v_addc_co_u32_e64 v35, s[6:7], v6, v35, s[6:7]
	global_store_dword v[34:35], v22, off
.LBB130_33:
	s_or_b64 exec, exec, s[8:9]
	v_add3_u32 v6, v1, s15, 16
	v_cmp_gt_u32_e64 s[6:7], s10, v6
	s_and_b64 exec, exec, s[6:7]
	s_cbranch_execz .LBB130_17
; %bb.34:
	v_mul_lo_u32 v6, v6, s14
	s_and_saveexec_b64 s[8:9], vcc
	s_cbranch_execnz .LBB130_71
; %bb.35:
	s_or_b64 exec, exec, s[8:9]
	s_and_saveexec_b64 s[8:9], s[0:1]
	s_cbranch_execnz .LBB130_72
.LBB130_36:
	s_or_b64 exec, exec, s[8:9]
	s_and_saveexec_b64 s[8:9], s[2:3]
	s_cbranch_execnz .LBB130_73
.LBB130_37:
	s_or_b64 exec, exec, s[8:9]
	s_and_saveexec_b64 s[8:9], s[4:5]
	s_cbranch_execz .LBB130_39
.LBB130_38:
	v_add_u32_e32 v22, v6, v27
	v_mov_b32_e32 v23, 0
	v_lshlrev_b64 v[22:23], 2, v[22:23]
	s_waitcnt lgkmcnt(0)
	v_mov_b32_e32 v6, s13
	v_add_co_u32_e64 v22, s[6:7], s12, v22
	v_addc_co_u32_e64 v23, s[6:7], v6, v23, s[6:7]
	global_store_dword v[22:23], v25, off
.LBB130_39:
	s_or_b64 exec, exec, s[8:9]
	v_add3_u32 v6, v1, s15, 24
	v_cmp_gt_u32_e64 s[6:7], s10, v6
	s_and_b64 exec, exec, s[6:7]
	s_cbranch_execz .LBB130_17
; %bb.40:
	v_mul_lo_u32 v6, v6, s14
	s_and_saveexec_b64 s[8:9], vcc
	s_cbranch_execnz .LBB130_74
; %bb.41:
	s_or_b64 exec, exec, s[8:9]
	s_and_saveexec_b64 s[8:9], s[0:1]
	s_cbranch_execnz .LBB130_75
.LBB130_42:
	s_or_b64 exec, exec, s[8:9]
	s_and_saveexec_b64 s[8:9], s[2:3]
	s_cbranch_execnz .LBB130_76
.LBB130_43:
	s_or_b64 exec, exec, s[8:9]
	s_and_saveexec_b64 s[8:9], s[4:5]
	s_cbranch_execz .LBB130_45
.LBB130_44:
	v_add_u32_e32 v8, v6, v27
	v_mov_b32_e32 v9, 0
	v_lshlrev_b64 v[8:9], 2, v[8:9]
	s_waitcnt lgkmcnt(0)
	v_mov_b32_e32 v6, s13
	v_add_co_u32_e64 v8, s[6:7], s12, v8
	v_addc_co_u32_e64 v9, s[6:7], v6, v9, s[6:7]
	global_store_dword v[8:9], v24, off
.LBB130_45:
	s_or_b64 exec, exec, s[8:9]
	v_add3_u32 v6, v1, s15, 32
	v_cmp_gt_u32_e64 s[6:7], s10, v6
	s_and_b64 exec, exec, s[6:7]
	s_cbranch_execz .LBB130_17
; %bb.46:
	v_mul_lo_u32 v6, v6, s14
	s_and_saveexec_b64 s[8:9], vcc
	s_cbranch_execnz .LBB130_77
; %bb.47:
	s_or_b64 exec, exec, s[8:9]
	s_and_saveexec_b64 s[8:9], s[0:1]
	s_cbranch_execnz .LBB130_78
.LBB130_48:
	s_or_b64 exec, exec, s[8:9]
	s_and_saveexec_b64 s[8:9], s[2:3]
	s_cbranch_execnz .LBB130_79
.LBB130_49:
	s_or_b64 exec, exec, s[8:9]
	s_and_saveexec_b64 s[8:9], s[4:5]
	s_cbranch_execz .LBB130_51
.LBB130_50:
	v_add_u32_e32 v8, v6, v27
	v_mov_b32_e32 v9, 0
	v_lshlrev_b64 v[8:9], 2, v[8:9]
	s_waitcnt lgkmcnt(0)
	v_mov_b32_e32 v6, s13
	v_add_co_u32_e64 v8, s[6:7], s12, v8
	v_addc_co_u32_e64 v9, s[6:7], v6, v9, s[6:7]
	global_store_dword v[8:9], v3, off
.LBB130_51:
	s_or_b64 exec, exec, s[8:9]
	v_add3_u32 v3, v1, s15, 40
	v_cmp_gt_u32_e64 s[6:7], s10, v3
	s_and_b64 exec, exec, s[6:7]
	s_cbranch_execz .LBB130_17
; %bb.52:
	v_mul_lo_u32 v3, v3, s14
	s_and_saveexec_b64 s[8:9], vcc
	s_cbranch_execnz .LBB130_80
; %bb.53:
	s_or_b64 exec, exec, s[8:9]
	s_and_saveexec_b64 s[8:9], s[0:1]
	s_cbranch_execnz .LBB130_81
.LBB130_54:
	s_or_b64 exec, exec, s[8:9]
	s_and_saveexec_b64 s[8:9], s[2:3]
	s_cbranch_execnz .LBB130_82
.LBB130_55:
	s_or_b64 exec, exec, s[8:9]
	s_and_saveexec_b64 s[8:9], s[4:5]
	s_cbranch_execz .LBB130_57
.LBB130_56:
	v_add_u32_e32 v8, v3, v27
	v_mov_b32_e32 v9, 0
	v_lshlrev_b64 v[8:9], 2, v[8:9]
	s_waitcnt lgkmcnt(0)
	v_mov_b32_e32 v3, s13
	v_add_co_u32_e64 v8, s[6:7], s12, v8
	v_addc_co_u32_e64 v9, s[6:7], v3, v9, s[6:7]
	global_store_dword v[8:9], v2, off
.LBB130_57:
	s_or_b64 exec, exec, s[8:9]
	v_add3_u32 v2, v1, s15, 48
	v_cmp_gt_u32_e64 s[6:7], s10, v2
	s_and_b64 exec, exec, s[6:7]
	s_cbranch_execz .LBB130_17
; %bb.58:
	v_mul_lo_u32 v2, v2, s14
	s_and_saveexec_b64 s[8:9], vcc
	s_cbranch_execnz .LBB130_83
; %bb.59:
	s_or_b64 exec, exec, s[8:9]
	s_and_saveexec_b64 s[8:9], s[0:1]
	s_cbranch_execnz .LBB130_84
.LBB130_60:
	s_or_b64 exec, exec, s[8:9]
	s_and_saveexec_b64 s[8:9], s[2:3]
	s_cbranch_execnz .LBB130_85
.LBB130_61:
	s_or_b64 exec, exec, s[8:9]
	s_and_saveexec_b64 s[8:9], s[4:5]
	s_cbranch_execz .LBB130_63
.LBB130_62:
	v_add_u32_e32 v2, v2, v27
	v_mov_b32_e32 v3, 0
	v_lshlrev_b64 v[2:3], 2, v[2:3]
	s_waitcnt lgkmcnt(0)
	v_mov_b32_e32 v6, s13
	v_add_co_u32_e64 v2, s[6:7], s12, v2
	v_addc_co_u32_e64 v3, s[6:7], v6, v3, s[6:7]
	global_store_dword v[2:3], v5, off
.LBB130_63:
	s_or_b64 exec, exec, s[8:9]
	v_add3_u32 v1, v1, s15, 56
	v_cmp_gt_u32_e64 s[6:7], s10, v1
	s_and_b64 exec, exec, s[6:7]
	s_cbranch_execz .LBB130_17
; %bb.64:
	v_mul_lo_u32 v1, v1, s14
	s_and_saveexec_b64 s[6:7], vcc
	s_cbranch_execnz .LBB130_86
; %bb.65:
	s_or_b64 exec, exec, s[6:7]
	s_and_saveexec_b64 s[6:7], s[0:1]
	s_cbranch_execnz .LBB130_87
.LBB130_66:
	s_or_b64 exec, exec, s[6:7]
	s_and_saveexec_b64 s[0:1], s[2:3]
	s_cbranch_execnz .LBB130_88
.LBB130_67:
	s_or_b64 exec, exec, s[0:1]
	s_and_b64 exec, exec, s[4:5]
	s_cbranch_execz .LBB130_17
	s_branch .LBB130_89
.LBB130_68:
	v_add_u32_e32 v34, v23, v0
	v_mov_b32_e32 v35, 0
	v_lshlrev_b64 v[34:35], 2, v[34:35]
	s_waitcnt lgkmcnt(0)
	v_mov_b32_e32 v36, s13
	v_add_co_u32_e64 v34, s[6:7], s12, v34
	v_addc_co_u32_e64 v35, s[6:7], v36, v35, s[6:7]
	global_store_dword v[34:35], v6, off
	s_or_b64 exec, exec, s[8:9]
	s_and_saveexec_b64 s[8:9], s[0:1]
	s_cbranch_execz .LBB130_30
.LBB130_69:
	v_add_u32_e32 v34, v23, v7
	v_mov_b32_e32 v35, 0
	v_lshlrev_b64 v[34:35], 2, v[34:35]
	s_waitcnt lgkmcnt(0)
	v_mov_b32_e32 v6, s13
	v_add_co_u32_e64 v34, s[6:7], s12, v34
	v_addc_co_u32_e64 v35, s[6:7], v6, v35, s[6:7]
	global_store_dword v[34:35], v30, off
	s_or_b64 exec, exec, s[8:9]
	s_and_saveexec_b64 s[8:9], s[2:3]
	s_cbranch_execz .LBB130_31
.LBB130_70:
	v_add_u32_e32 v34, v23, v31
	v_mov_b32_e32 v35, 0
	v_lshlrev_b64 v[34:35], 2, v[34:35]
	s_waitcnt lgkmcnt(0)
	v_mov_b32_e32 v6, s13
	v_add_co_u32_e64 v34, s[6:7], s12, v34
	v_addc_co_u32_e64 v35, s[6:7], v6, v35, s[6:7]
	global_store_dword v[34:35], v26, off
	s_or_b64 exec, exec, s[8:9]
	s_and_saveexec_b64 s[8:9], s[4:5]
	s_cbranch_execnz .LBB130_32
	s_branch .LBB130_33
.LBB130_71:
	v_add_u32_e32 v22, v6, v0
	v_mov_b32_e32 v23, 0
	v_lshlrev_b64 v[22:23], 2, v[22:23]
	s_waitcnt lgkmcnt(0)
	v_mov_b32_e32 v26, s13
	v_add_co_u32_e64 v22, s[6:7], s12, v22
	v_addc_co_u32_e64 v23, s[6:7], v26, v23, s[6:7]
	global_store_dword v[22:23], v9, off
	s_or_b64 exec, exec, s[8:9]
	s_and_saveexec_b64 s[8:9], s[0:1]
	s_cbranch_execz .LBB130_36
.LBB130_72:
	v_add_u32_e32 v22, v6, v7
	v_mov_b32_e32 v23, 0
	v_lshlrev_b64 v[22:23], 2, v[22:23]
	s_waitcnt lgkmcnt(0)
	v_mov_b32_e32 v9, s13
	v_add_co_u32_e64 v22, s[6:7], s12, v22
	v_addc_co_u32_e64 v23, s[6:7], v9, v23, s[6:7]
	global_store_dword v[22:23], v33, off
	s_or_b64 exec, exec, s[8:9]
	s_and_saveexec_b64 s[8:9], s[2:3]
	s_cbranch_execz .LBB130_37
.LBB130_73:
	v_add_u32_e32 v22, v6, v31
	v_mov_b32_e32 v23, 0
	v_lshlrev_b64 v[22:23], 2, v[22:23]
	s_waitcnt lgkmcnt(0)
	v_mov_b32_e32 v9, s13
	v_add_co_u32_e64 v22, s[6:7], s12, v22
	v_addc_co_u32_e64 v23, s[6:7], v9, v23, s[6:7]
	global_store_dword v[22:23], v29, off
	s_or_b64 exec, exec, s[8:9]
	s_and_saveexec_b64 s[8:9], s[4:5]
	s_cbranch_execnz .LBB130_38
	s_branch .LBB130_39
.LBB130_74:
	v_add_u32_e32 v22, v6, v0
	v_mov_b32_e32 v23, 0
	v_lshlrev_b64 v[22:23], 2, v[22:23]
	s_waitcnt lgkmcnt(0)
	v_mov_b32_e32 v9, s13
	v_add_co_u32_e64 v22, s[6:7], s12, v22
	v_addc_co_u32_e64 v23, s[6:7], v9, v23, s[6:7]
	global_store_dword v[22:23], v8, off
	s_or_b64 exec, exec, s[8:9]
	s_and_saveexec_b64 s[8:9], s[0:1]
	s_cbranch_execz .LBB130_42
.LBB130_75:
	v_add_u32_e32 v8, v6, v7
	v_mov_b32_e32 v9, 0
	v_lshlrev_b64 v[8:9], 2, v[8:9]
	s_waitcnt lgkmcnt(0)
	v_mov_b32_e32 v22, s13
	v_add_co_u32_e64 v8, s[6:7], s12, v8
	v_addc_co_u32_e64 v9, s[6:7], v22, v9, s[6:7]
	global_store_dword v[8:9], v32, off
	s_or_b64 exec, exec, s[8:9]
	s_and_saveexec_b64 s[8:9], s[2:3]
	s_cbranch_execz .LBB130_43
.LBB130_76:
	v_add_u32_e32 v8, v6, v31
	v_mov_b32_e32 v9, 0
	v_lshlrev_b64 v[8:9], 2, v[8:9]
	s_waitcnt lgkmcnt(0)
	v_mov_b32_e32 v22, s13
	v_add_co_u32_e64 v8, s[6:7], s12, v8
	v_addc_co_u32_e64 v9, s[6:7], v22, v9, s[6:7]
	global_store_dword v[8:9], v28, off
	s_or_b64 exec, exec, s[8:9]
	s_and_saveexec_b64 s[8:9], s[4:5]
	s_cbranch_execnz .LBB130_44
	s_branch .LBB130_45
.LBB130_77:
	v_add_u32_e32 v8, v6, v0
	v_mov_b32_e32 v9, 0
	v_lshlrev_b64 v[8:9], 2, v[8:9]
	s_waitcnt lgkmcnt(0)
	v_mov_b32_e32 v22, s13
	v_add_co_u32_e64 v8, s[6:7], s12, v8
	v_addc_co_u32_e64 v9, s[6:7], v22, v9, s[6:7]
	global_store_dword v[8:9], v19, off
	s_or_b64 exec, exec, s[8:9]
	s_and_saveexec_b64 s[8:9], s[0:1]
	s_cbranch_execz .LBB130_48
.LBB130_78:
	v_add_u32_e32 v8, v6, v7
	v_mov_b32_e32 v9, 0
	v_lshlrev_b64 v[8:9], 2, v[8:9]
	s_waitcnt lgkmcnt(0)
	v_mov_b32_e32 v19, s13
	v_add_co_u32_e64 v8, s[6:7], s12, v8
	v_addc_co_u32_e64 v9, s[6:7], v19, v9, s[6:7]
	global_store_dword v[8:9], v15, off
	s_or_b64 exec, exec, s[8:9]
	s_and_saveexec_b64 s[8:9], s[2:3]
	s_cbranch_execz .LBB130_49
.LBB130_79:
	v_add_u32_e32 v8, v6, v31
	v_mov_b32_e32 v9, 0
	v_lshlrev_b64 v[8:9], 2, v[8:9]
	s_waitcnt lgkmcnt(0)
	v_mov_b32_e32 v15, s13
	v_add_co_u32_e64 v8, s[6:7], s12, v8
	v_addc_co_u32_e64 v9, s[6:7], v15, v9, s[6:7]
	global_store_dword v[8:9], v11, off
	s_or_b64 exec, exec, s[8:9]
	s_and_saveexec_b64 s[8:9], s[4:5]
	s_cbranch_execnz .LBB130_50
	s_branch .LBB130_51
.LBB130_80:
	v_add_u32_e32 v8, v3, v0
	v_mov_b32_e32 v9, 0
	v_lshlrev_b64 v[8:9], 2, v[8:9]
	s_waitcnt lgkmcnt(0)
	v_mov_b32_e32 v6, s13
	v_add_co_u32_e64 v8, s[6:7], s12, v8
	v_addc_co_u32_e64 v9, s[6:7], v6, v9, s[6:7]
	global_store_dword v[8:9], v18, off
	s_or_b64 exec, exec, s[8:9]
	s_and_saveexec_b64 s[8:9], s[0:1]
	s_cbranch_execz .LBB130_54
.LBB130_81:
	v_add_u32_e32 v8, v3, v7
	v_mov_b32_e32 v9, 0
	v_lshlrev_b64 v[8:9], 2, v[8:9]
	s_waitcnt lgkmcnt(0)
	v_mov_b32_e32 v6, s13
	v_add_co_u32_e64 v8, s[6:7], s12, v8
	v_addc_co_u32_e64 v9, s[6:7], v6, v9, s[6:7]
	global_store_dword v[8:9], v14, off
	s_or_b64 exec, exec, s[8:9]
	s_and_saveexec_b64 s[8:9], s[2:3]
	s_cbranch_execz .LBB130_55
.LBB130_82:
	v_add_u32_e32 v8, v3, v31
	v_mov_b32_e32 v9, 0
	v_lshlrev_b64 v[8:9], 2, v[8:9]
	s_waitcnt lgkmcnt(0)
	v_mov_b32_e32 v6, s13
	v_add_co_u32_e64 v8, s[6:7], s12, v8
	v_addc_co_u32_e64 v9, s[6:7], v6, v9, s[6:7]
	global_store_dword v[8:9], v10, off
	s_or_b64 exec, exec, s[8:9]
	s_and_saveexec_b64 s[8:9], s[4:5]
	s_cbranch_execnz .LBB130_56
	s_branch .LBB130_57
.LBB130_83:
	v_add_u32_e32 v8, v2, v0
	v_mov_b32_e32 v9, 0
	v_lshlrev_b64 v[8:9], 2, v[8:9]
	s_waitcnt lgkmcnt(0)
	v_mov_b32_e32 v3, s13
	v_add_co_u32_e64 v8, s[6:7], s12, v8
	v_addc_co_u32_e64 v9, s[6:7], v3, v9, s[6:7]
	global_store_dword v[8:9], v21, off
	s_or_b64 exec, exec, s[8:9]
	s_and_saveexec_b64 s[8:9], s[0:1]
	s_cbranch_execz .LBB130_60
.LBB130_84:
	v_add_u32_e32 v8, v2, v7
	v_mov_b32_e32 v9, 0
	v_lshlrev_b64 v[8:9], 2, v[8:9]
	s_waitcnt lgkmcnt(0)
	v_mov_b32_e32 v3, s13
	v_add_co_u32_e64 v8, s[6:7], s12, v8
	v_addc_co_u32_e64 v9, s[6:7], v3, v9, s[6:7]
	global_store_dword v[8:9], v17, off
	s_or_b64 exec, exec, s[8:9]
	s_and_saveexec_b64 s[8:9], s[2:3]
	s_cbranch_execz .LBB130_61
.LBB130_85:
	v_add_u32_e32 v8, v2, v31
	v_mov_b32_e32 v9, 0
	v_lshlrev_b64 v[8:9], 2, v[8:9]
	s_waitcnt lgkmcnt(0)
	v_mov_b32_e32 v3, s13
	v_add_co_u32_e64 v8, s[6:7], s12, v8
	v_addc_co_u32_e64 v9, s[6:7], v3, v9, s[6:7]
	global_store_dword v[8:9], v13, off
	s_or_b64 exec, exec, s[8:9]
	s_and_saveexec_b64 s[8:9], s[4:5]
	s_cbranch_execnz .LBB130_62
	s_branch .LBB130_63
.LBB130_86:
	v_add_u32_e32 v2, v1, v0
	v_mov_b32_e32 v3, 0
	v_lshlrev_b64 v[2:3], 2, v[2:3]
	s_waitcnt lgkmcnt(0)
	v_mov_b32_e32 v0, s13
	v_add_co_u32_e32 v2, vcc, s12, v2
	v_addc_co_u32_e32 v3, vcc, v0, v3, vcc
	global_store_dword v[2:3], v20, off
	s_or_b64 exec, exec, s[6:7]
	s_and_saveexec_b64 s[6:7], s[0:1]
	s_cbranch_execz .LBB130_66
.LBB130_87:
	v_add_u32_e32 v2, v1, v7
	v_mov_b32_e32 v3, 0
	v_lshlrev_b64 v[2:3], 2, v[2:3]
	s_waitcnt lgkmcnt(0)
	v_mov_b32_e32 v0, s13
	v_add_co_u32_e32 v2, vcc, s12, v2
	v_addc_co_u32_e32 v3, vcc, v0, v3, vcc
	global_store_dword v[2:3], v16, off
	s_or_b64 exec, exec, s[6:7]
	s_and_saveexec_b64 s[0:1], s[2:3]
	s_cbranch_execz .LBB130_67
.LBB130_88:
	v_add_u32_e32 v2, v1, v31
	v_mov_b32_e32 v3, 0
	v_lshlrev_b64 v[2:3], 2, v[2:3]
	s_waitcnt lgkmcnt(0)
	v_mov_b32_e32 v0, s13
	v_add_co_u32_e32 v2, vcc, s12, v2
	v_addc_co_u32_e32 v3, vcc, v0, v3, vcc
	global_store_dword v[2:3], v12, off
	s_or_b64 exec, exec, s[0:1]
	s_and_b64 exec, exec, s[4:5]
	s_cbranch_execz .LBB130_17
.LBB130_89:
	v_add_u32_e32 v0, v1, v27
	v_mov_b32_e32 v1, 0
	v_lshlrev_b64 v[0:1], 2, v[0:1]
	s_waitcnt lgkmcnt(0)
	v_mov_b32_e32 v2, s13
	v_add_co_u32_e32 v0, vcc, s12, v0
	v_addc_co_u32_e32 v1, vcc, v2, v1, vcc
	global_store_dword v[0:1], v4, off
	s_endpgm
	.section	.rodata,"a",@progbits
	.p2align	6, 0x0
	.amdhsa_kernel _ZL12mul_mat_q3_KIfLb1EEvPKvS1_PT_iiiii
		.amdhsa_group_segment_fixed_size 39840
		.amdhsa_private_segment_fixed_size 0
		.amdhsa_kernarg_size 44
		.amdhsa_user_sgpr_count 6
		.amdhsa_user_sgpr_private_segment_buffer 1
		.amdhsa_user_sgpr_dispatch_ptr 0
		.amdhsa_user_sgpr_queue_ptr 0
		.amdhsa_user_sgpr_kernarg_segment_ptr 1
		.amdhsa_user_sgpr_dispatch_id 0
		.amdhsa_user_sgpr_flat_scratch_init 0
		.amdhsa_user_sgpr_private_segment_size 0
		.amdhsa_uses_dynamic_stack 0
		.amdhsa_system_sgpr_private_segment_wavefront_offset 0
		.amdhsa_system_sgpr_workgroup_id_x 1
		.amdhsa_system_sgpr_workgroup_id_y 1
		.amdhsa_system_sgpr_workgroup_id_z 0
		.amdhsa_system_sgpr_workgroup_info 0
		.amdhsa_system_vgpr_workitem_id 1
		.amdhsa_next_free_vgpr 244
		.amdhsa_next_free_sgpr 98
		.amdhsa_reserve_vcc 1
		.amdhsa_reserve_flat_scratch 0
		.amdhsa_float_round_mode_32 0
		.amdhsa_float_round_mode_16_64 0
		.amdhsa_float_denorm_mode_32 3
		.amdhsa_float_denorm_mode_16_64 3
		.amdhsa_dx10_clamp 1
		.amdhsa_ieee_mode 1
		.amdhsa_fp16_overflow 0
		.amdhsa_exception_fp_ieee_invalid_op 0
		.amdhsa_exception_fp_denorm_src 0
		.amdhsa_exception_fp_ieee_div_zero 0
		.amdhsa_exception_fp_ieee_overflow 0
		.amdhsa_exception_fp_ieee_underflow 0
		.amdhsa_exception_fp_ieee_inexact 0
		.amdhsa_exception_int_div_zero 0
	.end_amdhsa_kernel
	.section	.text._ZL12mul_mat_q3_KIfLb1EEvPKvS1_PT_iiiii,"axG",@progbits,_ZL12mul_mat_q3_KIfLb1EEvPKvS1_PT_iiiii,comdat
.Lfunc_end130:
	.size	_ZL12mul_mat_q3_KIfLb1EEvPKvS1_PT_iiiii, .Lfunc_end130-_ZL12mul_mat_q3_KIfLb1EEvPKvS1_PT_iiiii
                                        ; -- End function
	.set _ZL12mul_mat_q3_KIfLb1EEvPKvS1_PT_iiiii.num_vgpr, 244
	.set _ZL12mul_mat_q3_KIfLb1EEvPKvS1_PT_iiiii.num_agpr, 0
	.set _ZL12mul_mat_q3_KIfLb1EEvPKvS1_PT_iiiii.numbered_sgpr, 25
	.set _ZL12mul_mat_q3_KIfLb1EEvPKvS1_PT_iiiii.num_named_barrier, 0
	.set _ZL12mul_mat_q3_KIfLb1EEvPKvS1_PT_iiiii.private_seg_size, 0
	.set _ZL12mul_mat_q3_KIfLb1EEvPKvS1_PT_iiiii.uses_vcc, 1
	.set _ZL12mul_mat_q3_KIfLb1EEvPKvS1_PT_iiiii.uses_flat_scratch, 0
	.set _ZL12mul_mat_q3_KIfLb1EEvPKvS1_PT_iiiii.has_dyn_sized_stack, 0
	.set _ZL12mul_mat_q3_KIfLb1EEvPKvS1_PT_iiiii.has_recursion, 0
	.set _ZL12mul_mat_q3_KIfLb1EEvPKvS1_PT_iiiii.has_indirect_call, 0
	.section	.AMDGPU.csdata,"",@progbits
; Kernel info:
; codeLenInByte = 35136
; TotalNumSgprs: 29
; NumVgprs: 244
; ScratchSize: 0
; MemoryBound: 0
; FloatMode: 240
; IeeeMode: 1
; LDSByteSize: 39840 bytes/workgroup (compile time only)
; SGPRBlocks: 12
; VGPRBlocks: 60
; NumSGPRsForWavesPerEU: 102
; NumVGPRsForWavesPerEU: 244
; Occupancy: 1
; WaveLimiterHint : 0
; COMPUTE_PGM_RSRC2:SCRATCH_EN: 0
; COMPUTE_PGM_RSRC2:USER_SGPR: 6
; COMPUTE_PGM_RSRC2:TRAP_HANDLER: 0
; COMPUTE_PGM_RSRC2:TGID_X_EN: 1
; COMPUTE_PGM_RSRC2:TGID_Y_EN: 1
; COMPUTE_PGM_RSRC2:TGID_Z_EN: 0
; COMPUTE_PGM_RSRC2:TIDIG_COMP_CNT: 1
	.section	.text._ZL12mul_mat_q4_KIfLb0EEvPKvS1_PT_iiiii,"axG",@progbits,_ZL12mul_mat_q4_KIfLb0EEvPKvS1_PT_iiiii,comdat
	.globl	_ZL12mul_mat_q4_KIfLb0EEvPKvS1_PT_iiiii ; -- Begin function _ZL12mul_mat_q4_KIfLb0EEvPKvS1_PT_iiiii
	.p2align	8
	.type	_ZL12mul_mat_q4_KIfLb0EEvPKvS1_PT_iiiii,@function
_ZL12mul_mat_q4_KIfLb0EEvPKvS1_PT_iiiii: ; @_ZL12mul_mat_q4_KIfLb0EEvPKvS1_PT_iiiii
; %bb.0:
	s_mov_b64 s[22:23], s[2:3]
	s_mov_b64 s[20:21], s[0:1]
	s_add_u32 s20, s20, s8
	s_load_dword s14, s[4:5], 0x18
	s_load_dwordx4 s[8:11], s[4:5], 0x20
	s_addc_u32 s21, s21, 0
	s_waitcnt lgkmcnt(0)
	s_lshl_b32 s11, s7, 6
	v_mov_b32_e32 v71, v0
	s_cmpk_gt_i32 s14, 0xff
	v_add_u32_e32 v25, s11, v1
	s_cbranch_scc1 .LBB131_2
; %bb.1:
	v_add_u32_e32 v0, s11, v1
	s_mov_b64 s[0:1], 0
	s_branch .LBB131_3
.LBB131_2:
	s_mov_b64 s[0:1], -1
                                        ; implicit-def: $vgpr0
.LBB131_3:
	s_load_dwordx2 s[12:13], s[4:5], 0x10
	s_lshl_b32 s6, s6, 7
	v_mov_b32_e32 v37, 0
	s_andn2_b64 vcc, exec, s[0:1]
	v_mov_b32_e32 v47, 0
	v_mov_b32_e32 v74, 0
	;; [unrolled: 1-line block ×31, first 2 shown]
	s_cbranch_vccnz .LBB131_12
; %bb.4:
	s_load_dwordx4 s[0:3], s[4:5], 0x0
	s_ashr_i32 s4, s14, 31
	s_lshr_b32 s4, s4, 24
	s_add_i32 s14, s14, s4
	s_ashr_i32 s5, s9, 31
	s_ashr_i32 s4, s14, 8
	s_lshr_b32 s5, s5, 27
	s_add_i32 s5, s9, s5
	s_mul_i32 s7, s4, s6
	s_ashr_i32 s15, s5, 5
	s_mul_hi_i32 s9, s7, 0x90
	s_mulk_i32 s7, 0x90
	s_waitcnt lgkmcnt(0)
	s_add_u32 s7, s0, s7
	s_addc_u32 s9, s1, s9
	s_lshl_b32 s1, s4, 3
	v_mov_b32_e32 v2, s1
	v_mad_i32_i24 v2, s4, v1, v2
	v_add_u32_e32 v3, s1, v2
	v_add_u32_e32 v4, s1, v3
	;; [unrolled: 1-line block ×5, first 2 shown]
	buffer_store_dword v7, off, s[20:23], 0 offset:312 ; 4-byte Folded Spill
	v_add_u32_e32 v7, s1, v7
	buffer_store_dword v7, off, s[20:23], 0 offset:316 ; 4-byte Folded Spill
	v_add_u32_e32 v7, s1, v7
	;; [unrolled: 2-line block ×9, first 2 shown]
	buffer_store_dword v7, off, s[20:23], 0 offset:348 ; 4-byte Folded Spill
	v_lshlrev_b32_e32 v7, 5, v1
	buffer_store_dword v7, off, s[20:23], 0 offset:128 ; 4-byte Folded Spill
	v_add_u32_e32 v7, v7, v71
	v_and_b32_e32 v8, 0x7f, v7
	v_lshrrev_b32_e32 v7, 3, v7
	v_mul_i32_i24_e32 v9, s4, v8
	v_and_b32_e32 v7, 12, v7
	v_lshlrev_b32_e32 v8, 2, v8
	s_movk_i32 s1, 0x6e40
	v_add3_u32 v7, v8, v7, s1
	v_and_b32_e32 v10, 3, v71
	buffer_store_dword v7, off, s[20:23], 0 offset:356 ; 4-byte Folded Spill
	v_add_u32_e32 v7, 0xfe, v10
	v_and_b32_e32 v7, 0xff, v7
	v_cmp_gt_u32_e32 vcc, 2, v10
	buffer_store_dword v9, off, s[20:23], 0 offset:352 ; 4-byte Folded Spill
	v_lshlrev_b32_e32 v9, 3, v1
	v_lshrrev_b32_e32 v11, 2, v71
	v_cndmask_b32_e32 v12, v7, v10, vcc
	v_cmp_ne_u32_e32 vcc, 0, v10
	v_add_u32_e32 v15, v11, v9
	v_addc_co_u32_e32 v7, vcc, 0, v12, vcc
	v_lshlrev_b32_e32 v12, 1, v12
	buffer_store_dword v12, off, s[20:23], 0 offset:364 ; 4-byte Folded Spill
	v_and_b32_e32 v12, 0x7f, v15
	v_add_u16_e32 v9, v11, v9
	v_mul_i32_i24_e32 v13, s4, v12
	v_lshlrev_b32_e32 v19, 2, v10
	v_lshrrev_b16_e32 v9, 1, v9
	buffer_store_dword v13, off, s[20:23], 0 offset:368 ; 4-byte Folded Spill
	v_lshl_or_b32 v13, v12, 4, v19
	v_and_b32_e32 v9, 60, v9
	s_movk_i32 s16, 0x6200
	v_add3_u32 v9, v13, v9, s16
	buffer_store_dword v9, off, s[20:23], 0 offset:372 ; 4-byte Folded Spill
	v_xor_b32_e32 v9, 64, v12
	v_mul_i32_i24_e32 v11, s4, v9
	buffer_store_dword v11, off, s[20:23], 0 offset:376 ; 4-byte Folded Spill
	v_lshl_or_b32 v11, v9, 4, v19
	v_lshrrev_b32_e32 v9, 1, v9
	v_and_b32_e32 v9, 60, v9
	v_add3_u32 v9, v11, v9, s16
	s_add_i32 s16, s8, -1
	v_cvt_f64_i32_e32 v[11:12], s16
	v_cvt_f64_u32_e32 v[13:14], v25
	v_and_b32_e32 v16, 31, v71
	v_mov_b32_e32 v17, 0x4200
	v_and_b32_e32 v20, 63, v15
	v_add_u32_e32 v15, 8, v25
	v_lshl_or_b32 v28, v16, 2, v17
	v_min_f64 v[13:14], v[13:14], v[11:12]
	v_cvt_f64_u32_e32 v[15:16], v15
	v_add_u32_e32 v17, 16, v25
	v_cvt_f64_u32_e32 v[17:18], v17
	v_or_b32_e32 v21, s11, v20
	v_min_f64 v[15:16], v[15:16], v[11:12]
	v_min_i32_e32 v21, s16, v21
	v_min_f64 v[17:18], v[17:18], v[11:12]
	v_mad_u64_u32 v[21:22], s[16:17], v21, s15, v[10:11]
	v_cvt_i32_f64_e32 v13, v[13:14]
	v_lshlrev_b32_e32 v30, 2, v71
	v_and_b32_e32 v0, 0x7c, v30
	s_movk_i32 s0, 0x84
	v_and_b32_e32 v8, 4, v30
	v_cmp_lt_u32_e32 vcc, 1, v10
	v_lshl_or_b32 v10, v20, 4, v19
	buffer_store_dword v0, off, s[20:23], 0 offset:284 ; 4-byte Folded Spill
	v_mad_u32_u24 v0, v1, s0, v30
	v_cndmask_b32_e32 v8, 0, v8, vcc
	v_add_u32_e32 v10, 0x6a40, v10
	buffer_store_dword v0, off, s[20:23], 0 offset:288 ; 4-byte Folded Spill
	buffer_store_dword v2, off, s[20:23], 0 offset:292 ; 4-byte Folded Spill
	;; [unrolled: 1-line block ×9, first 2 shown]
	s_nop 0
	buffer_store_dword v22, off, s[20:23], 0 offset:392 ; 4-byte Folded Spill
	buffer_store_dword v10, off, s[20:23], 0 offset:184 ; 4-byte Folded Spill
	v_cvt_i32_f64_e32 v10, v[15:16]
	v_mul_lo_u32 v13, s15, v13
	v_lshlrev_b32_e32 v14, 7, v1
	buffer_store_dword v14, off, s[20:23], 0 offset:192 ; 4-byte Folded Spill
	v_mul_lo_u32 v10, s15, v10
	buffer_store_dword v13, off, s[20:23], 0 offset:188 ; 4-byte Folded Spill
	v_cvt_i32_f64_e32 v13, v[17:18]
	buffer_store_dword v25, off, s[20:23], 0 offset:424 ; 4-byte Folded Spill
	buffer_store_dword v10, off, s[20:23], 0 offset:196 ; 4-byte Folded Spill
	v_add_u32_e32 v0, 8, v1
	v_mul_lo_u32 v10, s15, v13
	v_lshrrev_b32_e32 v27, 5, v71
	v_add_u32_e32 v26, 16, v1
	v_lshlrev_b32_e32 v23, 7, v0
	buffer_store_dword v10, off, s[20:23], 0 offset:200 ; 4-byte Folded Spill
	v_add_u32_e32 v10, 24, v25
	v_cvt_f64_u32_e32 v[13:14], v10
	v_add_u32_e32 v10, 32, v25
	v_cvt_f64_u32_e32 v[15:16], v10
	;; [unrolled: 2-line block ×3, first 2 shown]
	v_min_f64 v[13:14], v[13:14], v[11:12]
	v_add_u32_e32 v10, 48, v25
	v_min_f64 v[15:16], v[15:16], v[11:12]
	v_min_f64 v[17:18], v[17:18], v[11:12]
	v_cvt_f64_u32_e32 v[19:20], v10
	v_add_u32_e32 v10, 56, v25
	v_cvt_f64_u32_e32 v[21:22], v10
	v_lshlrev_b32_e32 v0, 5, v0
	v_cvt_i32_f64_e32 v25, v[13:14]
	v_min_f64 v[13:14], v[19:20], v[11:12]
	v_cvt_i32_f64_e32 v15, v[15:16]
	v_cvt_i32_f64_e32 v16, v[17:18]
	v_min_f64 v[10:11], v[21:22], v[11:12]
	v_add_u32_e32 v2, 24, v1
	buffer_store_dword v0, off, s[20:23], 0 offset:132 ; 4-byte Folded Spill
	v_lshlrev_b32_e32 v0, 5, v26
	v_add_u32_e32 v3, 32, v1
	v_cvt_i32_f64_e32 v13, v[13:14]
	v_mul_lo_u32 v14, s15, v16
	buffer_store_dword v0, off, s[20:23], 0 offset:136 ; 4-byte Folded Spill
	v_lshlrev_b32_e32 v0, 5, v2
	v_add_u32_e32 v4, 40, v1
	buffer_store_dword v14, off, s[20:23], 0 offset:212 ; 4-byte Folded Spill
	v_lshlrev_b32_e32 v14, 2, v27
	v_add3_u32 v14, v30, v14, s1
	buffer_store_dword v14, off, s[20:23], 0 offset:224 ; 4-byte Folded Spill
	v_add_u32_e32 v14, 32, v71
	buffer_store_dword v0, off, s[20:23], 0 offset:140 ; 4-byte Folded Spill
	v_lshlrev_b32_e32 v0, 5, v3
	v_add_u32_e32 v5, 48, v1
	v_lshrrev_b32_e32 v21, 3, v14
	buffer_store_dword v0, off, s[20:23], 0 offset:144 ; 4-byte Folded Spill
	v_lshlrev_b32_e32 v0, 5, v4
	v_add_u32_e32 v6, 56, v1
	v_lshlrev_b32_e32 v16, 2, v14
	v_and_b32_e32 v14, 60, v21
	buffer_store_dword v0, off, s[20:23], 0 offset:148 ; 4-byte Folded Spill
	v_lshlrev_b32_e32 v0, 5, v5
	v_add3_u32 v14, v30, v14, s1
	buffer_store_dword v0, off, s[20:23], 0 offset:152 ; 4-byte Folded Spill
	v_lshlrev_b32_e32 v0, 5, v6
	v_cvt_i32_f64_e32 v10, v[10:11]
	buffer_store_dword v14, off, s[20:23], 0 offset:228 ; 4-byte Folded Spill
	v_add_u32_e32 v14, 64, v71
	buffer_store_dword v0, off, s[20:23], 0 offset:156 ; 4-byte Folded Spill
	v_mov_b32_e32 v0, 0x1080
	v_lshlrev_b32_e32 v17, 2, v14
	v_lshrrev_b32_e32 v14, 3, v14
	v_mad_u32_u24 v0, v71, s0, v0
	v_mul_lo_u32 v12, s15, v25
	v_and_b32_e32 v18, 60, v14
	buffer_store_dword v0, off, s[20:23], 0 offset:160 ; 4-byte Folded Spill
	v_mov_b32_e32 v0, 0x2100
	v_mul_lo_u32 v15, s15, v15
	v_add3_u32 v18, v30, v18, s1
	v_mad_u32_u24 v0, v71, s0, v0
	v_mul_lo_u32 v13, s15, v13
	v_mul_lo_u32 v10, s15, v10
	buffer_store_dword v18, off, s[20:23], 0 offset:232 ; 4-byte Folded Spill
	v_add_u32_e32 v18, 0x60, v71
	buffer_store_dword v0, off, s[20:23], 0 offset:164 ; 4-byte Folded Spill
	v_mov_b32_e32 v0, 0x3180
	v_and_b32_e32 v9, 28, v30
	v_lshlrev_b32_e32 v19, 2, v18
	v_lshrrev_b32_e32 v18, 3, v18
	v_mad_u32_u24 v0, v71, s0, v0
	v_cndmask_b32_e64 v8, 0, 1, vcc
	buffer_store_dword v12, off, s[20:23], 0 offset:204 ; 4-byte Folded Spill
	v_lshlrev_b32_e32 v12, 7, v2
	v_and_b32_e32 v20, 60, v18
	buffer_store_dword v0, off, s[20:23], 0 offset:168 ; 4-byte Folded Spill
	v_mov_b32_e32 v0, s3
	v_add_co_u32_e32 v2, vcc, s2, v9
	buffer_store_dword v15, off, s[20:23], 0 offset:208 ; 4-byte Folded Spill
	v_lshlrev_b32_e32 v15, 7, v3
	v_add3_u32 v20, v30, v20, s1
	v_addc_co_u32_e32 v3, vcc, 0, v0, vcc
	v_mad_u32_u24 v0, v71, s0, 64
	buffer_store_dword v13, off, s[20:23], 0 offset:216 ; 4-byte Folded Spill
	buffer_store_dword v10, off, s[20:23], 0 offset:220 ; 4-byte Folded Spill
	;; [unrolled: 1-line block ×5, first 2 shown]
	s_nop 0
	buffer_store_dword v3, off, s[20:23], 0 offset:244 ; 4-byte Folded Spill
	buffer_store_dword v0, off, s[20:23], 0 offset:404 ; 4-byte Folded Spill
	v_mov_b32_e32 v0, 0x6a40
	v_lshl_add_u32 v0, v1, 4, v0
	buffer_store_dword v0, off, s[20:23], 0 offset:408 ; 4-byte Folded Spill
	v_lshlrev_b32_e32 v0, 2, v18
	buffer_store_dword v0, off, s[20:23], 0 offset:60 ; 4-byte Folded Spill
	v_lshlrev_b32_e32 v0, 2, v7
	;; [unrolled: 2-line block ×6, first 2 shown]
	v_lshlrev_b32_e32 v24, 7, v26
	buffer_store_dword v0, off, s[20:23], 0 offset:180 ; 4-byte Folded Spill
	v_add_u32_e32 v0, v28, v23
	buffer_store_dword v0, off, s[20:23], 0 offset:248 ; 4-byte Folded Spill
	v_add_u32_e32 v0, v28, v24
	buffer_store_dword v0, off, s[20:23], 0 offset:252 ; 4-byte Folded Spill
	v_add_u32_e32 v0, v28, v12
	v_lshlrev_b32_e32 v11, 7, v4
	buffer_store_dword v0, off, s[20:23], 0 offset:256 ; 4-byte Folded Spill
	v_add_u32_e32 v0, v28, v15
	v_lshlrev_b32_e32 v13, 7, v5
	buffer_store_dword v0, off, s[20:23], 0 offset:260 ; 4-byte Folded Spill
	v_add_u32_e32 v0, v28, v11
	v_lshrrev_b32_e32 v29, 3, v71
	v_lshlrev_b32_e32 v10, 7, v6
	buffer_store_dword v0, off, s[20:23], 0 offset:264 ; 4-byte Folded Spill
	v_add_u32_e32 v0, v28, v13
	s_movk_i32 s5, 0x90
	s_mov_b32 s14, 0
	v_mov_b32_e32 v78, 0
	v_lshlrev_b32_e32 v116, 2, v14
	buffer_store_dword v21, off, s[20:23], 0 offset:400 ; 4-byte Folded Spill
	v_lshlrev_b32_e32 v117, 2, v21
	buffer_store_dword v29, off, s[20:23], 0 offset:396 ; 4-byte Folded Spill
	v_lshlrev_b32_e32 v118, 2, v29
	s_mov_b32 s15, 0x30303030
	buffer_store_dword v0, off, s[20:23], 0 offset:268 ; 4-byte Folded Spill
	buffer_store_dword v28, off, s[20:23], 0 offset:384 ; 4-byte Folded Spill
	v_add_u32_e32 v0, v28, v10
	v_mov_b32_e32 v26, 0
	v_mov_b32_e32 v21, 0
	;; [unrolled: 1-line block ×31, first 2 shown]
	buffer_store_dword v0, off, s[20:23], 0 offset:272 ; 4-byte Folded Spill
	buffer_store_dword v1, off, s[20:23], 0 offset:276 ; 4-byte Folded Spill
	;; [unrolled: 1-line block ×7, first 2 shown]
.LBB131_5:                              ; =>This Loop Header: Depth=1
                                        ;     Child Loop BB131_6 Depth 2
                                        ;     Child Loop BB131_8 Depth 2
	buffer_store_dword v27, off, s[20:23], 0 offset:48 ; 4-byte Folded Spill
	buffer_store_dword v26, off, s[20:23], 0 offset:44 ; 4-byte Folded Spill
	;; [unrolled: 1-line block ×12, first 2 shown]
	buffer_store_dword v14, off, s[20:23], 0 ; 4-byte Folded Spill
	buffer_load_dword v0, off, s[20:23], 0 offset:280 ; 4-byte Folded Reload
	buffer_load_dword v6, off, s[20:23], 0 offset:284 ; 4-byte Folded Reload
	;; [unrolled: 1-line block ×4, first 2 shown]
	s_mul_i32 s0, s14, 0x90
	s_mul_hi_u32 s1, s14, 0x90
	s_add_u32 s0, s7, s0
	s_addc_u32 s1, s9, s1
	v_mov_b32_e32 v3, s1
	v_mov_b32_e32 v2, s0
	s_lshl_b32 s16, s14, 3
	s_mov_b32 s18, 0
	s_waitcnt vmcnt(3)
	v_mad_u64_u32 v[4:5], s[0:1], v0, s5, v[2:3]
	v_mul_i32_i24_e32 v0, s4, v1
	v_mad_u64_u32 v[0:1], s[0:1], v0, s5, v[4:5]
	s_waitcnt vmcnt(2)
	v_add_co_u32_e32 v0, vcc, v0, v6
	v_addc_co_u32_e32 v1, vcc, 0, v1, vcc
	global_load_dword v0, v[0:1], off offset:16
	s_waitcnt vmcnt(0)
	ds_write_b32 v7, v0
	buffer_load_dword v0, off, s[20:23], 0 offset:292 ; 4-byte Folded Reload
	s_waitcnt vmcnt(0)
	v_mad_u64_u32 v[0:1], s[0:1], v0, s5, v[4:5]
	v_add_co_u32_e32 v0, vcc, v0, v6
	v_addc_co_u32_e32 v1, vcc, 0, v1, vcc
	global_load_dword v0, v[0:1], off offset:16
	v_add_u32_e32 v1, 0x420, v7
	s_waitcnt vmcnt(0)
	ds_write_b32 v1, v0
	buffer_load_dword v0, off, s[20:23], 0 offset:296 ; 4-byte Folded Reload
	s_waitcnt vmcnt(0)
	v_mad_u64_u32 v[0:1], s[0:1], v0, s5, v[4:5]
	v_add_co_u32_e32 v0, vcc, v0, v6
	v_addc_co_u32_e32 v1, vcc, 0, v1, vcc
	global_load_dword v0, v[0:1], off offset:16
	v_add_u32_e32 v1, 0x840, v7
	;; [unrolled: 9-line block ×15, first 2 shown]
	buffer_load_dword v6, off, s[20:23], 0 offset:364 ; 4-byte Folded Reload
	buffer_load_dword v7, off, s[20:23], 0 offset:412 ; 4-byte Folded Reload
	s_waitcnt vmcnt(2)
	ds_write_b32 v1, v0
	buffer_load_dword v0, off, s[20:23], 0 offset:352 ; 4-byte Folded Reload
	s_waitcnt vmcnt(0)
	v_mad_u64_u32 v[0:1], s[0:1], v0, s5, v[2:3]
	global_load_dword v0, v[0:1], off
	s_nop 0
	buffer_load_dword v1, off, s[20:23], 0 offset:356 ; 4-byte Folded Reload
	s_waitcnt vmcnt(0)
	ds_write_b32 v1, v0
	buffer_load_dword v0, off, s[20:23], 0 offset:368 ; 4-byte Folded Reload
	s_waitcnt vmcnt(0)
	v_mad_u64_u32 v[0:1], s[0:1], v0, s5, v[2:3]
	v_add_co_u32_e32 v4, vcc, v0, v7
	v_addc_co_u32_e32 v5, vcc, 0, v1, vcc
	v_add_co_u32_e32 v0, vcc, v0, v9
	v_addc_co_u32_e32 v1, vcc, 0, v1, vcc
	global_load_dword v4, v[4:5], off offset:4
	s_nop 0
	global_load_dword v0, v[0:1], off offset:4
	s_waitcnt vmcnt(0)
	v_ashrrev_i32_e32 v0, v6, v0
	buffer_load_dword v5, off, s[20:23], 0 offset:360 ; 4-byte Folded Reload
	buffer_load_dword v1, off, s[20:23], 0 offset:372 ; 4-byte Folded Reload
	s_waitcnt vmcnt(1)
	v_ashrrev_i32_e32 v4, v5, v4
	v_and_b32_e32 v4, 0xf0f0f0f, v4
	v_and_or_b32 v0, v0, s15, v4
	s_waitcnt vmcnt(0)
	ds_write_b32 v1, v0
	buffer_load_dword v0, off, s[20:23], 0 offset:376 ; 4-byte Folded Reload
	s_waitcnt vmcnt(0)
	v_mad_u64_u32 v[0:1], s[0:1], v0, s5, v[2:3]
	v_add_co_u32_e32 v2, vcc, v0, v7
	v_addc_co_u32_e32 v3, vcc, 0, v1, vcc
	v_add_co_u32_e32 v0, vcc, v0, v9
	global_load_dword v2, v[2:3], off offset:4
	v_addc_co_u32_e32 v1, vcc, 0, v1, vcc
	global_load_dword v0, v[0:1], off offset:4
	s_waitcnt vmcnt(1)
	v_ashrrev_i32_e32 v2, v5, v2
	buffer_load_dword v1, off, s[20:23], 0 offset:380 ; 4-byte Folded Reload
	v_and_b32_e32 v2, 0xf0f0f0f, v2
	s_waitcnt vmcnt(1)
	v_ashrrev_i32_e32 v0, v6, v0
	v_and_or_b32 v0, v0, s15, v2
	s_waitcnt vmcnt(0)
	ds_write_b32 v1, v0
	buffer_load_dword v0, off, s[20:23], 0 offset:388 ; 4-byte Folded Reload
	buffer_load_dword v1, off, s[20:23], 0 offset:392 ; 4-byte Folded Reload
	s_waitcnt vmcnt(1)
	v_add_u32_e32 v6, s16, v0
	buffer_load_dword v0, off, s[20:23], 0 offset:396 ; 4-byte Folded Reload
	s_waitcnt vmcnt(0)
	v_add_u32_e32 v2, s16, v0
	buffer_load_dword v0, off, s[20:23], 0 offset:188 ; 4-byte Folded Reload
	buffer_load_dword v4, off, s[20:23], 0 offset:240 ; 4-byte Folded Reload
	;; [unrolled: 1-line block ×3, first 2 shown]
	s_waitcnt vmcnt(2)
	v_add_u32_e32 v0, v2, v0
	s_waitcnt vmcnt(0)
	v_mad_i64_i32 v[0:1], s[0:1], v0, 36, v[4:5]
	global_load_dword v0, v[0:1], off offset:4
	s_nop 0
	buffer_load_dword v1, off, s[20:23], 0 offset:384 ; 4-byte Folded Reload
	buffer_load_dword v3, off, s[20:23], 0 offset:192 ; 4-byte Folded Reload
	s_waitcnt vmcnt(0)
	v_add_u32_e32 v1, v1, v3
	ds_write_b32 v1, v0
	buffer_load_dword v0, off, s[20:23], 0 offset:196 ; 4-byte Folded Reload
	s_waitcnt vmcnt(0)
	v_add_u32_e32 v0, v2, v0
	buffer_store_dword v1, off, s[20:23], 0 offset:80 ; 4-byte Folded Spill
	v_mad_i64_i32 v[0:1], s[0:1], v0, 36, v[4:5]
	buffer_store_dword v6, off, s[20:23], 0 offset:76 ; 4-byte Folded Spill
	global_load_dword v0, v[0:1], off offset:4
	s_nop 0
	buffer_load_dword v1, off, s[20:23], 0 offset:248 ; 4-byte Folded Reload
	s_waitcnt vmcnt(0)
	ds_write_b32 v1, v0
	buffer_load_dword v0, off, s[20:23], 0 offset:200 ; 4-byte Folded Reload
	s_waitcnt vmcnt(0)
	v_add_u32_e32 v0, v2, v0
	v_mad_i64_i32 v[0:1], s[0:1], v0, 36, v[4:5]
	global_load_dword v0, v[0:1], off offset:4
	s_nop 0
	buffer_load_dword v1, off, s[20:23], 0 offset:252 ; 4-byte Folded Reload
	s_waitcnt vmcnt(0)
	ds_write_b32 v1, v0
	buffer_load_dword v0, off, s[20:23], 0 offset:204 ; 4-byte Folded Reload
	s_waitcnt vmcnt(0)
	v_add_u32_e32 v0, v2, v0
	v_mad_i64_i32 v[0:1], s[0:1], v0, 36, v[4:5]
	;; [unrolled: 9-line block ×6, first 2 shown]
	global_load_dword v0, v[0:1], off offset:4
	s_nop 0
	buffer_load_dword v1, off, s[20:23], 0 offset:272 ; 4-byte Folded Reload
	s_waitcnt vmcnt(0)
	ds_write_b32 v1, v0
	v_mad_u64_u32 v[0:1], s[0:1], v6, 36, s[2:3]
	s_mov_b64 s[0:1], -1
	global_load_dword v0, v[0:1], off
	s_nop 0
	buffer_load_dword v1, off, s[20:23], 0 offset:184 ; 4-byte Folded Reload
	s_waitcnt vmcnt(0)
	ds_write_b32 v1, v0
	s_waitcnt lgkmcnt(0)
	s_barrier
	buffer_load_dword v0, off, s[20:23], 0 offset:224 ; 4-byte Folded Reload
	s_waitcnt vmcnt(0)
	ds_read_b32 v0, v0
	s_waitcnt lgkmcnt(0)
	v_cvt_f32_f16_e32 v84, v0
	v_cvt_f32_f16_sdwa v62, v0 dst_sel:DWORD dst_unused:UNUSED_PAD src0_sel:WORD_1
	buffer_load_dword v0, off, s[20:23], 0 offset:228 ; 4-byte Folded Reload
	s_waitcnt vmcnt(0)
	ds_read_b32 v0, v0 offset:128
	s_waitcnt lgkmcnt(0)
	v_cvt_f32_f16_sdwa v64, v0 dst_sel:DWORD dst_unused:UNUSED_PAD src0_sel:WORD_1
	v_cvt_f32_f16_e32 v65, v0
	buffer_load_dword v0, off, s[20:23], 0 offset:232 ; 4-byte Folded Reload
	s_waitcnt vmcnt(0)
	ds_read_b32 v0, v0 offset:256
	s_waitcnt lgkmcnt(0)
	v_cvt_f32_f16_sdwa v69, v0 dst_sel:DWORD dst_unused:UNUSED_PAD src0_sel:WORD_1
	v_cvt_f32_f16_e32 v70, v0
	buffer_load_dword v0, off, s[20:23], 0 offset:236 ; 4-byte Folded Reload
	s_waitcnt vmcnt(0)
	ds_read_b32 v0, v0 offset:384
	s_waitcnt lgkmcnt(0)
	v_cvt_f32_f16_sdwa v72, v0 dst_sel:DWORD dst_unused:UNUSED_PAD src0_sel:WORD_1
	v_cvt_f32_f16_e32 v73, v0
.LBB131_6:                              ;   Parent Loop BB131_5 Depth=1
                                        ; =>  This Inner Loop Header: Depth=2
	buffer_load_dword v0, off, s[20:23], 0 offset:128 ; 4-byte Folded Reload
	s_lshl_b32 s17, s18, 1
	s_lshr_b32 s19, s18, 2
	s_addk_i32 s19, 0x6200
	s_lshl_b32 s18, s18, 2
	s_and_b64 vcc, exec, s[0:1]
	s_mov_b64 s[0:1], 0
	s_waitcnt vmcnt(0)
	v_or_b32_e32 v0, s17, v0
	v_lshlrev_b32_e32 v1, 2, v0
	v_lshrrev_b32_e32 v24, 1, v0
	v_lshlrev_b32_e32 v0, 2, v30
	v_add3_u32 v25, s19, v118, v0
	v_mul_u32_u24_e32 v0, 0x84, v71
	v_add_u32_e32 v22, s18, v0
	ds_read_b128 v[14:17], v1 offset:16896
	ds_read_b128 v[10:13], v1 offset:16912
	;; [unrolled: 1-line block ×4, first 2 shown]
	ds_read2_b32 v[0:1], v22 offset1:1
	v_mov_b32_e32 v71, v30
	s_waitcnt lgkmcnt(0)
	v_and_b32_e32 v56, 0xf0f0f0f, v0
	v_dot4_i32_i8 v18, v56, v14, 0
	v_and_b32_e32 v57, 0xf0f0f0f, v1
	v_dot4_i32_i8 v20, v57, v15, v18
	ds_read2_b32 v[18:19], v22 offset0:2 offset1:3
	v_lshrrev_b32_e32 v0, 4, v0
	v_and_b32_e32 v67, 0xf0f0f0f, v0
	v_lshrrev_b32_e32 v1, 4, v1
	v_dot4_i32_i8 v0, v67, v6, 0
	s_waitcnt lgkmcnt(0)
	v_and_b32_e32 v58, 0xf0f0f0f, v18
	v_dot4_i32_i8 v20, v58, v16, v20
	v_and_b32_e32 v59, 0xf0f0f0f, v19
	v_dot4_i32_i8 v23, v59, v17, v20
	ds_read2_b32 v[20:21], v22 offset0:4 offset1:5
	v_and_b32_e32 v1, 0xf0f0f0f, v1
	v_lshrrev_b32_e32 v18, 4, v18
	v_dot4_i32_i8 v0, v1, v7, v0
	v_and_b32_e32 v68, 0xf0f0f0f, v18
	s_waitcnt lgkmcnt(0)
	v_and_b32_e32 v60, 0xf0f0f0f, v20
	v_dot4_i32_i8 v23, v60, v10, v23
	v_and_b32_e32 v111, 0xf0f0f0f, v21
	v_dot4_i32_i8 v26, v111, v11, v23
	ds_read2_b32 v[22:23], v22 offset0:6 offset1:7
	v_lshrrev_b32_e32 v18, 4, v19
	v_dot4_i32_i8 v0, v68, v8, v0
	v_and_b32_e32 v80, 0xf0f0f0f, v18
	v_lshrrev_b32_e32 v18, 4, v20
	ds_read_u16 v27, v25
	ds_read_u8 v28, v25 offset:8
	ds_read_u8 v25, v25 offset:9
	v_dot4_i32_i8 v0, v80, v9, v0
	v_and_b32_e32 v82, 0xf0f0f0f, v18
	v_lshrrev_b32_e32 v18, 4, v21
	s_waitcnt lgkmcnt(3)
	v_and_b32_e32 v112, 0xf0f0f0f, v22
	v_dot4_i32_i8 v0, v82, v2, v0
	v_and_b32_e32 v85, 0xf0f0f0f, v18
	v_lshrrev_b32_e32 v18, 4, v22
	v_dot4_i32_i8 v26, v112, v12, v26
	v_and_b32_e32 v97, 0xf0f0f0f, v23
	v_dot4_i32_i8 v0, v85, v3, v0
	v_and_b32_e32 v86, 0xf0f0f0f, v18
	v_lshrrev_b32_e32 v18, 4, v23
	v_dot4_i32_i8 v26, v97, v13, v26
	v_dot4_i32_i8 v0, v86, v4, v0
	v_and_b32_e32 v91, 0xf0f0f0f, v18
	s_waitcnt lgkmcnt(2)
	v_and_b32_e32 v94, 0xff, v27
	v_dot4_i32_i8 v0, v91, v5, v0
	v_lshrrev_b16_e32 v92, 8, v27
	v_mul_lo_u32 v18, v26, v94
	v_mul_lo_u32 v0, v0, v92
	ds_read_b64 v[21:22], v24 offset:27200
	s_waitcnt lgkmcnt(2)
	v_cvt_f32_ubyte0_e32 v76, v28
	v_cvt_f32_i32_e32 v18, v18
	v_cvt_f32_i32_e32 v0, v0
	s_waitcnt lgkmcnt(1)
	v_cvt_f32_ubyte0_e32 v93, v25
	s_waitcnt lgkmcnt(0)
	v_fma_mix_f32 v19, v21, v76, 0 op_sel:[1,0,0] op_sel_hi:[1,0,0]
	v_fma_mix_f32 v18, v21, v18, 0 op_sel_hi:[1,0,0]
	v_fma_mix_f32 v0, v22, v0, v18 op_sel_hi:[1,0,0]
	v_fma_mix_f32 v18, v22, v93, v19 op_sel:[1,0,0] op_sel_hi:[1,0,0]
	v_mul_f32_e32 v18, v18, v62
	v_fma_f32 v0, v0, v84, -v18
	v_add_f32_e32 v78, v78, v0
	buffer_load_dword v0, off, s[20:23], 0 offset:172 ; 4-byte Folded Reload
	buffer_load_dword v18, off, s[20:23], 0 offset:160 ; 4-byte Folded Reload
	s_waitcnt vmcnt(1)
	v_add3_u32 v0, s19, v117, v0
	s_waitcnt vmcnt(0)
	v_add_u32_e32 v20, s18, v18
	ds_read2_b32 v[18:19], v20 offset1:1
	s_waitcnt lgkmcnt(0)
	v_and_b32_e32 v95, 0xf0f0f0f, v18
	v_dot4_i32_i8 v23, v95, v14, 0
	v_and_b32_e32 v96, 0xf0f0f0f, v19
	v_dot4_i32_i8 v25, v96, v15, v23
	ds_read2_b32 v[23:24], v20 offset0:2 offset1:3
	v_lshrrev_b32_e32 v18, 4, v18
	v_and_b32_e32 v125, 0xf0f0f0f, v18
	v_lshrrev_b32_e32 v19, 4, v19
	v_dot4_i32_i8 v18, v125, v6, 0
	s_waitcnt lgkmcnt(0)
	v_and_b32_e32 v98, 0xf0f0f0f, v23
	v_dot4_i32_i8 v25, v98, v16, v25
	v_and_b32_e32 v99, 0xf0f0f0f, v24
	v_dot4_i32_i8 v27, v99, v17, v25
	ds_read2_b32 v[25:26], v20 offset0:4 offset1:5
	v_and_b32_e32 v126, 0xf0f0f0f, v19
	v_lshrrev_b32_e32 v19, 4, v23
	v_dot4_i32_i8 v18, v126, v7, v18
	v_and_b32_e32 v127, 0xf0f0f0f, v19
	s_waitcnt lgkmcnt(0)
	v_and_b32_e32 v100, 0xf0f0f0f, v25
	v_dot4_i32_i8 v27, v100, v10, v27
	v_and_b32_e32 v117, 0xf0f0f0f, v26
	v_dot4_i32_i8 v29, v117, v11, v27
	ds_read2_b32 v[27:28], v20 offset0:6 offset1:7
	v_lshrrev_b32_e32 v19, 4, v24
	v_dot4_i32_i8 v18, v127, v8, v18
	v_and_b32_e32 v33, 0xf0f0f0f, v19
	v_lshrrev_b32_e32 v19, 4, v25
	s_waitcnt lgkmcnt(0)
	v_and_b32_e32 v118, 0xf0f0f0f, v27
	v_dot4_i32_i8 v20, v118, v12, v29
	ds_read_u16 v29, v0
	ds_read_u16 v0, v0 offset:8
	v_dot4_i32_i8 v18, v33, v9, v18
	v_and_b32_e32 v81, 0xf0f0f0f, v19
	v_lshrrev_b32_e32 v19, 4, v26
	v_dot4_i32_i8 v18, v81, v2, v18
	v_and_b32_e32 v41, 0xf0f0f0f, v19
	v_lshrrev_b32_e32 v19, 4, v27
	v_and_b32_e32 v122, 0xf0f0f0f, v28
	v_dot4_i32_i8 v18, v41, v3, v18
	v_and_b32_e32 v43, 0xf0f0f0f, v19
	v_lshrrev_b32_e32 v19, 4, v28
	v_dot4_i32_i8 v20, v122, v13, v20
	s_waitcnt lgkmcnt(1)
	v_and_b32_e32 v123, 0xff, v29
	v_dot4_i32_i8 v18, v43, v4, v18
	v_and_b32_e32 v44, 0xf0f0f0f, v19
	v_mul_lo_u32 v20, v20, v123
	v_dot4_i32_i8 v18, v44, v5, v18
	v_lshrrev_b16_e32 v63, 8, v29
	v_mul_lo_u32 v18, v18, v63
	v_cvt_f32_i32_e32 v20, v20
	s_waitcnt lgkmcnt(0)
	v_cvt_f32_ubyte0_e32 v124, v0
	v_cvt_f32_ubyte1_e32 v42, v0
	v_cvt_f32_i32_e32 v18, v18
	v_fma_mix_f32 v0, v21, v124, 0 op_sel:[1,0,0] op_sel_hi:[1,0,0]
	v_fma_mix_f32 v19, v21, v20, 0 op_sel_hi:[1,0,0]
	v_fma_mix_f32 v0, v22, v42, v0 op_sel:[1,0,0] op_sel_hi:[1,0,0]
	v_fma_mix_f32 v18, v22, v18, v19 op_sel_hi:[1,0,0]
	v_mul_f32_e32 v0, v0, v64
	v_fma_f32 v0, v18, v65, -v0
	v_add_f32_e32 v45, v45, v0
	buffer_load_dword v0, off, s[20:23], 0 offset:176 ; 4-byte Folded Reload
	buffer_load_dword v18, off, s[20:23], 0 offset:164 ; 4-byte Folded Reload
	s_waitcnt vmcnt(1)
	v_add3_u32 v0, s19, v116, v0
	s_waitcnt vmcnt(0)
	v_add_u32_e32 v18, s18, v18
	ds_read2_b32 v[23:24], v18 offset1:1
	buffer_store_dword v45, off, s[20:23], 0 offset:52 ; 4-byte Folded Spill
	s_waitcnt lgkmcnt(0)
	v_and_b32_e32 v19, 0xf0f0f0f, v23
	v_dot4_i32_i8 v25, v19, v14, 0
	v_and_b32_e32 v20, 0xf0f0f0f, v24
	v_dot4_i32_i8 v27, v20, v15, v25
	ds_read2_b32 v[25:26], v18 offset0:2 offset1:3
	s_waitcnt lgkmcnt(0)
	v_and_b32_e32 v101, 0xf0f0f0f, v25
	v_dot4_i32_i8 v27, v101, v16, v27
	v_and_b32_e32 v102, 0xf0f0f0f, v26
	v_dot4_i32_i8 v29, v102, v17, v27
	ds_read2_b32 v[27:28], v18 offset0:4 offset1:5
	;; [unrolled: 6-line block ×3, first 2 shown]
	s_waitcnt lgkmcnt(0)
	v_and_b32_e32 v105, 0xf0f0f0f, v29
	v_dot4_i32_i8 v18, v105, v12, v31
	ds_read_u16 v31, v0
	ds_read_u16 v32, v0 offset:8
	v_and_b32_e32 v106, 0xf0f0f0f, v30
	v_dot4_i32_i8 v18, v106, v13, v18
	s_waitcnt lgkmcnt(1)
	v_and_b32_e32 v107, 0xff, v31
	v_mul_lo_u32 v0, v18, v107
	s_waitcnt lgkmcnt(0)
	v_cvt_f32_ubyte0_e32 v108, v32
	v_cvt_f32_ubyte1_e32 v114, v32
	v_cvt_f32_i32_e32 v18, v0
	v_lshrrev_b32_e32 v0, 4, v23
	v_and_b32_e32 v109, 0xf0f0f0f, v0
	v_lshrrev_b32_e32 v23, 4, v24
	v_dot4_i32_i8 v0, v109, v6, 0
	v_and_b32_e32 v110, 0xf0f0f0f, v23
	v_lshrrev_b32_e32 v23, 4, v25
	v_dot4_i32_i8 v0, v110, v7, v0
	;; [unrolled: 3-line block ×7, first 2 shown]
	v_and_b32_e32 v113, 0xf0f0f0f, v23
	v_dot4_i32_i8 v23, v113, v5, v0
	v_lshrrev_b16_e32 v0, 8, v31
	v_mul_lo_u32 v23, v23, v0
	v_fma_mix_f32 v24, v21, v108, 0 op_sel:[1,0,0] op_sel_hi:[1,0,0]
	v_fma_mix_f32 v18, v21, v18, 0 op_sel_hi:[1,0,0]
	v_cvt_f32_i32_e32 v23, v23
	v_fma_mix_f32 v18, v22, v23, v18 op_sel_hi:[1,0,0]
	v_fma_mix_f32 v23, v22, v114, v24 op_sel:[1,0,0] op_sel_hi:[1,0,0]
	v_mul_f32_e32 v23, v23, v69
	v_fma_f32 v18, v18, v70, -v23
	v_add_f32_e32 v83, v34, v18
	buffer_load_dword v18, off, s[20:23], 0 offset:60 ; 4-byte Folded Reload
	buffer_load_dword v23, off, s[20:23], 0 offset:180 ; 4-byte Folded Reload
	s_waitcnt vmcnt(0)
	v_add3_u32 v18, s19, v18, v23
	buffer_load_dword v23, off, s[20:23], 0 offset:168 ; 4-byte Folded Reload
	s_waitcnt vmcnt(0)
	v_add_u32_e32 v26, s18, v23
	ds_read2_b32 v[45:46], v26 offset1:1
	s_mov_b32 s18, 8
	s_waitcnt lgkmcnt(0)
	v_and_b32_e32 v31, 0xf0f0f0f, v45
	v_dot4_i32_i8 v14, v31, v14, 0
	v_and_b32_e32 v32, 0xf0f0f0f, v46
	v_dot4_i32_i8 v23, v32, v15, v14
	ds_read2_b32 v[14:15], v26 offset0:2 offset1:3
	v_lshrrev_b32_e32 v34, 4, v45
	v_and_b32_e32 v53, 0xf0f0f0f, v34
	v_lshrrev_b32_e32 v34, 4, v46
	v_dot4_i32_i8 v6, v53, v6, 0
	s_waitcnt lgkmcnt(0)
	v_and_b32_e32 v30, 0xf0f0f0f, v14
	v_dot4_i32_i8 v16, v30, v16, v23
	v_and_b32_e32 v23, 0xf0f0f0f, v15
	v_dot4_i32_i8 v25, v23, v17, v16
	ds_read2_b32 v[16:17], v26 offset0:4 offset1:5
	v_and_b32_e32 v55, 0xf0f0f0f, v34
	v_dot4_i32_i8 v6, v55, v7, v6
	v_lshrrev_b32_e32 v7, 4, v14
	v_and_b32_e32 v52, 0xf0f0f0f, v7
	s_waitcnt lgkmcnt(0)
	v_and_b32_e32 v24, 0xf0f0f0f, v16
	v_dot4_i32_i8 v10, v24, v10, v25
	v_and_b32_e32 v25, 0xf0f0f0f, v17
	v_dot4_i32_i8 v27, v25, v11, v10
	ds_read2_b32 v[10:11], v26 offset0:6 offset1:7
	v_lshrrev_b32_e32 v7, 4, v15
	v_dot4_i32_i8 v6, v52, v8, v6
	v_and_b32_e32 v51, 0xf0f0f0f, v7
	v_lshrrev_b32_e32 v7, 4, v16
	s_waitcnt lgkmcnt(0)
	v_and_b32_e32 v26, 0xf0f0f0f, v10
	v_dot4_i32_i8 v12, v26, v12, v27
	v_and_b32_e32 v27, 0xf0f0f0f, v11
	v_dot4_i32_i8 v6, v51, v9, v6
	;; [unrolled: 2-line block ×3, first 2 shown]
	ds_read_u16 v13, v18
	ds_read_u16 v18, v18 offset:8
	v_dot4_i32_i8 v2, v50, v2, v6
	v_lshrrev_b32_e32 v6, 4, v17
	v_and_b32_e32 v49, 0xf0f0f0f, v6
	v_dot4_i32_i8 v2, v49, v3, v2
	v_lshrrev_b32_e32 v3, 4, v10
	v_and_b32_e32 v48, 0xf0f0f0f, v3
	v_lshrrev_b32_e32 v3, 4, v11
	s_waitcnt lgkmcnt(1)
	v_and_b32_e32 v28, 0xff, v13
	v_dot4_i32_i8 v2, v48, v4, v2
	v_and_b32_e32 v45, 0xf0f0f0f, v3
	v_mul_lo_u32 v12, v12, v28
	v_dot4_i32_i8 v2, v45, v5, v2
	v_lshrrev_b16_e32 v46, 8, v13
	v_mul_lo_u32 v2, v2, v46
	v_cvt_f32_i32_e32 v12, v12
	s_waitcnt lgkmcnt(0)
	v_cvt_f32_ubyte0_e32 v29, v18
	v_cvt_f32_ubyte1_e32 v18, v18
	v_cvt_f32_i32_e32 v2, v2
	v_fma_mix_f32 v3, v21, v29, 0 op_sel:[1,0,0] op_sel_hi:[1,0,0]
	v_fma_mix_f32 v4, v21, v12, 0 op_sel_hi:[1,0,0]
	v_fma_mix_f32 v3, v22, v18, v3 op_sel:[1,0,0] op_sel_hi:[1,0,0]
	v_fma_mix_f32 v2, v22, v2, v4 op_sel_hi:[1,0,0]
	v_mul_f32_e32 v3, v3, v72
	v_fma_f32 v2, v2, v73, -v3
	buffer_load_dword v3, off, s[20:23], 0 offset:48 ; 4-byte Folded Reload
	s_waitcnt vmcnt(0)
	v_add_f32_e32 v3, v3, v2
	buffer_load_dword v2, off, s[20:23], 0 offset:132 ; 4-byte Folded Reload
	s_waitcnt vmcnt(0)
	v_or_b32_e32 v2, s17, v2
	buffer_store_dword v3, off, s[20:23], 0 offset:48 ; 4-byte Folded Spill
	v_lshlrev_b32_e32 v3, 2, v2
	v_lshrrev_b32_e32 v21, 1, v2
	ds_read_b128 v[14:17], v3 offset:16896
	ds_read_b128 v[10:13], v3 offset:16912
	;; [unrolled: 1-line block ×4, first 2 shown]
	ds_read_b64 v[21:22], v21 offset:27200
	s_waitcnt lgkmcnt(4)
	v_dot4_i32_i8 v34, v56, v14, 0
	v_dot4_i32_i8 v34, v57, v15, v34
	s_waitcnt lgkmcnt(2)
	v_dot4_i32_i8 v36, v67, v6, 0
	v_dot4_i32_i8 v34, v58, v16, v34
	;; [unrolled: 1-line block ×8, first 2 shown]
	s_waitcnt lgkmcnt(1)
	v_dot4_i32_i8 v36, v82, v2, v36
	v_dot4_i32_i8 v34, v112, v12, v34
	;; [unrolled: 1-line block ×5, first 2 shown]
	v_mul_lo_u32 v34, v34, v94
	v_dot4_i32_i8 v36, v91, v5, v36
	v_mul_lo_u32 v36, v36, v92
	s_waitcnt lgkmcnt(0)
	v_fma_mix_f32 v35, v76, v21, 0 op_sel:[0,1,0] op_sel_hi:[0,1,0]
	v_cvt_f32_i32_e32 v34, v34
	v_fma_mix_f32 v35, v93, v22, v35 op_sel:[0,1,0] op_sel_hi:[0,1,0]
	v_cvt_f32_i32_e32 v36, v36
	v_mul_f32_e32 v35, v35, v62
	v_fma_mix_f32 v34, v34, v21, 0 op_sel_hi:[0,1,0]
	v_fma_mix_f32 v34, v36, v22, v34 op_sel_hi:[0,1,0]
	v_fma_f32 v34, v34, v84, -v35
	buffer_load_dword v35, off, s[20:23], 0 offset:44 ; 4-byte Folded Reload
	v_dot4_i32_i8 v36, v125, v6, 0
	v_dot4_i32_i8 v36, v126, v7, v36
	;; [unrolled: 1-line block ×8, first 2 shown]
	v_mul_lo_u32 v36, v36, v63
	v_cvt_f32_i32_e32 v36, v36
	s_waitcnt vmcnt(0)
	v_add_f32_e32 v35, v35, v34
	v_dot4_i32_i8 v34, v95, v14, 0
	v_dot4_i32_i8 v34, v96, v15, v34
	;; [unrolled: 1-line block ×8, first 2 shown]
	v_mul_lo_u32 v34, v34, v123
	buffer_store_dword v35, off, s[20:23], 0 offset:44 ; 4-byte Folded Spill
	v_fma_mix_f32 v35, v124, v21, 0 op_sel:[0,1,0] op_sel_hi:[0,1,0]
	v_fma_mix_f32 v35, v42, v22, v35 op_sel:[0,1,0] op_sel_hi:[0,1,0]
	v_cvt_f32_i32_e32 v34, v34
	v_mul_f32_e32 v35, v35, v64
	v_fma_mix_f32 v34, v34, v21, 0 op_sel_hi:[0,1,0]
	v_fma_mix_f32 v34, v36, v22, v34 op_sel_hi:[0,1,0]
	v_fma_f32 v34, v34, v65, -v35
	buffer_load_dword v35, off, s[20:23], 0 offset:40 ; 4-byte Folded Reload
	v_dot4_i32_i8 v36, v109, v6, 0
	v_dot4_i32_i8 v6, v53, v6, 0
	;; [unrolled: 1-line block ×16, first 2 shown]
	v_mul_lo_u32 v36, v36, v0
	v_mul_lo_u32 v2, v2, v46
	v_cvt_f32_i32_e32 v36, v36
	v_cvt_f32_i32_e32 v2, v2
	s_waitcnt vmcnt(0)
	v_add_f32_e32 v35, v35, v34
	v_dot4_i32_i8 v34, v19, v14, 0
	v_dot4_i32_i8 v14, v31, v14, 0
	;; [unrolled: 1-line block ×16, first 2 shown]
	v_mul_lo_u32 v34, v34, v107
	v_mul_lo_u32 v10, v10, v28
	buffer_store_dword v35, off, s[20:23], 0 offset:40 ; 4-byte Folded Spill
	v_fma_mix_f32 v35, v108, v21, 0 op_sel:[0,1,0] op_sel_hi:[0,1,0]
	v_cvt_f32_i32_e32 v34, v34
	v_cvt_f32_i32_e32 v10, v10
	v_fma_mix_f32 v11, v29, v21, 0 op_sel:[0,1,0] op_sel_hi:[0,1,0]
	v_fma_mix_f32 v35, v114, v22, v35 op_sel:[0,1,0] op_sel_hi:[0,1,0]
	v_fma_mix_f32 v34, v34, v21, 0 op_sel_hi:[0,1,0]
	v_fma_mix_f32 v10, v10, v21, 0 op_sel_hi:[0,1,0]
	v_fma_mix_f32 v3, v18, v22, v11 op_sel:[0,1,0] op_sel_hi:[0,1,0]
	v_fma_mix_f32 v34, v36, v22, v34 op_sel_hi:[0,1,0]
	v_mul_f32_e32 v35, v35, v69
	v_fma_mix_f32 v2, v2, v22, v10 op_sel_hi:[0,1,0]
	v_mul_f32_e32 v3, v3, v72
	v_fma_f32 v34, v34, v70, -v35
	buffer_load_dword v35, off, s[20:23], 0 offset:36 ; 4-byte Folded Reload
	v_fma_f32 v2, v2, v73, -v3
	buffer_load_dword v3, off, s[20:23], 0 offset:32 ; 4-byte Folded Reload
	s_waitcnt vmcnt(1)
	v_add_f32_e32 v35, v35, v34
	buffer_store_dword v35, off, s[20:23], 0 offset:36 ; 4-byte Folded Spill
	s_waitcnt vmcnt(1)
	v_add_f32_e32 v3, v3, v2
	buffer_load_dword v2, off, s[20:23], 0 offset:136 ; 4-byte Folded Reload
	s_waitcnt vmcnt(0)
	v_or_b32_e32 v2, s17, v2
	buffer_store_dword v3, off, s[20:23], 0 offset:32 ; 4-byte Folded Spill
	v_lshlrev_b32_e32 v3, 2, v2
	v_lshrrev_b32_e32 v21, 1, v2
	ds_read_b128 v[14:17], v3 offset:16896
	ds_read_b128 v[10:13], v3 offset:16912
	;; [unrolled: 1-line block ×4, first 2 shown]
	ds_read_b64 v[21:22], v21 offset:27200
	s_waitcnt lgkmcnt(4)
	v_dot4_i32_i8 v34, v56, v14, 0
	v_dot4_i32_i8 v34, v57, v15, v34
	s_waitcnt lgkmcnt(2)
	v_dot4_i32_i8 v36, v67, v6, 0
	v_dot4_i32_i8 v34, v58, v16, v34
	;; [unrolled: 1-line block ×8, first 2 shown]
	s_waitcnt lgkmcnt(1)
	v_dot4_i32_i8 v36, v82, v2, v36
	v_dot4_i32_i8 v34, v112, v12, v34
	;; [unrolled: 1-line block ×5, first 2 shown]
	v_mul_lo_u32 v34, v34, v94
	v_dot4_i32_i8 v36, v91, v5, v36
	v_mul_lo_u32 v36, v36, v92
	s_waitcnt lgkmcnt(0)
	v_fma_mix_f32 v35, v76, v21, 0 op_sel:[0,1,0] op_sel_hi:[0,1,0]
	v_cvt_f32_i32_e32 v34, v34
	v_fma_mix_f32 v35, v93, v22, v35 op_sel:[0,1,0] op_sel_hi:[0,1,0]
	v_cvt_f32_i32_e32 v36, v36
	v_mul_f32_e32 v35, v35, v62
	v_fma_mix_f32 v34, v34, v21, 0 op_sel_hi:[0,1,0]
	v_fma_mix_f32 v34, v36, v22, v34 op_sel_hi:[0,1,0]
	v_fma_f32 v34, v34, v84, -v35
	buffer_load_dword v35, off, s[20:23], 0 offset:28 ; 4-byte Folded Reload
	v_dot4_i32_i8 v36, v125, v6, 0
	v_dot4_i32_i8 v36, v126, v7, v36
	;; [unrolled: 1-line block ×8, first 2 shown]
	v_mul_lo_u32 v36, v36, v63
	v_cvt_f32_i32_e32 v36, v36
	s_waitcnt vmcnt(0)
	v_add_f32_e32 v35, v35, v34
	v_dot4_i32_i8 v34, v95, v14, 0
	v_dot4_i32_i8 v34, v96, v15, v34
	;; [unrolled: 1-line block ×8, first 2 shown]
	v_mul_lo_u32 v34, v34, v123
	buffer_store_dword v35, off, s[20:23], 0 offset:28 ; 4-byte Folded Spill
	v_fma_mix_f32 v35, v124, v21, 0 op_sel:[0,1,0] op_sel_hi:[0,1,0]
	v_fma_mix_f32 v35, v42, v22, v35 op_sel:[0,1,0] op_sel_hi:[0,1,0]
	v_cvt_f32_i32_e32 v34, v34
	v_mul_f32_e32 v35, v35, v64
	v_fma_mix_f32 v34, v34, v21, 0 op_sel_hi:[0,1,0]
	v_fma_mix_f32 v34, v36, v22, v34 op_sel_hi:[0,1,0]
	v_fma_f32 v34, v34, v65, -v35
	buffer_load_dword v35, off, s[20:23], 0 offset:24 ; 4-byte Folded Reload
	v_dot4_i32_i8 v36, v109, v6, 0
	v_dot4_i32_i8 v6, v53, v6, 0
	;; [unrolled: 1-line block ×16, first 2 shown]
	v_mul_lo_u32 v36, v36, v0
	v_mul_lo_u32 v2, v2, v46
	v_cvt_f32_i32_e32 v36, v36
	v_cvt_f32_i32_e32 v2, v2
	s_waitcnt vmcnt(0)
	v_add_f32_e32 v35, v35, v34
	v_dot4_i32_i8 v34, v19, v14, 0
	v_dot4_i32_i8 v14, v31, v14, 0
	;; [unrolled: 1-line block ×16, first 2 shown]
	v_mul_lo_u32 v34, v34, v107
	v_mul_lo_u32 v10, v10, v28
	buffer_store_dword v35, off, s[20:23], 0 offset:24 ; 4-byte Folded Spill
	v_fma_mix_f32 v35, v108, v21, 0 op_sel:[0,1,0] op_sel_hi:[0,1,0]
	v_cvt_f32_i32_e32 v34, v34
	v_cvt_f32_i32_e32 v10, v10
	v_fma_mix_f32 v11, v29, v21, 0 op_sel:[0,1,0] op_sel_hi:[0,1,0]
	v_fma_mix_f32 v35, v114, v22, v35 op_sel:[0,1,0] op_sel_hi:[0,1,0]
	v_fma_mix_f32 v34, v34, v21, 0 op_sel_hi:[0,1,0]
	v_fma_mix_f32 v10, v10, v21, 0 op_sel_hi:[0,1,0]
	v_fma_mix_f32 v3, v18, v22, v11 op_sel:[0,1,0] op_sel_hi:[0,1,0]
	v_fma_mix_f32 v34, v36, v22, v34 op_sel_hi:[0,1,0]
	v_mul_f32_e32 v35, v35, v69
	v_fma_mix_f32 v2, v2, v22, v10 op_sel_hi:[0,1,0]
	v_mul_f32_e32 v3, v3, v72
	v_fma_f32 v34, v34, v70, -v35
	buffer_load_dword v35, off, s[20:23], 0 offset:20 ; 4-byte Folded Reload
	v_fma_f32 v2, v2, v73, -v3
	buffer_load_dword v3, off, s[20:23], 0 offset:16 ; 4-byte Folded Reload
	s_waitcnt vmcnt(1)
	v_add_f32_e32 v35, v35, v34
	buffer_store_dword v35, off, s[20:23], 0 offset:20 ; 4-byte Folded Spill
	s_waitcnt vmcnt(1)
	v_add_f32_e32 v3, v3, v2
	buffer_load_dword v2, off, s[20:23], 0 offset:140 ; 4-byte Folded Reload
	s_waitcnt vmcnt(0)
	v_or_b32_e32 v2, s17, v2
	buffer_store_dword v3, off, s[20:23], 0 offset:16 ; 4-byte Folded Spill
	v_lshlrev_b32_e32 v3, 2, v2
	v_lshrrev_b32_e32 v21, 1, v2
	ds_read_b128 v[14:17], v3 offset:16896
	ds_read_b128 v[10:13], v3 offset:16912
	;; [unrolled: 1-line block ×4, first 2 shown]
	ds_read_b64 v[21:22], v21 offset:27200
	s_waitcnt lgkmcnt(4)
	v_dot4_i32_i8 v34, v56, v14, 0
	v_dot4_i32_i8 v34, v57, v15, v34
	s_waitcnt lgkmcnt(2)
	v_dot4_i32_i8 v36, v67, v6, 0
	v_dot4_i32_i8 v34, v58, v16, v34
	;; [unrolled: 1-line block ×8, first 2 shown]
	s_waitcnt lgkmcnt(1)
	v_dot4_i32_i8 v36, v82, v2, v36
	v_dot4_i32_i8 v34, v112, v12, v34
	;; [unrolled: 1-line block ×5, first 2 shown]
	v_mul_lo_u32 v34, v34, v94
	v_dot4_i32_i8 v36, v91, v5, v36
	v_mul_lo_u32 v36, v36, v92
	s_waitcnt lgkmcnt(0)
	v_fma_mix_f32 v35, v76, v21, 0 op_sel:[0,1,0] op_sel_hi:[0,1,0]
	v_cvt_f32_i32_e32 v34, v34
	v_fma_mix_f32 v35, v93, v22, v35 op_sel:[0,1,0] op_sel_hi:[0,1,0]
	v_cvt_f32_i32_e32 v36, v36
	v_mul_f32_e32 v35, v35, v62
	v_fma_mix_f32 v34, v34, v21, 0 op_sel_hi:[0,1,0]
	v_fma_mix_f32 v34, v36, v22, v34 op_sel_hi:[0,1,0]
	v_fma_f32 v34, v34, v84, -v35
	buffer_load_dword v35, off, s[20:23], 0 offset:12 ; 4-byte Folded Reload
	v_dot4_i32_i8 v36, v125, v6, 0
	v_dot4_i32_i8 v36, v126, v7, v36
	;; [unrolled: 1-line block ×8, first 2 shown]
	v_mul_lo_u32 v36, v36, v63
	v_cvt_f32_i32_e32 v36, v36
	s_waitcnt vmcnt(0)
	v_add_f32_e32 v35, v35, v34
	v_dot4_i32_i8 v34, v95, v14, 0
	v_dot4_i32_i8 v34, v96, v15, v34
	;; [unrolled: 1-line block ×8, first 2 shown]
	v_mul_lo_u32 v34, v34, v123
	buffer_store_dword v35, off, s[20:23], 0 offset:12 ; 4-byte Folded Spill
	v_fma_mix_f32 v35, v124, v21, 0 op_sel:[0,1,0] op_sel_hi:[0,1,0]
	v_fma_mix_f32 v35, v42, v22, v35 op_sel:[0,1,0] op_sel_hi:[0,1,0]
	v_cvt_f32_i32_e32 v34, v34
	v_mul_f32_e32 v35, v35, v64
	v_fma_mix_f32 v34, v34, v21, 0 op_sel_hi:[0,1,0]
	v_fma_mix_f32 v34, v36, v22, v34 op_sel_hi:[0,1,0]
	v_fma_f32 v34, v34, v65, -v35
	buffer_load_dword v35, off, s[20:23], 0 offset:8 ; 4-byte Folded Reload
	v_dot4_i32_i8 v36, v109, v6, 0
	v_dot4_i32_i8 v6, v53, v6, 0
	;; [unrolled: 1-line block ×16, first 2 shown]
	v_mul_lo_u32 v36, v36, v0
	v_mul_lo_u32 v2, v2, v46
	v_cvt_f32_i32_e32 v36, v36
	v_cvt_f32_i32_e32 v2, v2
	s_waitcnt vmcnt(0)
	v_add_f32_e32 v35, v35, v34
	v_dot4_i32_i8 v34, v19, v14, 0
	v_dot4_i32_i8 v14, v31, v14, 0
	;; [unrolled: 1-line block ×16, first 2 shown]
	v_mul_lo_u32 v34, v34, v107
	v_mul_lo_u32 v10, v10, v28
	buffer_store_dword v35, off, s[20:23], 0 offset:8 ; 4-byte Folded Spill
	v_fma_mix_f32 v35, v108, v21, 0 op_sel:[0,1,0] op_sel_hi:[0,1,0]
	v_cvt_f32_i32_e32 v34, v34
	v_cvt_f32_i32_e32 v10, v10
	v_fma_mix_f32 v11, v29, v21, 0 op_sel:[0,1,0] op_sel_hi:[0,1,0]
	v_fma_mix_f32 v35, v114, v22, v35 op_sel:[0,1,0] op_sel_hi:[0,1,0]
	v_fma_mix_f32 v34, v34, v21, 0 op_sel_hi:[0,1,0]
	v_fma_mix_f32 v10, v10, v21, 0 op_sel_hi:[0,1,0]
	v_fma_mix_f32 v3, v18, v22, v11 op_sel:[0,1,0] op_sel_hi:[0,1,0]
	v_fma_mix_f32 v34, v36, v22, v34 op_sel_hi:[0,1,0]
	v_mul_f32_e32 v35, v35, v69
	v_fma_mix_f32 v2, v2, v22, v10 op_sel_hi:[0,1,0]
	v_mul_f32_e32 v3, v3, v72
	v_fma_f32 v34, v34, v70, -v35
	buffer_load_dword v35, off, s[20:23], 0 offset:4 ; 4-byte Folded Reload
	v_fma_f32 v2, v2, v73, -v3
	buffer_load_dword v3, off, s[20:23], 0  ; 4-byte Folded Reload
	s_waitcnt vmcnt(1)
	v_add_f32_e32 v35, v35, v34
	buffer_store_dword v35, off, s[20:23], 0 offset:4 ; 4-byte Folded Spill
	s_waitcnt vmcnt(1)
	v_add_f32_e32 v3, v3, v2
	buffer_load_dword v2, off, s[20:23], 0 offset:144 ; 4-byte Folded Reload
	s_waitcnt vmcnt(0)
	v_or_b32_e32 v2, s17, v2
	buffer_store_dword v3, off, s[20:23], 0 ; 4-byte Folded Spill
	v_lshlrev_b32_e32 v3, 2, v2
	v_lshrrev_b32_e32 v21, 1, v2
	ds_read_b128 v[14:17], v3 offset:16896
	ds_read_b128 v[10:13], v3 offset:16912
	;; [unrolled: 1-line block ×4, first 2 shown]
	ds_read_b64 v[21:22], v21 offset:27200
	s_waitcnt lgkmcnt(4)
	v_dot4_i32_i8 v34, v56, v14, 0
	v_dot4_i32_i8 v34, v57, v15, v34
	s_waitcnt lgkmcnt(2)
	v_dot4_i32_i8 v36, v67, v6, 0
	v_dot4_i32_i8 v34, v58, v16, v34
	v_dot4_i32_i8 v36, v1, v7, v36
	v_dot4_i32_i8 v34, v59, v17, v34
	v_dot4_i32_i8 v36, v68, v8, v36
	v_dot4_i32_i8 v34, v60, v10, v34
	v_dot4_i32_i8 v36, v80, v9, v36
	v_dot4_i32_i8 v34, v111, v11, v34
	s_waitcnt lgkmcnt(1)
	v_dot4_i32_i8 v36, v82, v2, v36
	v_dot4_i32_i8 v34, v112, v12, v34
	;; [unrolled: 1-line block ×5, first 2 shown]
	v_mul_lo_u32 v34, v34, v94
	v_dot4_i32_i8 v36, v91, v5, v36
	v_mul_lo_u32 v36, v36, v92
	s_waitcnt lgkmcnt(0)
	v_fma_mix_f32 v35, v76, v21, 0 op_sel:[0,1,0] op_sel_hi:[0,1,0]
	v_cvt_f32_i32_e32 v34, v34
	v_fma_mix_f32 v35, v93, v22, v35 op_sel:[0,1,0] op_sel_hi:[0,1,0]
	v_cvt_f32_i32_e32 v36, v36
	v_mul_f32_e32 v35, v35, v62
	v_fma_mix_f32 v34, v34, v21, 0 op_sel_hi:[0,1,0]
	v_fma_mix_f32 v34, v36, v22, v34 op_sel_hi:[0,1,0]
	v_fma_f32 v34, v34, v84, -v35
	v_add_f32_e32 v90, v90, v34
	v_dot4_i32_i8 v34, v95, v14, 0
	v_dot4_i32_i8 v34, v96, v15, v34
	;; [unrolled: 1-line block ×15, first 2 shown]
	v_mul_lo_u32 v34, v34, v123
	v_dot4_i32_i8 v36, v44, v5, v36
	v_mul_lo_u32 v36, v36, v63
	v_fma_mix_f32 v35, v124, v21, 0 op_sel:[0,1,0] op_sel_hi:[0,1,0]
	v_cvt_f32_i32_e32 v34, v34
	v_fma_mix_f32 v35, v42, v22, v35 op_sel:[0,1,0] op_sel_hi:[0,1,0]
	v_cvt_f32_i32_e32 v36, v36
	v_mul_f32_e32 v35, v35, v64
	v_fma_mix_f32 v34, v34, v21, 0 op_sel_hi:[0,1,0]
	v_fma_mix_f32 v34, v36, v22, v34 op_sel_hi:[0,1,0]
	v_fma_f32 v34, v34, v65, -v35
	v_add_f32_e32 v89, v89, v34
	v_dot4_i32_i8 v34, v19, v14, 0
	v_dot4_i32_i8 v14, v31, v14, 0
	;; [unrolled: 1-line block ×25, first 2 shown]
	v_mul_lo_u32 v10, v10, v28
	v_dot4_i32_i8 v2, v45, v5, v2
	v_mul_lo_u32 v2, v2, v46
	v_dot4_i32_i8 v34, v104, v11, v34
	v_cvt_f32_i32_e32 v10, v10
	v_fma_mix_f32 v11, v29, v21, 0 op_sel:[0,1,0] op_sel_hi:[0,1,0]
	v_cvt_f32_i32_e32 v2, v2
	v_dot4_i32_i8 v36, v120, v3, v36
	v_fma_mix_f32 v10, v10, v21, 0 op_sel_hi:[0,1,0]
	v_fma_mix_f32 v3, v18, v22, v11 op_sel:[0,1,0] op_sel_hi:[0,1,0]
	v_fma_mix_f32 v2, v2, v22, v10 op_sel_hi:[0,1,0]
	v_mul_f32_e32 v3, v3, v72
	v_fma_f32 v2, v2, v73, -v3
	v_add_f32_e32 v87, v87, v2
	buffer_load_dword v2, off, s[20:23], 0 offset:148 ; 4-byte Folded Reload
	v_dot4_i32_i8 v34, v105, v12, v34
	v_dot4_i32_i8 v34, v106, v13, v34
	;; [unrolled: 1-line block ×3, first 2 shown]
	v_mul_lo_u32 v34, v34, v107
	v_dot4_i32_i8 v36, v113, v5, v36
	v_mul_lo_u32 v36, v36, v0
	v_fma_mix_f32 v35, v108, v21, 0 op_sel:[0,1,0] op_sel_hi:[0,1,0]
	v_cvt_f32_i32_e32 v34, v34
	v_fma_mix_f32 v35, v114, v22, v35 op_sel:[0,1,0] op_sel_hi:[0,1,0]
	v_cvt_f32_i32_e32 v36, v36
	v_mul_f32_e32 v35, v35, v69
	v_fma_mix_f32 v34, v34, v21, 0 op_sel_hi:[0,1,0]
	v_fma_mix_f32 v34, v36, v22, v34 op_sel_hi:[0,1,0]
	v_fma_f32 v34, v34, v70, -v35
	v_add_f32_e32 v88, v88, v34
	s_waitcnt vmcnt(0)
	v_or_b32_e32 v2, s17, v2
	v_lshlrev_b32_e32 v3, 2, v2
	v_lshrrev_b32_e32 v21, 1, v2
	ds_read_b128 v[14:17], v3 offset:16896
	ds_read_b128 v[10:13], v3 offset:16912
	;; [unrolled: 1-line block ×4, first 2 shown]
	ds_read_b64 v[21:22], v21 offset:27200
	s_waitcnt lgkmcnt(4)
	v_dot4_i32_i8 v34, v56, v14, 0
	v_dot4_i32_i8 v34, v57, v15, v34
	s_waitcnt lgkmcnt(2)
	v_dot4_i32_i8 v36, v67, v6, 0
	v_dot4_i32_i8 v34, v58, v16, v34
	;; [unrolled: 1-line block ×8, first 2 shown]
	s_waitcnt lgkmcnt(1)
	v_dot4_i32_i8 v36, v82, v2, v36
	v_dot4_i32_i8 v34, v112, v12, v34
	;; [unrolled: 1-line block ×5, first 2 shown]
	v_mul_lo_u32 v34, v34, v94
	v_dot4_i32_i8 v36, v91, v5, v36
	v_mul_lo_u32 v36, v36, v92
	s_waitcnt lgkmcnt(0)
	v_fma_mix_f32 v35, v76, v21, 0 op_sel:[0,1,0] op_sel_hi:[0,1,0]
	v_cvt_f32_i32_e32 v34, v34
	v_fma_mix_f32 v35, v93, v22, v35 op_sel:[0,1,0] op_sel_hi:[0,1,0]
	v_cvt_f32_i32_e32 v36, v36
	v_mul_f32_e32 v35, v35, v62
	v_fma_mix_f32 v34, v34, v21, 0 op_sel_hi:[0,1,0]
	v_fma_mix_f32 v34, v36, v22, v34 op_sel_hi:[0,1,0]
	v_fma_f32 v34, v34, v84, -v35
	v_add_f32_e32 v79, v79, v34
	v_dot4_i32_i8 v34, v95, v14, 0
	v_dot4_i32_i8 v34, v96, v15, v34
	v_dot4_i32_i8 v36, v125, v6, 0
	v_dot4_i32_i8 v34, v98, v16, v34
	v_dot4_i32_i8 v36, v126, v7, v36
	v_dot4_i32_i8 v34, v99, v17, v34
	v_dot4_i32_i8 v36, v127, v8, v36
	v_dot4_i32_i8 v34, v100, v10, v34
	v_dot4_i32_i8 v36, v33, v9, v36
	v_dot4_i32_i8 v34, v117, v11, v34
	v_dot4_i32_i8 v36, v81, v2, v36
	v_dot4_i32_i8 v34, v118, v12, v34
	v_dot4_i32_i8 v36, v41, v3, v36
	v_dot4_i32_i8 v34, v122, v13, v34
	v_dot4_i32_i8 v36, v43, v4, v36
	v_mul_lo_u32 v34, v34, v123
	v_dot4_i32_i8 v36, v44, v5, v36
	v_mul_lo_u32 v36, v36, v63
	v_fma_mix_f32 v35, v124, v21, 0 op_sel:[0,1,0] op_sel_hi:[0,1,0]
	v_cvt_f32_i32_e32 v34, v34
	v_fma_mix_f32 v35, v42, v22, v35 op_sel:[0,1,0] op_sel_hi:[0,1,0]
	v_cvt_f32_i32_e32 v36, v36
	v_mul_f32_e32 v35, v35, v64
	v_fma_mix_f32 v34, v34, v21, 0 op_sel_hi:[0,1,0]
	v_fma_mix_f32 v34, v36, v22, v34 op_sel_hi:[0,1,0]
	v_fma_f32 v34, v34, v65, -v35
	v_add_f32_e32 v77, v77, v34
	v_dot4_i32_i8 v34, v19, v14, 0
	v_dot4_i32_i8 v14, v31, v14, 0
	;; [unrolled: 1-line block ×25, first 2 shown]
	v_mul_lo_u32 v10, v10, v28
	v_dot4_i32_i8 v2, v45, v5, v2
	v_mul_lo_u32 v2, v2, v46
	v_dot4_i32_i8 v34, v104, v11, v34
	v_cvt_f32_i32_e32 v10, v10
	v_fma_mix_f32 v11, v29, v21, 0 op_sel:[0,1,0] op_sel_hi:[0,1,0]
	v_cvt_f32_i32_e32 v2, v2
	v_dot4_i32_i8 v36, v120, v3, v36
	v_fma_mix_f32 v10, v10, v21, 0 op_sel_hi:[0,1,0]
	v_fma_mix_f32 v3, v18, v22, v11 op_sel:[0,1,0] op_sel_hi:[0,1,0]
	v_fma_mix_f32 v2, v2, v22, v10 op_sel_hi:[0,1,0]
	v_mul_f32_e32 v3, v3, v72
	v_fma_f32 v2, v2, v73, -v3
	v_add_f32_e32 v74, v74, v2
	buffer_load_dword v2, off, s[20:23], 0 offset:152 ; 4-byte Folded Reload
	v_dot4_i32_i8 v34, v105, v12, v34
	v_dot4_i32_i8 v34, v106, v13, v34
	;; [unrolled: 1-line block ×3, first 2 shown]
	v_mul_lo_u32 v34, v34, v107
	v_dot4_i32_i8 v36, v113, v5, v36
	v_mul_lo_u32 v36, v36, v0
	v_fma_mix_f32 v35, v108, v21, 0 op_sel:[0,1,0] op_sel_hi:[0,1,0]
	v_cvt_f32_i32_e32 v34, v34
	v_fma_mix_f32 v35, v114, v22, v35 op_sel:[0,1,0] op_sel_hi:[0,1,0]
	v_cvt_f32_i32_e32 v36, v36
	v_mul_f32_e32 v35, v35, v69
	v_fma_mix_f32 v34, v34, v21, 0 op_sel_hi:[0,1,0]
	v_fma_mix_f32 v34, v36, v22, v34 op_sel_hi:[0,1,0]
	v_fma_f32 v34, v34, v70, -v35
	v_add_f32_e32 v75, v75, v34
	s_waitcnt vmcnt(0)
	v_or_b32_e32 v2, s17, v2
	v_lshlrev_b32_e32 v3, 2, v2
	v_lshrrev_b32_e32 v21, 1, v2
	ds_read_b128 v[14:17], v3 offset:16896
	ds_read_b128 v[10:13], v3 offset:16912
	;; [unrolled: 1-line block ×4, first 2 shown]
	ds_read_b64 v[21:22], v21 offset:27200
	s_waitcnt lgkmcnt(4)
	v_dot4_i32_i8 v34, v56, v14, 0
	v_dot4_i32_i8 v34, v57, v15, v34
	s_waitcnt lgkmcnt(2)
	v_dot4_i32_i8 v36, v67, v6, 0
	v_dot4_i32_i8 v34, v58, v16, v34
	;; [unrolled: 1-line block ×8, first 2 shown]
	s_waitcnt lgkmcnt(1)
	v_dot4_i32_i8 v36, v82, v2, v36
	v_dot4_i32_i8 v34, v112, v12, v34
	;; [unrolled: 1-line block ×5, first 2 shown]
	v_mul_lo_u32 v34, v34, v94
	v_dot4_i32_i8 v36, v91, v5, v36
	v_mul_lo_u32 v36, v36, v92
	s_waitcnt lgkmcnt(0)
	v_fma_mix_f32 v35, v76, v21, 0 op_sel:[0,1,0] op_sel_hi:[0,1,0]
	v_cvt_f32_i32_e32 v34, v34
	v_fma_mix_f32 v35, v93, v22, v35 op_sel:[0,1,0] op_sel_hi:[0,1,0]
	v_cvt_f32_i32_e32 v36, v36
	v_mul_f32_e32 v35, v35, v62
	v_fma_mix_f32 v34, v34, v21, 0 op_sel_hi:[0,1,0]
	v_fma_mix_f32 v34, v36, v22, v34 op_sel_hi:[0,1,0]
	v_fma_f32 v34, v34, v84, -v35
	v_add_f32_e32 v66, v66, v34
	v_dot4_i32_i8 v34, v95, v14, 0
	v_dot4_i32_i8 v34, v96, v15, v34
	;; [unrolled: 1-line block ×15, first 2 shown]
	v_mul_lo_u32 v34, v34, v123
	v_dot4_i32_i8 v36, v44, v5, v36
	v_mul_lo_u32 v36, v36, v63
	v_fma_mix_f32 v35, v124, v21, 0 op_sel:[0,1,0] op_sel_hi:[0,1,0]
	v_cvt_f32_i32_e32 v34, v34
	v_fma_mix_f32 v35, v42, v22, v35 op_sel:[0,1,0] op_sel_hi:[0,1,0]
	v_cvt_f32_i32_e32 v36, v36
	v_mul_f32_e32 v35, v35, v64
	v_fma_mix_f32 v34, v34, v21, 0 op_sel_hi:[0,1,0]
	v_fma_mix_f32 v34, v36, v22, v34 op_sel_hi:[0,1,0]
	v_fma_f32 v34, v34, v65, -v35
	v_add_f32_e32 v61, v61, v34
	v_dot4_i32_i8 v34, v19, v14, 0
	v_dot4_i32_i8 v14, v31, v14, 0
	;; [unrolled: 1-line block ×25, first 2 shown]
	v_mul_lo_u32 v10, v10, v28
	v_dot4_i32_i8 v2, v45, v5, v2
	v_mul_lo_u32 v2, v2, v46
	v_dot4_i32_i8 v34, v104, v11, v34
	v_cvt_f32_i32_e32 v10, v10
	v_fma_mix_f32 v11, v29, v21, 0 op_sel:[0,1,0] op_sel_hi:[0,1,0]
	v_cvt_f32_i32_e32 v2, v2
	v_dot4_i32_i8 v36, v120, v3, v36
	v_fma_mix_f32 v10, v10, v21, 0 op_sel_hi:[0,1,0]
	v_fma_mix_f32 v3, v18, v22, v11 op_sel:[0,1,0] op_sel_hi:[0,1,0]
	v_fma_mix_f32 v2, v2, v22, v10 op_sel_hi:[0,1,0]
	v_mul_f32_e32 v3, v3, v72
	v_fma_f32 v2, v2, v73, -v3
	v_add_f32_e32 v47, v47, v2
	buffer_load_dword v2, off, s[20:23], 0 offset:156 ; 4-byte Folded Reload
	v_dot4_i32_i8 v34, v105, v12, v34
	v_dot4_i32_i8 v34, v106, v13, v34
	;; [unrolled: 1-line block ×3, first 2 shown]
	v_mul_lo_u32 v34, v34, v107
	v_dot4_i32_i8 v36, v113, v5, v36
	v_mul_lo_u32 v36, v36, v0
	v_fma_mix_f32 v35, v108, v21, 0 op_sel:[0,1,0] op_sel_hi:[0,1,0]
	v_cvt_f32_i32_e32 v34, v34
	v_fma_mix_f32 v35, v114, v22, v35 op_sel:[0,1,0] op_sel_hi:[0,1,0]
	v_cvt_f32_i32_e32 v36, v36
	v_mul_f32_e32 v35, v35, v69
	v_fma_mix_f32 v34, v34, v21, 0 op_sel_hi:[0,1,0]
	v_fma_mix_f32 v34, v36, v22, v34 op_sel_hi:[0,1,0]
	v_fma_f32 v34, v34, v70, -v35
	v_add_f32_e32 v54, v54, v34
	s_waitcnt vmcnt(0)
	v_or_b32_e32 v2, s17, v2
	v_lshlrev_b32_e32 v3, 2, v2
	v_lshrrev_b32_e32 v21, 1, v2
	ds_read_b128 v[14:17], v3 offset:16896
	ds_read_b128 v[10:13], v3 offset:16912
	;; [unrolled: 1-line block ×4, first 2 shown]
	ds_read_b64 v[21:22], v21 offset:27200
	s_waitcnt lgkmcnt(4)
	v_dot4_i32_i8 v34, v56, v14, 0
	v_dot4_i32_i8 v34, v57, v15, v34
	s_waitcnt lgkmcnt(2)
	v_dot4_i32_i8 v36, v67, v6, 0
	v_dot4_i32_i8 v34, v58, v16, v34
	;; [unrolled: 1-line block ×8, first 2 shown]
	s_waitcnt lgkmcnt(1)
	v_dot4_i32_i8 v1, v82, v2, v1
	v_dot4_i32_i8 v34, v112, v12, v34
	;; [unrolled: 1-line block ×5, first 2 shown]
	v_mul_lo_u32 v34, v34, v94
	v_dot4_i32_i8 v1, v91, v5, v1
	v_mul_lo_u32 v1, v1, v92
	s_waitcnt lgkmcnt(0)
	v_fma_mix_f32 v35, v76, v21, 0 op_sel:[0,1,0] op_sel_hi:[0,1,0]
	v_cvt_f32_i32_e32 v34, v34
	v_cvt_f32_i32_e32 v1, v1
	v_fma_mix_f32 v34, v34, v21, 0 op_sel_hi:[0,1,0]
	v_fma_mix_f32 v1, v1, v22, v34 op_sel_hi:[0,1,0]
	v_fma_mix_f32 v34, v93, v22, v35 op_sel:[0,1,0] op_sel_hi:[0,1,0]
	v_mul_f32_e32 v34, v34, v62
	v_fma_f32 v1, v1, v84, -v34
	v_add_f32_e32 v40, v40, v1
	v_dot4_i32_i8 v1, v95, v14, 0
	v_dot4_i32_i8 v1, v96, v15, v1
	;; [unrolled: 1-line block ×15, first 2 shown]
	v_mul_lo_u32 v1, v1, v123
	v_dot4_i32_i8 v33, v44, v5, v33
	v_mul_lo_u32 v33, v33, v63
	v_fma_mix_f32 v34, v124, v21, 0 op_sel:[0,1,0] op_sel_hi:[0,1,0]
	v_cvt_f32_i32_e32 v1, v1
	buffer_load_dword v117, off, s[20:23], 0 offset:68 ; 4-byte Folded Reload
	buffer_load_dword v118, off, s[20:23], 0 offset:72 ; 4-byte Folded Reload
	v_cvt_f32_i32_e32 v33, v33
	v_fma_mix_f32 v1, v1, v21, 0 op_sel_hi:[0,1,0]
	v_fma_mix_f32 v1, v33, v22, v1 op_sel_hi:[0,1,0]
	v_fma_mix_f32 v33, v42, v22, v34 op_sel:[0,1,0] op_sel_hi:[0,1,0]
	v_mul_f32_e32 v33, v33, v64
	v_fma_f32 v1, v1, v65, -v33
	v_add_f32_e32 v39, v39, v1
	v_dot4_i32_i8 v1, v19, v14, 0
	v_dot4_i32_i8 v1, v20, v15, v1
	;; [unrolled: 1-line block ×15, first 2 shown]
	v_mul_lo_u32 v1, v1, v107
	v_dot4_i32_i8 v20, v113, v5, v20
	v_mul_lo_u32 v0, v20, v0
	v_dot4_i32_i8 v6, v53, v6, 0
	v_cvt_f32_i32_e32 v1, v1
	v_fma_mix_f32 v19, v108, v21, 0 op_sel:[0,1,0] op_sel_hi:[0,1,0]
	v_cvt_f32_i32_e32 v0, v0
	v_dot4_i32_i8 v6, v55, v7, v6
	v_fma_mix_f32 v1, v1, v21, 0 op_sel_hi:[0,1,0]
	v_dot4_i32_i8 v6, v52, v8, v6
	v_fma_mix_f32 v0, v0, v22, v1 op_sel_hi:[0,1,0]
	v_fma_mix_f32 v1, v114, v22, v19 op_sel:[0,1,0] op_sel_hi:[0,1,0]
	v_mul_f32_e32 v1, v1, v69
	v_dot4_i32_i8 v6, v51, v9, v6
	v_fma_f32 v0, v0, v70, -v1
	v_dot4_i32_i8 v2, v50, v2, v6
	v_add_f32_e32 v38, v38, v0
	v_dot4_i32_i8 v0, v31, v14, 0
	v_dot4_i32_i8 v2, v49, v3, v2
	;; [unrolled: 1-line block ×4, first 2 shown]
	buffer_load_dword v116, off, s[20:23], 0 offset:64 ; 4-byte Folded Reload
	v_dot4_i32_i8 v0, v30, v16, v0
	v_mov_b32_e32 v30, v71
	v_dot4_i32_i8 v2, v45, v5, v2
	buffer_load_dword v45, off, s[20:23], 0 offset:52 ; 4-byte Folded Reload
	buffer_load_dword v71, off, s[20:23], 0 offset:56 ; 4-byte Folded Reload
	v_dot4_i32_i8 v0, v23, v17, v0
	v_dot4_i32_i8 v0, v24, v10, v0
	;; [unrolled: 1-line block ×5, first 2 shown]
	v_mul_lo_u32 v0, v0, v28
	v_mul_lo_u32 v2, v2, v46
	v_mov_b32_e32 v34, v83
	v_cvt_f32_i32_e32 v0, v0
	v_cvt_f32_i32_e32 v2, v2
	v_fma_mix_f32 v1, v0, v21, 0 op_sel_hi:[0,1,0]
	v_fma_mix_f32 v0, v29, v21, 0 op_sel:[0,1,0] op_sel_hi:[0,1,0]
	v_fma_mix_f32 v0, v18, v22, v0 op_sel:[0,1,0] op_sel_hi:[0,1,0]
	v_fma_mix_f32 v1, v2, v22, v1 op_sel_hi:[0,1,0]
	v_mul_f32_e32 v0, v0, v72
	v_fma_f32 v0, v1, v73, -v0
	v_add_f32_e32 v37, v37, v0
	s_cbranch_vccnz .LBB131_6
; %bb.7:                                ;   in Loop: Header=BB131_5 Depth=1
	s_waitcnt vmcnt(0)
	s_barrier
	buffer_load_dword v0, off, s[20:23], 0 offset:400 ; 4-byte Folded Reload
	v_mov_b32_e32 v52, v78
	v_mov_b32_e32 v83, v90
	;; [unrolled: 1-line block ×6, first 2 shown]
	s_waitcnt vmcnt(0)
	v_add_u32_e32 v2, s16, v0
	buffer_load_dword v0, off, s[20:23], 0 offset:188 ; 4-byte Folded Reload
	buffer_load_dword v3, off, s[20:23], 0 offset:240 ; 4-byte Folded Reload
	;; [unrolled: 1-line block ×3, first 2 shown]
	s_mov_b32 s16, 0
	s_waitcnt vmcnt(2)
	v_add_u32_e32 v0, v2, v0
	s_waitcnt vmcnt(0)
	v_mad_i64_i32 v[0:1], s[0:1], v0, 36, v[3:4]
	global_load_dword v0, v[0:1], off offset:4
	s_nop 0
	buffer_load_dword v1, off, s[20:23], 0 offset:80 ; 4-byte Folded Reload
	s_waitcnt vmcnt(0)
	ds_write_b32 v1, v0
	buffer_load_dword v0, off, s[20:23], 0 offset:196 ; 4-byte Folded Reload
	s_waitcnt vmcnt(0)
	v_add_u32_e32 v0, v2, v0
	v_mad_i64_i32 v[0:1], s[0:1], v0, 36, v[3:4]
	global_load_dword v0, v[0:1], off offset:4
	s_nop 0
	buffer_load_dword v1, off, s[20:23], 0 offset:248 ; 4-byte Folded Reload
	s_waitcnt vmcnt(0)
	ds_write_b32 v1, v0
	buffer_load_dword v0, off, s[20:23], 0 offset:200 ; 4-byte Folded Reload
	s_waitcnt vmcnt(0)
	v_add_u32_e32 v0, v2, v0
	;; [unrolled: 9-line block ×8, first 2 shown]
	v_mad_u64_u32 v[0:1], s[0:1], v0, 36, s[2:3]
	s_mov_b32 s0, 16
	s_mov_b32 s1, 0
	global_load_dword v0, v[0:1], off
	s_nop 0
	buffer_load_dword v1, off, s[20:23], 0 offset:184 ; 4-byte Folded Reload
	s_waitcnt vmcnt(0)
	ds_write_b32 v1, v0
	s_waitcnt lgkmcnt(0)
	s_barrier
	buffer_load_dword v0, off, s[20:23], 0 offset:224 ; 4-byte Folded Reload
	s_waitcnt vmcnt(0)
	ds_read_b32 v0, v0
	s_waitcnt lgkmcnt(0)
	v_cvt_f32_f16_e32 v10, v0
	v_cvt_f32_f16_sdwa v11, v0 dst_sel:DWORD dst_unused:UNUSED_PAD src0_sel:WORD_1
	buffer_load_dword v0, off, s[20:23], 0 offset:228 ; 4-byte Folded Reload
	s_waitcnt vmcnt(0)
	ds_read_b32 v0, v0 offset:128
	s_waitcnt lgkmcnt(0)
	v_cvt_f32_f16_sdwa v12, v0 dst_sel:DWORD dst_unused:UNUSED_PAD src0_sel:WORD_1
	v_cvt_f32_f16_e32 v13, v0
	buffer_load_dword v0, off, s[20:23], 0 offset:232 ; 4-byte Folded Reload
	s_waitcnt vmcnt(0)
	ds_read_b32 v0, v0 offset:256
	s_waitcnt lgkmcnt(0)
	v_cvt_f32_f16_sdwa v14, v0 dst_sel:DWORD dst_unused:UNUSED_PAD src0_sel:WORD_1
	v_cvt_f32_f16_e32 v15, v0
	;; [unrolled: 6-line block ×3, first 2 shown]
	buffer_load_dword v0, off, s[20:23], 0 offset:192 ; 4-byte Folded Reload
	buffer_load_dword v21, off, s[20:23], 0 offset:408 ; 4-byte Folded Reload
	;; [unrolled: 1-line block ×3, first 2 shown]
	s_waitcnt vmcnt(2)
	v_add_u32_e32 v18, 0x4200, v0
.LBB131_8:                              ;   Parent Loop BB131_5 Depth=1
                                        ; =>  This Inner Loop Header: Depth=2
	buffer_store_dword v52, off, s[20:23], 0 offset:124 ; 4-byte Folded Spill
	buffer_store_dword v45, off, s[20:23], 0 offset:52 ; 4-byte Folded Spill
	;; [unrolled: 1-line block ×14, first 2 shown]
	ds_read_b128 v[2:5], v18
	s_waitcnt vmcnt(14)
	ds_read2_b32 v[8:9], v22 offset1:1
	ds_read2_b32 v[6:7], v22 offset0:2 offset1:3
	v_add_u32_e32 v0, 0x1080, v22
	v_add_u32_e32 v1, 0x1088, v22
	;; [unrolled: 1-line block ×6, first 2 shown]
	ds_read_b128 v[23:26], v18 offset:1024
	ds_read_b128 v[27:30], v18 offset:2048
	;; [unrolled: 1-line block ×7, first 2 shown]
	ds_read2_b32 v[19:20], v0 offset1:1
	ds_read2_b32 v[0:1], v1 offset1:1
	ds_read2_b32 v[31:32], v31 offset1:1
	ds_read2_b32 v[45:46], v33 offset1:1
	ds_read2_b32 v[52:53], v34 offset1:1
	ds_read2_b32 v[59:60], v35 offset1:1
	s_waitcnt lgkmcnt(14)
	v_and_b32_e32 v33, 0xf0f0f0f, v8
	v_and_b32_e32 v34, 0xf0f0f0f, v9
	s_waitcnt lgkmcnt(13)
	v_and_b32_e32 v35, 0xf0f0f0f, v6
	v_lshrrev_b32_e32 v62, 4, v8
	v_lshrrev_b32_e32 v73, 4, v6
	v_dot4_i32_i8 v6, v33, v2, 0
	s_waitcnt lgkmcnt(5)
	v_and_b32_e32 v8, 0xf0f0f0f, v19
	s_waitcnt lgkmcnt(4)
	v_and_b32_e32 v80, 0xf0f0f0f, v0
	v_lshrrev_b32_e32 v111, 4, v0
	s_waitcnt lgkmcnt(3)
	v_and_b32_e32 v0, 0xf0f0f0f, v31
	s_waitcnt lgkmcnt(1)
	v_and_b32_e32 v81, 0xf0f0f0f, v52
	v_and_b32_e32 v36, 0xf0f0f0f, v7
	v_lshrrev_b32_e32 v63, 4, v9
	v_lshrrev_b32_e32 v107, 4, v7
	v_and_b32_e32 v9, 0xf0f0f0f, v20
	v_lshrrev_b32_e32 v109, 4, v19
	v_and_b32_e32 v76, 0xf0f0f0f, v32
	v_and_b32_e32 v82, 0xf0f0f0f, v53
	v_dot4_i32_i8 v6, v34, v3, v6
	v_dot4_i32_i8 v7, v8, v2, 0
	;; [unrolled: 1-line block ×4, first 2 shown]
	v_and_b32_e32 v113, 0xf0f0f0f, v45
	s_waitcnt lgkmcnt(0)
	v_and_b32_e32 v115, 0xf0f0f0f, v59
	v_dot4_i32_i8 v6, v35, v4, v6
	v_dot4_i32_i8 v7, v9, v3, v7
	;; [unrolled: 1-line block ×4, first 2 shown]
	v_and_b32_e32 v108, 0xf0f0f0f, v1
	v_lshrrev_b32_e32 v112, 4, v1
	v_and_b32_e32 v114, 0xf0f0f0f, v46
	v_and_b32_e32 v116, 0xf0f0f0f, v60
	v_dot4_i32_i8 v1, v33, v23, 0
	v_dot4_i32_i8 v98, v36, v5, v6
	;; [unrolled: 1-line block ×51, first 2 shown]
	v_lshrrev_b32_e32 v110, 4, v20
	v_dot4_i32_i8 v1, v33, v41, 0
	v_dot4_i32_i8 v65, v108, v30, v2
	;; [unrolled: 1-line block ×44, first 2 shown]
	ds_read_b128 v[23:26], v18 offset:32
	v_dot4_i32_i8 v28, v81, v99, 0
	v_dot4_i32_i8 v29, v81, v103, 0
	v_dot4_i32_i8 v27, v82, v56, v27
	v_dot4_i32_i8 v92, v108, v51, v2
	v_dot4_i32_i8 v2, v113, v57, v9
	v_dot4_i32_i8 v1, v35, v43, v1
	v_dot4_i32_i8 v35, v82, v100, v28
	v_dot4_i32_i8 v48, v82, v104, v29
	v_dot4_i32_i8 v9, v115, v57, v27
	v_dot4_i32_i8 v85, v114, v58, v2
	ds_read_b128 v[27:30], v18 offset:1056
	v_dot4_i32_i8 v2, v113, v101, v33
	v_lshrrev_b32_e32 v31, 4, v31
	v_lshrrev_b32_e32 v52, 4, v52
	v_dot4_i32_i8 v84, v108, v58, v3
	v_dot4_i32_i8 v3, v115, v101, v35
	;; [unrolled: 1-line block ×4, first 2 shown]
	v_lshrrev_b32_e32 v32, 4, v32
	v_lshrrev_b32_e32 v53, 4, v53
	v_dot4_i32_i8 v8, v80, v105, v8
	v_dot4_i32_i8 v86, v116, v58, v9
	v_dot4_i32_i8 v82, v116, v102, v3
	v_dot4_i32_i8 v3, v115, v105, v48
	v_dot4_i32_i8 v9, v114, v106, v2
	v_and_b32_e32 v2, 0xf0f0f0f, v62
	v_and_b32_e32 v48, 0xf0f0f0f, v109
	;; [unrolled: 1-line block ×4, first 2 shown]
	v_lshrrev_b32_e32 v45, 4, v45
	v_lshrrev_b32_e32 v59, 4, v59
	v_dot4_i32_i8 v1, v36, v44, v1
	ds_read_b128 v[41:44], v18 offset:2080
	v_dot4_i32_i8 v8, v108, v106, v8
	v_and_b32_e32 v34, 0xf0f0f0f, v63
	v_and_b32_e32 v35, 0xf0f0f0f, v73
	v_dot4_i32_i8 v73, v116, v106, v3
	s_waitcnt lgkmcnt(2)
	v_dot4_i32_i8 v3, v2, v23, 0
	v_and_b32_e32 v49, 0xf0f0f0f, v110
	v_and_b32_e32 v106, 0xf0f0f0f, v32
	;; [unrolled: 1-line block ×3, first 2 shown]
	v_dot4_i32_i8 v31, v48, v23, 0
	v_dot4_i32_i8 v32, v105, v23, 0
	;; [unrolled: 1-line block ×3, first 2 shown]
	v_lshrrev_b32_e32 v46, 4, v46
	v_lshrrev_b32_e32 v60, 4, v60
	v_and_b32_e32 v36, 0xf0f0f0f, v107
	v_and_b32_e32 v103, 0xf0f0f0f, v111
	;; [unrolled: 1-line block ×4, first 2 shown]
	v_dot4_i32_i8 v3, v34, v24, v3
	v_dot4_i32_i8 v32, v106, v24, v32
	;; [unrolled: 1-line block ×4, first 2 shown]
	v_and_b32_e32 v104, 0xf0f0f0f, v112
	v_and_b32_e32 v108, 0xf0f0f0f, v46
	;; [unrolled: 1-line block ×3, first 2 shown]
	s_waitcnt lgkmcnt(1)
	v_dot4_i32_i8 v5, v2, v27, 0
	v_dot4_i32_i8 v3, v35, v25, v3
	;; [unrolled: 1-line block ×13, first 2 shown]
	ds_read_b128 v[99:102], v18 offset:3104
	v_dot4_i32_i8 v5, v35, v29, v5
	v_dot4_i32_i8 v23, v49, v28, v23
	;; [unrolled: 1-line block ×5, first 2 shown]
	s_waitcnt lgkmcnt(1)
	v_dot4_i32_i8 v3, v2, v41, 0
	v_dot4_i32_i8 v50, v36, v30, v5
	;; [unrolled: 1-line block ×15, first 2 shown]
	ds_read_b128 v[30:33], v18 offset:4128
	v_dot4_i32_i8 v25, v110, v42, v25
	v_dot4_i32_i8 v51, v36, v44, v3
	;; [unrolled: 1-line block ×7, first 2 shown]
	s_waitcnt lgkmcnt(1)
	v_dot4_i32_i8 v3, v48, v99, 0
	v_dot4_i32_i8 v23, v105, v99, 0
	v_dot4_i32_i8 v59, v112, v44, v24
	v_dot4_i32_i8 v24, v109, v99, 0
	v_dot4_i32_i8 v3, v49, v100, v3
	v_dot4_i32_i8 v23, v106, v100, v23
	v_dot4_i32_i8 v24, v110, v100, v24
	v_dot4_i32_i8 v3, v103, v101, v3
	v_dot4_i32_i8 v23, v107, v101, v23
	ds_read_b128 v[41:44], v18 offset:5152
	v_dot4_i32_i8 v24, v111, v101, v24
	v_dot4_i32_i8 v26, v104, v102, v3
	;; [unrolled: 1-line block ×3, first 2 shown]
	s_waitcnt lgkmcnt(1)
	v_dot4_i32_i8 v3, v2, v30, 0
	v_dot4_i32_i8 v23, v48, v30, 0
	v_dot4_i32_i8 v29, v112, v102, v24
	v_dot4_i32_i8 v3, v34, v31, v3
	v_dot4_i32_i8 v24, v49, v31, v23
	v_dot4_i32_i8 v23, v105, v30, 0
	v_dot4_i32_i8 v3, v35, v32, v3
	v_dot4_i32_i8 v25, v106, v31, v23
	v_dot4_i32_i8 v23, v109, v30, 0
	v_dot4_i32_i8 v27, v110, v31, v23
	v_dot4_i32_i8 v23, v36, v33, v3
	v_dot4_i32_i8 v3, v103, v32, v24
	v_dot4_i32_i8 v24, v107, v32, v25
	v_dot4_i32_i8 v25, v111, v32, v27
	v_dot4_i32_i8 v31, v108, v33, v24
	s_waitcnt lgkmcnt(0)
	v_dot4_i32_i8 v24, v48, v41, 0
	v_dot4_i32_i8 v30, v104, v33, v3
	;; [unrolled: 1-line block ×18, first 2 shown]
	ds_read_b128 v[43:46], v18 offset:6176
	ds_read2_b32 v[122:123], v22 offset0:6 offset1:7
	v_dot4_i32_i8 v5, v2, v99, 0
	v_dot4_i32_i8 v5, v34, v100, v5
	;; [unrolled: 1-line block ×3, first 2 shown]
	s_waitcnt lgkmcnt(1)
	v_dot4_i32_i8 v3, v2, v43, 0
	v_dot4_i32_i8 v25, v48, v43, 0
	;; [unrolled: 1-line block ×13, first 2 shown]
	ds_read_b128 v[99:102], v18 offset:7200
	v_dot4_i32_i8 v45, v111, v45, v43
	v_dot4_i32_i8 v43, v104, v46, v3
	;; [unrolled: 1-line block ×4, first 2 shown]
	s_waitcnt lgkmcnt(0)
	v_dot4_i32_i8 v2, v2, v99, 0
	v_dot4_i32_i8 v2, v34, v100, v2
	;; [unrolled: 1-line block ×15, first 2 shown]
	ds_read2_b32 v[2:3], v22 offset0:4 offset1:5
	v_dot4_i32_i8 v49, v112, v102, v34
	ds_read_b128 v[99:102], v18 offset:16
	ds_read_b128 v[112:115], v18 offset:4112
	v_add_u32_e32 v35, 0x1090, v22
	ds_read2_b32 v[116:117], v35 offset1:1
	s_waitcnt lgkmcnt(3)
	v_and_b32_e32 v103, 0xf0f0f0f, v2
	s_waitcnt lgkmcnt(2)
	v_dot4_i32_i8 v34, v103, v99, v98
	v_and_b32_e32 v36, 0xf0f0f0f, v3
	v_dot4_i32_i8 v34, v36, v100, v34
	v_and_b32_e32 v40, 0xf0f0f0f, v122
	s_waitcnt lgkmcnt(0)
	v_and_b32_e32 v37, 0xf0f0f0f, v116
	v_dot4_i32_i8 v34, v40, v101, v34
	v_and_b32_e32 v66, 0xf0f0f0f, v123
	v_dot4_i32_i8 v35, v37, v99, v97
	v_add_u32_e32 v97, 0x2110, v22
	v_dot4_i32_i8 v110, v66, v102, v34
	v_add_u32_e32 v34, 0x1098, v22
	ds_read2_b32 v[118:119], v97 offset1:1
	ds_read2_b32 v[124:125], v34 offset1:1
	v_add_u32_e32 v97, 0x3190, v22
	ds_read2_b32 v[120:121], v97 offset1:1
	v_and_b32_e32 v47, 0xf0f0f0f, v117
	v_add_u32_e32 v34, 0x2118, v22
	v_dot4_i32_i8 v35, v47, v100, v35
	s_waitcnt lgkmcnt(1)
	v_and_b32_e32 v71, 0xf0f0f0f, v124
	ds_read2_b32 v[126:127], v34 offset1:1
	v_add_u32_e32 v34, 0x3198, v22
	v_dot4_i32_i8 v97, v71, v101, v35
	ds_read2_b32 v[34:35], v34 offset1:1
	v_and_b32_e32 v38, 0xf0f0f0f, v118
	s_waitcnt lgkmcnt(2)
	v_and_b32_e32 v39, 0xf0f0f0f, v120
	v_dot4_i32_i8 v96, v38, v99, v96
	v_dot4_i32_i8 v95, v39, v99, v95
	v_and_b32_e32 v54, 0xf0f0f0f, v119
	v_and_b32_e32 v61, 0xf0f0f0f, v121
	v_dot4_i32_i8 v96, v54, v100, v96
	v_dot4_i32_i8 v95, v61, v100, v95
	s_waitcnt lgkmcnt(1)
	v_and_b32_e32 v74, 0xf0f0f0f, v126
	s_waitcnt lgkmcnt(0)
	v_and_b32_e32 v75, 0xf0f0f0f, v34
	v_dot4_i32_i8 v96, v74, v101, v96
	v_dot4_i32_i8 v95, v75, v101, v95
	v_and_b32_e32 v77, 0xf0f0f0f, v125
	v_and_b32_e32 v78, 0xf0f0f0f, v127
	;; [unrolled: 1-line block ×3, first 2 shown]
	v_dot4_i32_i8 v109, v77, v102, v97
	v_dot4_i32_i8 v107, v78, v102, v96
	;; [unrolled: 1-line block ×3, first 2 shown]
	ds_read_b128 v[95:98], v18 offset:1040
	v_lshrrev_b32_e32 v2, 4, v2
	v_lshrrev_b32_e32 v3, 4, v3
	;; [unrolled: 1-line block ×4, first 2 shown]
	s_waitcnt lgkmcnt(0)
	v_dot4_i32_i8 v7, v103, v95, v7
	v_dot4_i32_i8 v7, v36, v96, v7
	v_dot4_i32_i8 v69, v37, v95, v69
	v_dot4_i32_i8 v70, v38, v95, v70
	v_dot4_i32_i8 v72, v39, v95, v72
	v_dot4_i32_i8 v7, v40, v97, v7
	v_dot4_i32_i8 v69, v47, v96, v69
	v_dot4_i32_i8 v70, v54, v96, v70
	v_dot4_i32_i8 v72, v61, v96, v72
	v_dot4_i32_i8 v111, v66, v98, v7
	v_dot4_i32_i8 v7, v71, v97, v69
	v_dot4_i32_i8 v69, v74, v97, v70
	v_dot4_i32_i8 v70, v75, v97, v72
	v_dot4_i32_i8 v108, v77, v98, v7
	v_dot4_i32_i8 v106, v78, v98, v69
	v_dot4_i32_i8 v105, v79, v98, v70
	ds_read_b128 v[96:99], v18 offset:2064
	v_and_b32_e32 v34, 0xf0f0f0f, v34
	s_lshr_b32 s17, s0, 2
	s_and_b32 s17, s17, 0x3ffffffc
	s_add_i32 s0, s0, 8
	s_waitcnt lgkmcnt(0)
	v_dot4_i32_i8 v6, v103, v96, v6
	v_dot4_i32_i8 v6, v36, v97, v6
	;; [unrolled: 1-line block ×13, first 2 shown]
	ds_read_b128 v[67:70], v18 offset:3088
	v_dot4_i32_i8 v100, v77, v99, v6
	v_dot4_i32_i8 v98, v78, v99, v7
	;; [unrolled: 1-line block ×3, first 2 shown]
	s_add_i32 s18, s16, 16
	s_waitcnt lgkmcnt(0)
	v_dot4_i32_i8 v1, v103, v67, v1
	v_dot4_i32_i8 v1, v36, v68, v1
	;; [unrolled: 1-line block ×20, first 2 shown]
	ds_read_b128 v[91:94], v18 offset:5136
	v_dot4_i32_i8 v1, v36, v113, v1
	v_dot4_i32_i8 v1, v40, v114, v1
	v_dot4_i32_i8 v6, v47, v113, v6
	v_dot4_i32_i8 v7, v54, v113, v7
	v_dot4_i32_i8 v19, v61, v113, v19
	v_dot4_i32_i8 v72, v66, v115, v1
	v_dot4_i32_i8 v1, v71, v114, v6
	v_dot4_i32_i8 v6, v74, v114, v7
	v_dot4_i32_i8 v7, v75, v114, v19
	v_dot4_i32_i8 v70, v77, v115, v1
	s_waitcnt lgkmcnt(0)
	v_dot4_i32_i8 v1, v103, v91, v76
	v_dot4_i32_i8 v68, v78, v115, v6
	;; [unrolled: 1-line block ×18, first 2 shown]
	ds_read_b128 v[91:94], v18 offset:6160
	ds_read_b128 v[112:115], v18 offset:1072
	v_add_u32_e32 v22, 32, v22
	s_waitcnt lgkmcnt(1)
	v_dot4_i32_i8 v0, v103, v91, v0
	v_dot4_i32_i8 v0, v36, v92, v0
	;; [unrolled: 1-line block ×16, first 2 shown]
	ds_read_b128 v[91:94], v18 offset:7184
	v_and_b32_e32 v80, 0xf0f0f0f, v35
	s_waitcnt lgkmcnt(0)
	v_dot4_i32_i8 v4, v103, v91, v4
	v_dot4_i32_i8 v4, v36, v92, v4
	;; [unrolled: 1-line block ×16, first 2 shown]
	ds_read_b128 v[91:94], v18 offset:48
	v_lshrrev_b32_e32 v37, 4, v116
	v_and_b32_e32 v74, 0xf0f0f0f, v2
	v_lshrrev_b32_e32 v4, 4, v122
	v_lshrrev_b32_e32 v38, 4, v117
	;; [unrolled: 1-line block ×4, first 2 shown]
	v_and_b32_e32 v75, 0xf0f0f0f, v3
	v_and_b32_e32 v37, 0xf0f0f0f, v37
	s_waitcnt lgkmcnt(0)
	v_dot4_i32_i8 v2, v74, v91, v52
	v_lshrrev_b32_e32 v36, 4, v123
	v_lshrrev_b32_e32 v39, 4, v124
	;; [unrolled: 1-line block ×4, first 2 shown]
	v_and_b32_e32 v77, 0xf0f0f0f, v4
	v_and_b32_e32 v38, 0xf0f0f0f, v38
	;; [unrolled: 1-line block ×4, first 2 shown]
	v_dot4_i32_i8 v2, v75, v92, v2
	v_dot4_i32_i8 v3, v37, v91, v60
	v_lshrrev_b32_e32 v40, 4, v125
	v_lshrrev_b32_e32 v61, 4, v126
	v_and_b32_e32 v36, 0xf0f0f0f, v36
	v_and_b32_e32 v39, 0xf0f0f0f, v39
	;; [unrolled: 1-line block ×4, first 2 shown]
	v_dot4_i32_i8 v4, v47, v91, v62
	v_dot4_i32_i8 v35, v71, v91, v63
	;; [unrolled: 1-line block ×4, first 2 shown]
	v_lshrrev_b32_e32 v66, 4, v127
	v_and_b32_e32 v40, 0xf0f0f0f, v40
	v_and_b32_e32 v61, 0xf0f0f0f, v61
	v_dot4_i32_i8 v4, v54, v92, v4
	v_dot4_i32_i8 v35, v78, v92, v35
	;; [unrolled: 1-line block ×4, first 2 shown]
	v_and_b32_e32 v66, 0xf0f0f0f, v66
	v_dot4_i32_i8 v3, v61, v93, v4
	v_dot4_i32_i8 v4, v34, v93, v35
	v_dot4_i32_i8 v85, v40, v94, v2
	v_dot4_i32_i8 v2, v74, v112, v50
	v_dot4_i32_i8 v91, v66, v94, v3
	v_dot4_i32_i8 v94, v80, v94, v4
	v_dot4_i32_i8 v2, v75, v113, v2
	v_dot4_i32_i8 v3, v37, v112, v53
	v_dot4_i32_i8 v4, v47, v112, v55
	v_dot4_i32_i8 v35, v71, v112, v56
	v_dot4_i32_i8 v2, v77, v114, v2
	v_dot4_i32_i8 v3, v38, v113, v3
	v_dot4_i32_i8 v4, v54, v113, v4
	v_dot4_i32_i8 v35, v78, v113, v35
	v_dot4_i32_i8 v73, v36, v115, v2
	v_dot4_i32_i8 v2, v39, v114, v3
	v_dot4_i32_i8 v3, v61, v114, v4
	v_dot4_i32_i8 v4, v34, v114, v35
	v_dot4_i32_i8 v112, v40, v115, v2
	v_dot4_i32_i8 v103, v66, v115, v3
	v_dot4_i32_i8 v93, v80, v115, v4
	ds_read_b128 v[113:116], v18 offset:2096
	buffer_load_dword v117, off, s[20:23], 0 offset:68 ; 4-byte Folded Reload
	buffer_load_dword v118, off, s[20:23], 0 offset:72 ; 4-byte Folded Reload
	s_waitcnt lgkmcnt(0)
	v_dot4_i32_i8 v2, v74, v113, v51
	ds_read_b128 v[50:53], v18 offset:3120
	v_dot4_i32_i8 v2, v75, v114, v2
	v_dot4_i32_i8 v3, v37, v113, v57
	;; [unrolled: 1-line block ×13, first 2 shown]
	s_waitcnt lgkmcnt(0)
	v_dot4_i32_i8 v2, v74, v50, v5
	v_dot4_i32_i8 v57, v66, v116, v3
	;; [unrolled: 1-line block ×18, first 2 shown]
	ds_read_b128 v[2:5], v18 offset:4144
	buffer_load_dword v116, off, s[20:23], 0 offset:64 ; 4-byte Folded Reload
	s_waitcnt lgkmcnt(0)
	v_dot4_i32_i8 v23, v74, v2, v23
	v_dot4_i32_i8 v23, v75, v3, v23
	v_dot4_i32_i8 v26, v37, v2, v30
	v_dot4_i32_i8 v28, v47, v2, v31
	v_dot4_i32_i8 v2, v71, v2, v32
	v_dot4_i32_i8 v23, v77, v4, v23
	v_dot4_i32_i8 v26, v38, v3, v26
	v_dot4_i32_i8 v28, v54, v3, v28
	v_dot4_i32_i8 v2, v78, v3, v2
	v_dot4_i32_i8 v52, v36, v5, v23
	v_dot4_i32_i8 v3, v39, v4, v26
	v_dot4_i32_i8 v23, v61, v4, v28
	v_dot4_i32_i8 v2, v34, v4, v2
	v_dot4_i32_i8 v51, v40, v5, v3
	v_dot4_i32_i8 v50, v66, v5, v23
	v_dot4_i32_i8 v31, v80, v5, v2
	ds_read_b128 v[2:5], v18 offset:5168
	s_waitcnt lgkmcnt(0)
	v_dot4_i32_i8 v23, v74, v2, v24
	v_dot4_i32_i8 v23, v75, v3, v23
	v_dot4_i32_i8 v24, v37, v2, v33
	v_dot4_i32_i8 v26, v47, v2, v41
	v_dot4_i32_i8 v2, v71, v2, v42
	v_dot4_i32_i8 v23, v77, v4, v23
	v_dot4_i32_i8 v24, v38, v3, v24
	v_dot4_i32_i8 v26, v54, v3, v26
	v_dot4_i32_i8 v2, v78, v3, v2
	v_dot4_i32_i8 v41, v36, v5, v23
	v_dot4_i32_i8 v3, v39, v4, v24
	v_dot4_i32_i8 v23, v61, v4, v26
	v_dot4_i32_i8 v2, v34, v4, v2
	v_dot4_i32_i8 v33, v40, v5, v3
	v_dot4_i32_i8 v32, v66, v5, v23
	v_dot4_i32_i8 v30, v80, v5, v2
	ds_read_b128 v[2:5], v18 offset:6192
	s_waitcnt lgkmcnt(0)
	v_dot4_i32_i8 v23, v74, v2, v25
	v_dot4_i32_i8 v23, v75, v3, v23
	v_dot4_i32_i8 v24, v37, v2, v43
	v_dot4_i32_i8 v25, v47, v2, v44
	v_dot4_i32_i8 v2, v71, v2, v45
	v_dot4_i32_i8 v23, v77, v4, v23
	v_dot4_i32_i8 v24, v38, v3, v24
	v_dot4_i32_i8 v25, v54, v3, v25
	v_dot4_i32_i8 v2, v78, v3, v2
	v_dot4_i32_i8 v26, v36, v5, v23
	v_dot4_i32_i8 v3, v39, v4, v24
	v_dot4_i32_i8 v23, v61, v4, v25
	v_dot4_i32_i8 v2, v34, v4, v2
	v_dot4_i32_i8 v25, v40, v5, v3
	v_dot4_i32_i8 v24, v66, v5, v23
	v_dot4_i32_i8 v23, v80, v5, v2
	ds_read_b128 v[2:5], v18 offset:7216
	v_add_u32_e32 v18, 64, v18
	s_waitcnt lgkmcnt(0)
	v_dot4_i32_i8 v27, v74, v2, v27
	v_dot4_i32_i8 v28, v37, v2, v46
	;; [unrolled: 1-line block ×7, first 2 shown]
	buffer_load_dword v2, off, s[20:23], 0 offset:56 ; 4-byte Folded Reload
	v_dot4_i32_i8 v27, v75, v3, v27
	v_dot4_i32_i8 v27, v77, v4, v27
	v_dot4_i32_i8 v35, v54, v3, v29
	v_dot4_i32_i8 v29, v36, v5, v27
	v_dot4_i32_i8 v27, v61, v4, v35
	v_dot4_i32_i8 v28, v38, v3, v28
	v_dot4_i32_i8 v3, v39, v4, v28
	v_dot4_i32_i8 v28, v40, v5, v3
	v_dot4_i32_i8 v27, v66, v5, v27
	s_waitcnt vmcnt(0)
	v_lshlrev_b32_e32 v2, 4, v2
	v_add_u32_e32 v34, s1, v2
	v_add3_u32 v35, v118, s17, v34
	ds_read_u16 v2, v35 offset:25088
	s_add_i32 s1, s1, 2
	s_waitcnt lgkmcnt(0)
	v_lshrrev_b16_e32 v80, 8, v2
	v_and_b32_e32 v81, 0xff, v2
	v_mul_lo_u32 v2, v110, v81
	v_mul_lo_u32 v3, v63, v80
	;; [unrolled: 1-line block ×4, first 2 shown]
	v_cvt_f32_i32_e32 v36, v2
	v_cvt_f32_i32_e32 v37, v3
	ds_read2_b64 v[2:5], v21 offset1:16
	v_cvt_f32_i32_e32 v41, v41
	v_mul_lo_u32 v26, v26, v80
	v_mul_lo_u32 v19, v19, v81
	v_cvt_f32_i32_e32 v6, v6
	s_waitcnt lgkmcnt(0)
	v_fma_mix_f32 v36, v2, v36, 0 op_sel_hi:[1,0,0]
	v_fma_mix_f32 v63, v3, v37, v36 op_sel_hi:[1,0,0]
	v_mul_lo_u32 v36, v111, v81
	v_mul_lo_u32 v37, v73, v80
	;; [unrolled: 1-line block ×3, first 2 shown]
	v_cvt_f32_i32_e32 v26, v26
	v_cvt_f32_i32_e32 v36, v36
	;; [unrolled: 1-line block ×4, first 2 shown]
	v_fma_mix_f32 v36, v36, v4, 0 op_sel_hi:[0,1,0]
	v_fma_mix_f32 v73, v37, v5, v36 op_sel_hi:[0,1,0]
	v_add3_u32 v36, v117, s17, v34
	ds_read_u16 v37, v36 offset:25600
	s_waitcnt lgkmcnt(0)
	v_and_b32_e32 v84, 0xff, v37
	v_lshrrev_b16_e32 v82, 8, v37
	v_mul_lo_u32 v37, v109, v84
	v_mul_lo_u32 v38, v85, v82
	;; [unrolled: 1-line block ×4, first 2 shown]
	v_cvt_f32_i32_e32 v37, v37
	v_cvt_f32_i32_e32 v38, v38
	;; [unrolled: 1-line block ×3, first 2 shown]
	v_mul_lo_u32 v20, v20, v84
	v_fma_mix_f32 v37, v2, v37, 0 op_sel_hi:[1,0,0]
	v_fma_mix_f32 v42, v3, v38, v37 op_sel_hi:[1,0,0]
	v_add3_u32 v37, v116, s17, v34
	ds_read_u16 v38, v37 offset:26112
	v_mul_lo_u32 v25, v25, v82
	v_mul_lo_u32 v28, v28, v82
	v_cvt_f32_i32_e32 v7, v7
	v_cvt_f32_i32_e32 v20, v20
	s_waitcnt lgkmcnt(0)
	v_and_b32_e32 v86, 0xff, v38
	v_lshrrev_b16_e32 v85, 8, v38
	v_mul_lo_u32 v38, v107, v86
	v_mul_lo_u32 v39, v91, v85
	;; [unrolled: 1-line block ×4, first 2 shown]
	v_cvt_f32_i32_e32 v38, v38
	v_cvt_f32_i32_e32 v39, v39
	v_cvt_f32_i32_e32 v50, v50
	v_cvt_f32_i32_e32 v32, v32
	v_fma_mix_f32 v38, v2, v38, 0 op_sel_hi:[1,0,0]
	v_fma_mix_f32 v43, v3, v39, v38 op_sel_hi:[1,0,0]
	buffer_load_dword v38, off, s[20:23], 0 offset:60 ; 4-byte Folded Reload
	v_mul_lo_u32 v1, v1, v86
	v_mul_lo_u32 v9, v9, v86
	;; [unrolled: 1-line block ×4, first 2 shown]
	v_cvt_f32_i32_e32 v1, v1
	v_cvt_f32_i32_e32 v9, v9
	;; [unrolled: 1-line block ×6, first 2 shown]
	s_waitcnt vmcnt(0)
	v_add3_u32 v34, v38, s17, v34
	ds_read_u16 v38, v34 offset:26624
	s_add_i32 s17, s16, 8
	s_mov_b32 s16, s17
	s_cmp_lt_u32 s18, 24
	s_waitcnt lgkmcnt(0)
	v_and_b32_e32 v92, 0xff, v38
	v_lshrrev_b16_e32 v91, 8, v38
	v_mul_lo_u32 v38, v104, v92
	v_mul_lo_u32 v39, v94, v91
	;; [unrolled: 1-line block ×4, first 2 shown]
	v_cvt_f32_i32_e32 v38, v38
	v_cvt_f32_i32_e32 v39, v39
	;; [unrolled: 1-line block ×4, first 2 shown]
	v_fma_mix_f32 v38, v2, v38, 0 op_sel_hi:[1,0,0]
	v_fma_mix_f32 v44, v3, v39, v38 op_sel_hi:[1,0,0]
	v_mul_lo_u32 v38, v108, v84
	v_mul_lo_u32 v39, v112, v82
	;; [unrolled: 1-line block ×4, first 2 shown]
	v_cvt_f32_i32_e32 v38, v38
	v_cvt_f32_i32_e32 v39, v39
	;; [unrolled: 1-line block ×3, first 2 shown]
	v_mul_lo_u32 v8, v8, v92
	v_fma_mix_f32 v38, v38, v4, 0 op_sel_hi:[0,1,0]
	v_fma_mix_f32 v45, v39, v5, v38 op_sel_hi:[0,1,0]
	v_mul_lo_u32 v38, v106, v86
	v_mul_lo_u32 v39, v103, v85
	;; [unrolled: 1-line block ×3, first 2 shown]
	v_cvt_f32_i32_e32 v0, v0
	v_cvt_f32_i32_e32 v38, v38
	v_cvt_f32_i32_e32 v39, v39
	v_cvt_f32_i32_e32 v8, v8
	v_cvt_f32_i32_e32 v23, v23
	v_fma_mix_f32 v38, v38, v4, 0 op_sel_hi:[0,1,0]
	v_fma_mix_f32 v46, v39, v5, v38 op_sel_hi:[0,1,0]
	v_mul_lo_u32 v38, v105, v92
	v_mul_lo_u32 v39, v93, v91
	ds_read_u16 v93, v35 offset:25096
	ds_read_u16 v104, v36 offset:25608
	ds_read_u16 v103, v37 offset:26120
	ds_read_u16 v94, v34 offset:26632
	v_cvt_f32_i32_e32 v38, v38
	v_cvt_f32_i32_e32 v39, v39
	s_waitcnt lgkmcnt(3)
	v_cvt_f32_ubyte0_e32 v34, v93
	v_cvt_f32_ubyte1_e32 v35, v93
	v_fma_mix_f32 v38, v38, v4, 0 op_sel_hi:[0,1,0]
	s_waitcnt lgkmcnt(2)
	v_cvt_f32_ubyte0_e32 v36, v104
	v_fma_mix_f32 v47, v2, v34, 0 op_sel:[1,0,0] op_sel_hi:[1,0,0]
	v_fma_mix_f32 v48, v39, v5, v38 op_sel_hi:[0,1,0]
	v_cvt_f32_ubyte1_e32 v37, v104
	s_waitcnt lgkmcnt(1)
	v_cvt_f32_ubyte0_e32 v38, v103
	s_waitcnt lgkmcnt(0)
	v_cvt_f32_ubyte0_e32 v40, v94
	v_fma_mix_f32 v108, v3, v35, v47 op_sel:[1,0,0] op_sel_hi:[1,0,0]
	v_fma_mix_f32 v47, v2, v36, 0 op_sel:[1,0,0] op_sel_hi:[1,0,0]
	v_cvt_f32_ubyte1_e32 v112, v94
	v_fma_mix_f32 v93, v3, v37, v47 op_sel:[1,0,0] op_sel_hi:[1,0,0]
	v_fma_mix_f32 v47, v2, v38, 0 op_sel:[1,0,0] op_sel_hi:[1,0,0]
	;; [unrolled: 1-line block ×3, first 2 shown]
	v_cvt_f32_ubyte1_e32 v39, v103
	v_fma_mix_f32 v103, v3, v112, v2 op_sel:[1,0,0] op_sel_hi:[1,0,0]
	v_fma_mix_f32 v2, v34, v4, 0 op_sel:[0,1,0] op_sel_hi:[0,1,0]
	;; [unrolled: 1-line block ×10, first 2 shown]
	v_mul_lo_u32 v2, v101, v81
	v_mul_lo_u32 v3, v60, v80
	v_mul_f32_e32 v61, v106, v16
	v_cvt_f32_i32_e32 v47, v2
	v_cvt_f32_i32_e32 v54, v3
	ds_read2_b64 v[2:5], v21 offset0:32 offset1:48
	s_waitcnt lgkmcnt(0)
	v_fma_mix_f32 v47, v47, v2, 0 op_sel_hi:[0,1,0]
	v_fma_mix_f32 v110, v54, v3, v47 op_sel_hi:[0,1,0]
	v_mul_lo_u32 v47, v102, v81
	v_mul_lo_u32 v54, v62, v80
	v_cvt_f32_i32_e32 v47, v47
	v_cvt_f32_i32_e32 v54, v54
	v_fma_mix_f32 v47, v47, v4, 0 op_sel_hi:[0,1,0]
	v_fma_mix_f32 v111, v54, v5, v47 op_sel_hi:[0,1,0]
	v_mul_lo_u32 v47, v100, v84
	v_mul_lo_u32 v54, v59, v82
	v_cvt_f32_i32_e32 v47, v47
	v_cvt_f32_i32_e32 v54, v54
	v_fma_mix_f32 v47, v47, v2, 0 op_sel_hi:[0,1,0]
	v_fma_mix_f32 v59, v54, v3, v47 op_sel_hi:[0,1,0]
	v_mul_lo_u32 v47, v98, v86
	v_mul_lo_u32 v54, v57, v85
	v_cvt_f32_i32_e32 v47, v47
	v_cvt_f32_i32_e32 v54, v54
	v_fma_mix_f32 v47, v47, v2, 0 op_sel_hi:[0,1,0]
	v_fma_mix_f32 v57, v54, v3, v47 op_sel_hi:[0,1,0]
	v_mul_lo_u32 v47, v96, v92
	v_mul_lo_u32 v54, v55, v91
	v_cvt_f32_i32_e32 v47, v47
	v_cvt_f32_i32_e32 v54, v54
	v_fma_mix_f32 v47, v47, v2, 0 op_sel_hi:[0,1,0]
	v_fma_mix_f32 v55, v54, v3, v47 op_sel_hi:[0,1,0]
	v_mul_lo_u32 v47, v99, v84
	v_mul_lo_u32 v54, v58, v82
	v_cvt_f32_i32_e32 v47, v47
	v_cvt_f32_i32_e32 v54, v54
	v_fma_mix_f32 v47, v47, v4, 0 op_sel_hi:[0,1,0]
	v_fma_mix_f32 v58, v54, v5, v47 op_sel_hi:[0,1,0]
	v_mul_lo_u32 v47, v97, v86
	v_mul_lo_u32 v54, v56, v85
	v_cvt_f32_i32_e32 v47, v47
	v_cvt_f32_i32_e32 v54, v54
	v_fma_mix_f32 v47, v47, v4, 0 op_sel_hi:[0,1,0]
	v_fma_mix_f32 v56, v54, v5, v47 op_sel_hi:[0,1,0]
	v_mul_lo_u32 v47, v95, v92
	v_cvt_f32_i32_e32 v47, v47
	v_fma_mix_f32 v47, v47, v4, 0 op_sel_hi:[0,1,0]
	v_fma_mix_f32 v53, v53, v5, v47 op_sel_hi:[0,1,0]
	v_fma_mix_f32 v47, v34, v2, 0 op_sel:[0,1,0] op_sel_hi:[0,1,0]
	v_fma_mix_f32 v113, v35, v3, v47 op_sel:[0,1,0] op_sel_hi:[0,1,0]
	;; [unrolled: 1-line block ×16, first 2 shown]
	v_mul_lo_u32 v2, v72, v81
	v_mul_lo_u32 v3, v52, v80
	v_mul_f32_e32 v60, v60, v12
	v_mul_f32_e32 v62, v62, v14
	v_cvt_f32_i32_e32 v47, v2
	v_cvt_f32_i32_e32 v52, v3
	ds_read2_b64 v[2:5], v21 offset0:64 offset1:80
	v_mul_f32_e32 v66, v96, v12
	v_mul_f32_e32 v71, v97, v14
	s_waitcnt lgkmcnt(0)
	v_fma_mix_f32 v47, v47, v2, 0 op_sel_hi:[0,1,0]
	v_fma_mix_f32 v115, v52, v3, v47 op_sel_hi:[0,1,0]
	v_mul_lo_u32 v47, v76, v81
	v_fma_mix_f32 v54, v38, v2, 0 op_sel:[0,1,0] op_sel_hi:[0,1,0]
	v_cvt_f32_i32_e32 v47, v47
	v_fma_mix_f32 v47, v47, v4, 0 op_sel_hi:[0,1,0]
	v_fma_mix_f32 v52, v41, v5, v47 op_sel_hi:[0,1,0]
	v_mul_lo_u32 v41, v70, v84
	v_mul_lo_u32 v47, v51, v82
	v_fma_mix_f32 v51, v36, v2, 0 op_sel:[0,1,0] op_sel_hi:[0,1,0]
	v_fma_mix_f32 v51, v37, v3, v51 op_sel:[0,1,0] op_sel_hi:[0,1,0]
	v_cvt_f32_i32_e32 v41, v41
	v_cvt_f32_i32_e32 v47, v47
	v_mul_f32_e32 v51, v51, v12
	v_fma_mix_f32 v41, v41, v2, 0 op_sel_hi:[0,1,0]
	v_fma_mix_f32 v41, v47, v3, v41 op_sel_hi:[0,1,0]
	v_mul_lo_u32 v47, v68, v86
	v_cvt_f32_i32_e32 v47, v47
	v_fma_mix_f32 v47, v47, v2, 0 op_sel_hi:[0,1,0]
	v_fma_mix_f32 v50, v50, v3, v47 op_sel_hi:[0,1,0]
	v_mul_lo_u32 v47, v65, v92
	v_cvt_f32_i32_e32 v47, v47
	;; [unrolled: 4-line block ×4, first 2 shown]
	v_fma_mix_f32 v47, v47, v4, 0 op_sel_hi:[0,1,0]
	v_fma_mix_f32 v32, v32, v5, v47 op_sel_hi:[0,1,0]
	v_mul_lo_u32 v47, v64, v92
	v_fma_mix_f32 v64, v39, v3, v54 op_sel:[0,1,0] op_sel_hi:[0,1,0]
	v_mul_f32_e32 v64, v64, v14
	v_cvt_f32_i32_e32 v47, v47
	v_fma_mix_f32 v47, v47, v4, 0 op_sel_hi:[0,1,0]
	v_fma_mix_f32 v30, v30, v5, v47 op_sel_hi:[0,1,0]
	v_fma_mix_f32 v47, v34, v2, 0 op_sel:[0,1,0] op_sel_hi:[0,1,0]
	v_fma_mix_f32 v2, v40, v2, 0 op_sel:[0,1,0] op_sel_hi:[0,1,0]
	;; [unrolled: 1-line block ×12, first 2 shown]
	ds_read2_b64 v[2:5], v21 offset0:96 offset1:112
	v_mul_f32_e32 v67, v67, v11
	v_mul_f32_e32 v65, v65, v16
	;; [unrolled: 1-line block ×4, first 2 shown]
	s_waitcnt lgkmcnt(0)
	v_fma_mix_f32 v54, v34, v2, 0 op_sel:[0,1,0] op_sel_hi:[0,1,0]
	v_fma_mix_f32 v34, v34, v4, 0 op_sel:[0,1,0] op_sel_hi:[0,1,0]
	v_fma_mix_f32 v76, v35, v3, v54 op_sel:[0,1,0] op_sel_hi:[0,1,0]
	v_fma_mix_f32 v72, v35, v5, v34 op_sel:[0,1,0] op_sel_hi:[0,1,0]
	v_fma_mix_f32 v34, v36, v2, 0 op_sel:[0,1,0] op_sel_hi:[0,1,0]
	v_fma_mix_f32 v35, v36, v4, 0 op_sel:[0,1,0] op_sel_hi:[0,1,0]
	v_fma_mix_f32 v100, v37, v3, v34 op_sel:[0,1,0] op_sel_hi:[0,1,0]
	v_fma_mix_f32 v99, v37, v5, v35 op_sel:[0,1,0] op_sel_hi:[0,1,0]
	v_fma_mix_f32 v34, v38, v2, 0 op_sel:[0,1,0] op_sel_hi:[0,1,0]
	v_fma_mix_f32 v35, v38, v4, 0 op_sel:[0,1,0] op_sel_hi:[0,1,0]
	v_fma_mix_f32 v102, v39, v3, v34 op_sel:[0,1,0] op_sel_hi:[0,1,0]
	v_fma_mix_f32 v101, v39, v5, v35 op_sel:[0,1,0] op_sel_hi:[0,1,0]
	v_fma_mix_f32 v34, v40, v2, 0 op_sel:[0,1,0] op_sel_hi:[0,1,0]
	v_fma_mix_f32 v35, v40, v4, 0 op_sel:[0,1,0] op_sel_hi:[0,1,0]
	v_fma_mix_f32 v107, v112, v3, v34 op_sel:[0,1,0] op_sel_hi:[0,1,0]
	v_fma_mix_f32 v34, v112, v5, v35 op_sel:[0,1,0] op_sel_hi:[0,1,0]
	v_mul_lo_u32 v35, v49, v91
	v_fma_mix_f32 v6, v6, v2, 0 op_sel_hi:[0,1,0]
	v_fma_mix_f32 v6, v26, v3, v6 op_sel_hi:[0,1,0]
	v_cvt_f32_i32_e32 v26, v29
	v_cvt_f32_i32_e32 v35, v35
	v_fma_mix_f32 v19, v19, v4, 0 op_sel_hi:[0,1,0]
	v_mul_f32_e32 v38, v47, v11
	v_fma_mix_f32 v19, v26, v5, v19 op_sel_hi:[0,1,0]
	v_mul_f32_e32 v39, v93, v12
	v_mul_f32_e32 v40, v94, v14
	;; [unrolled: 1-line block ×5, first 2 shown]
	v_fma_mix_f32 v7, v7, v2, 0 op_sel_hi:[0,1,0]
	v_fma_mix_f32 v1, v1, v2, 0 op_sel_hi:[0,1,0]
	;; [unrolled: 1-line block ×6, first 2 shown]
	v_fma_f32 v8, v52, v10, -v67
	buffer_load_dword v52, off, s[20:23], 0 offset:124 ; 4-byte Folded Reload
	v_fma_f32 v6, v6, v10, -v74
	buffer_load_dword v74, off, s[20:23], 0 offset:108 ; 4-byte Folded Reload
	v_fma_mix_f32 v7, v25, v3, v7 op_sel_hi:[0,1,0]
	v_fma_mix_f32 v1, v24, v3, v1 op_sel_hi:[0,1,0]
	v_fma_mix_f32 v0, v23, v3, v0 op_sel_hi:[0,1,0]
	v_fma_f32 v3, v19, v10, -v72
	v_fma_mix_f32 v2, v28, v5, v2 op_sel_hi:[0,1,0]
	v_fma_mix_f32 v9, v27, v5, v9 op_sel_hi:[0,1,0]
	;; [unrolled: 1-line block ×3, first 2 shown]
	v_fma_f32 v5, v42, v13, -v39
	buffer_load_dword v39, off, s[20:23], 0 offset:84 ; 4-byte Folded Reload
	v_fma_f32 v19, v43, v15, -v40
	buffer_load_dword v40, off, s[20:23], 0 offset:88 ; 4-byte Folded Reload
	;; [unrolled: 2-line block ×3, first 2 shown]
	buffer_load_dword v23, off, s[20:23], 0 offset:44 ; 4-byte Folded Reload
	v_mul_f32_e32 v29, v109, v11
	v_fma_f32 v29, v73, v10, -v29
	v_mul_f32_e32 v49, v104, v12
	v_mul_f32_e32 v26, v108, v11
	v_fma_f32 v26, v63, v10, -v26
	v_mul_f32_e32 v54, v105, v14
	v_fma_f32 v24, v46, v15, -v54
	buffer_load_dword v54, off, s[20:23], 0 offset:96 ; 4-byte Folded Reload
	v_fma_f32 v25, v48, v17, -v61
	v_mul_f32_e32 v36, v113, v11
	v_fma_f32 v36, v110, v10, -v36
	v_mul_f32_e32 v34, v34, v16
	v_fma_f32 v4, v4, v17, -v34
	v_fma_f32 v27, v57, v15, -v62
	v_mul_f32_e32 v77, v107, v16
	v_fma_f32 v0, v0, v17, -v77
	v_mul_f32_e32 v63, v95, v16
	;; [unrolled: 2-line block ×3, first 2 shown]
	v_fma_f32 v37, v111, v10, -v37
	v_fma_f32 v38, v115, v10, -v38
	;; [unrolled: 1-line block ×3, first 2 shown]
	v_add_f32_e32 v83, v83, v38
	v_fma_f32 v38, v50, v15, -v64
	v_mul_f32_e32 v75, v100, v12
	v_add_f32_e32 v89, v89, v38
	v_mul_f32_e32 v73, v98, v16
	v_mul_f32_e32 v70, v70, v16
	;; [unrolled: 1-line block ×5, first 2 shown]
	v_fma_f32 v31, v31, v17, -v65
	v_add_f32_e32 v87, v87, v8
	v_fma_f32 v8, v33, v13, -v68
	v_fma_f32 v32, v32, v15, -v69
	;; [unrolled: 1-line block ×5, first 2 shown]
	v_add_u32_e32 v21, 8, v21
	v_add_f32_e32 v88, v88, v31
	s_waitcnt vmcnt(6)
	v_add_f32_e32 v52, v52, v26
	s_waitcnt vmcnt(5)
	;; [unrolled: 2-line block ×4, first 2 shown]
	v_add_f32_e32 v40, v40, v3
	v_fma_f32 v3, v9, v15, -v79
	s_waitcnt vmcnt(1)
	v_add_f32_e32 v23, v23, v29
	buffer_store_dword v23, off, s[20:23], 0 offset:44 ; 4-byte Folded Spill
	v_fma_f32 v23, v45, v13, -v49
	buffer_load_dword v45, off, s[20:23], 0 offset:52 ; 4-byte Folded Reload
	buffer_load_dword v61, off, s[20:23], 0 offset:100 ; 4-byte Folded Reload
	buffer_load_dword v26, off, s[20:23], 0 offset:28 ; 4-byte Folded Reload
	buffer_load_dword v34, off, s[20:23], 0 offset:120 ; 4-byte Folded Reload
	buffer_load_dword v29, off, s[20:23], 0 offset:12 ; 4-byte Folded Reload
	buffer_load_dword v77, off, s[20:23], 0 offset:116 ; 4-byte Folded Reload
	s_waitcnt vmcnt(7)
	v_add_f32_e32 v54, v54, v1
	v_add_f32_e32 v47, v47, v0
	buffer_load_dword v38, off, s[20:23], 0 offset:80 ; 4-byte Folded Reload
	s_waitcnt vmcnt(6)
	v_add_f32_e32 v45, v45, v5
	buffer_load_dword v5, off, s[20:23], 0 offset:48 ; 4-byte Folded Reload
	s_waitcnt vmcnt(5)
	v_add_f32_e32 v26, v26, v36
	buffer_store_dword v26, off, s[20:23], 0 offset:28 ; 4-byte Folded Spill
	v_fma_f32 v26, v59, v13, -v60
	v_fma_f32 v36, v53, v17, -v73
	s_waitcnt vmcnt(2)
	v_add_f32_e32 v38, v38, v3
	s_waitcnt vmcnt(1)
	v_add_f32_e32 v5, v5, v20
	buffer_store_dword v5, off, s[20:23], 0 offset:48 ; 4-byte Folded Spill
	buffer_load_dword v5, off, s[20:23], 0 offset:40 ; 4-byte Folded Reload
	s_waitcnt vmcnt(0)
	v_add_f32_e32 v5, v5, v23
	buffer_store_dword v5, off, s[20:23], 0 offset:40 ; 4-byte Folded Spill
	buffer_load_dword v5, off, s[20:23], 0 offset:36 ; 4-byte Folded Reload
	;; [unrolled: 4-line block ×5, first 2 shown]
	v_add_f32_e32 v34, v34, v19
	s_waitcnt vmcnt(0)
	v_add_f32_e32 v5, v5, v27
	buffer_store_dword v5, off, s[20:23], 0 offset:20 ; 4-byte Folded Spill
	buffer_load_dword v5, off, s[20:23], 0 offset:16 ; 4-byte Folded Reload
	v_add_f32_e32 v77, v77, v8
	s_waitcnt vmcnt(0)
	v_add_f32_e32 v5, v5, v28
	buffer_store_dword v5, off, s[20:23], 0 offset:16 ; 4-byte Folded Spill
	buffer_load_dword v5, off, s[20:23], 0 offset:8 ; 4-byte Folded Reload
	v_add_f32_e32 v29, v29, v37
	buffer_store_dword v29, off, s[20:23], 0 offset:12 ; 4-byte Folded Spill
	v_fma_f32 v29, v58, v13, -v66
	buffer_load_dword v66, off, s[20:23], 0 offset:104 ; 4-byte Folded Reload
	v_fma_f32 v37, v41, v13, -v51
	v_add_f32_e32 v90, v90, v37
	buffer_load_dword v37, off, s[20:23], 0 offset:76 ; 4-byte Folded Reload
	s_waitcnt vmcnt(3)
	v_add_f32_e32 v5, v5, v29
	buffer_store_dword v5, off, s[20:23], 0 offset:8 ; 4-byte Folded Spill
	buffer_load_dword v5, off, s[20:23], 0 offset:4 ; 4-byte Folded Reload
	s_waitcnt vmcnt(3)
	v_add_f32_e32 v66, v66, v6
	v_fma_f32 v6, v7, v13, -v75
	buffer_load_dword v75, off, s[20:23], 0 offset:112 ; 4-byte Folded Reload
	v_add_f32_e32 v61, v61, v6
	s_waitcnt vmcnt(3)
	v_add_f32_e32 v37, v37, v4
	s_waitcnt vmcnt(1)
	v_add_f32_e32 v5, v5, v35
	buffer_store_dword v5, off, s[20:23], 0 offset:4 ; 4-byte Folded Spill
	buffer_load_dword v5, off, s[20:23], 0  ; 4-byte Folded Reload
	s_waitcnt vmcnt(2)
	v_add_f32_e32 v75, v75, v32
	s_waitcnt vmcnt(0)
	v_add_f32_e32 v5, v5, v36
	buffer_store_dword v5, off, s[20:23], 0 ; 4-byte Folded Spill
	s_cbranch_scc1 .LBB131_8
; %bb.9:                                ;   in Loop: Header=BB131_5 Depth=1
	buffer_load_dword v27, off, s[20:23], 0 offset:48 ; 4-byte Folded Reload
	buffer_load_dword v26, off, s[20:23], 0 offset:44 ; 4-byte Folded Reload
	;; [unrolled: 1-line block ×12, first 2 shown]
	buffer_load_dword v14, off, s[20:23], 0 ; 4-byte Folded Reload
	buffer_load_dword v71, off, s[20:23], 0 offset:56 ; 4-byte Folded Reload
	s_add_i32 s14, s14, 1
	v_mov_b32_e32 v13, v83
	v_mov_b32_e32 v83, v52
	s_cmp_eq_u32 s14, s4
	s_waitcnt vmcnt(0)
	s_barrier
	s_cbranch_scc1 .LBB131_11
; %bb.10:                               ;   in Loop: Header=BB131_5 Depth=1
	buffer_load_dword v1, off, s[20:23], 0 offset:276 ; 4-byte Folded Reload
	buffer_load_dword v30, off, s[20:23], 0 offset:420 ; 4-byte Folded Reload
	v_mov_b32_e32 v78, v83
	v_mov_b32_e32 v79, v87
	;; [unrolled: 1-line block ×6, first 2 shown]
	s_branch .LBB131_5
.LBB131_11:
	buffer_load_dword v0, off, s[20:23], 0 offset:424 ; 4-byte Folded Reload
	buffer_load_dword v1, off, s[20:23], 0 offset:276 ; 4-byte Folded Reload
.LBB131_12:
	s_waitcnt vmcnt(1)
	v_cmp_gt_u32_e32 vcc, s8, v0
	s_and_saveexec_b64 s[0:1], vcc
	s_cbranch_execz .LBB131_63
; %bb.13:
	v_mul_lo_u32 v4, v0, s10
	v_add_u32_e32 v0, s6, v71
	v_cmp_gt_u32_e32 vcc, s10, v0
	s_and_saveexec_b64 s[2:3], vcc
	s_cbranch_execz .LBB131_15
; %bb.14:
	v_add_u32_e32 v2, v0, v4
	v_mov_b32_e32 v3, 0
	v_lshlrev_b64 v[5:6], 2, v[2:3]
	s_waitcnt lgkmcnt(0)
	v_mov_b32_e32 v3, s13
	v_add_co_u32_e64 v2, s[0:1], s12, v5
	v_addc_co_u32_e64 v3, s[0:1], v3, v6, s[0:1]
	global_store_dword v[2:3], v83, off
.LBB131_15:
	s_or_b64 exec, exec, s[2:3]
	v_add_u32_e32 v8, 32, v0
	v_cmp_gt_u32_e64 s[0:1], s10, v8
	s_and_saveexec_b64 s[4:5], s[0:1]
	s_cbranch_execz .LBB131_17
; %bb.16:
	v_add_u32_e32 v2, v8, v4
	v_mov_b32_e32 v3, 0
	v_lshlrev_b64 v[2:3], 2, v[2:3]
	s_waitcnt lgkmcnt(0)
	v_mov_b32_e32 v5, s13
	v_add_co_u32_e64 v2, s[2:3], s12, v2
	v_addc_co_u32_e64 v3, s[2:3], v5, v3, s[2:3]
	global_store_dword v[2:3], v45, off
.LBB131_17:
	s_or_b64 exec, exec, s[4:5]
	v_add_u32_e32 v2, 64, v0
	v_cmp_gt_u32_e64 s[2:3], s10, v2
	s_and_saveexec_b64 s[6:7], s[2:3]
	;; [unrolled: 15-line block ×3, first 2 shown]
	s_cbranch_execz .LBB131_21
; %bb.20:
	v_add_u32_e32 v4, v3, v4
	v_mov_b32_e32 v5, 0
	v_lshlrev_b64 v[4:5], 2, v[4:5]
	s_waitcnt lgkmcnt(0)
	v_mov_b32_e32 v6, s13
	v_add_co_u32_e64 v4, s[6:7], s12, v4
	v_addc_co_u32_e64 v5, s[6:7], v6, v5, s[6:7]
	global_store_dword v[4:5], v27, off
.LBB131_21:
	s_or_b64 exec, exec, s[14:15]
	s_waitcnt vmcnt(0)
	v_add3_u32 v4, v1, s11, 8
	v_cmp_gt_u32_e64 s[6:7], s8, v4
	s_and_b64 exec, exec, s[6:7]
	s_cbranch_execz .LBB131_63
; %bb.22:
	v_mul_lo_u32 v4, v4, s10
	s_and_saveexec_b64 s[14:15], vcc
	s_cbranch_execnz .LBB131_64
; %bb.23:
	s_or_b64 exec, exec, s[14:15]
	s_and_saveexec_b64 s[14:15], s[0:1]
	s_cbranch_execnz .LBB131_65
.LBB131_24:
	s_or_b64 exec, exec, s[14:15]
	s_and_saveexec_b64 s[14:15], s[2:3]
	s_cbranch_execnz .LBB131_66
.LBB131_25:
	s_or_b64 exec, exec, s[14:15]
	s_and_saveexec_b64 s[14:15], s[4:5]
	s_cbranch_execz .LBB131_27
.LBB131_26:
	v_add_u32_e32 v4, v4, v3
	v_mov_b32_e32 v5, 0
	v_lshlrev_b64 v[4:5], 2, v[4:5]
	s_waitcnt lgkmcnt(0)
	v_mov_b32_e32 v6, s13
	v_add_co_u32_e64 v4, s[6:7], s12, v4
	v_addc_co_u32_e64 v5, s[6:7], v6, v5, s[6:7]
	global_store_dword v[4:5], v22, off
.LBB131_27:
	s_or_b64 exec, exec, s[14:15]
	v_add3_u32 v4, v1, s11, 16
	v_cmp_gt_u32_e64 s[6:7], s8, v4
	s_and_b64 exec, exec, s[6:7]
	s_cbranch_execz .LBB131_63
; %bb.28:
	v_mul_lo_u32 v4, v4, s10
	s_and_saveexec_b64 s[14:15], vcc
	s_cbranch_execnz .LBB131_67
; %bb.29:
	s_or_b64 exec, exec, s[14:15]
	s_and_saveexec_b64 s[14:15], s[0:1]
	s_cbranch_execnz .LBB131_68
.LBB131_30:
	s_or_b64 exec, exec, s[14:15]
	s_and_saveexec_b64 s[14:15], s[2:3]
	s_cbranch_execnz .LBB131_69
.LBB131_31:
	s_or_b64 exec, exec, s[14:15]
	s_and_saveexec_b64 s[14:15], s[4:5]
	s_cbranch_execz .LBB131_33
.LBB131_32:
	v_add_u32_e32 v4, v4, v3
	v_mov_b32_e32 v5, 0
	v_lshlrev_b64 v[4:5], 2, v[4:5]
	s_waitcnt lgkmcnt(0)
	v_mov_b32_e32 v6, s13
	v_add_co_u32_e64 v4, s[6:7], s12, v4
	v_addc_co_u32_e64 v5, s[6:7], v6, v5, s[6:7]
	global_store_dword v[4:5], v18, off
.LBB131_33:
	s_or_b64 exec, exec, s[14:15]
	v_add3_u32 v4, v1, s11, 24
	v_cmp_gt_u32_e64 s[6:7], s8, v4
	s_and_b64 exec, exec, s[6:7]
	s_cbranch_execz .LBB131_63
; %bb.34:
	v_mul_lo_u32 v4, v4, s10
	s_and_saveexec_b64 s[14:15], vcc
	s_cbranch_execnz .LBB131_70
; %bb.35:
	s_or_b64 exec, exec, s[14:15]
	s_and_saveexec_b64 s[14:15], s[0:1]
	s_cbranch_execnz .LBB131_71
.LBB131_36:
	s_or_b64 exec, exec, s[14:15]
	s_and_saveexec_b64 s[14:15], s[2:3]
	s_cbranch_execnz .LBB131_72
.LBB131_37:
	s_or_b64 exec, exec, s[14:15]
	s_and_saveexec_b64 s[14:15], s[4:5]
	s_cbranch_execz .LBB131_39
.LBB131_38:
	v_add_u32_e32 v4, v4, v3
	v_mov_b32_e32 v5, 0
	v_lshlrev_b64 v[4:5], 2, v[4:5]
	s_waitcnt lgkmcnt(0)
	v_mov_b32_e32 v6, s13
	v_add_co_u32_e64 v4, s[6:7], s12, v4
	v_addc_co_u32_e64 v5, s[6:7], v6, v5, s[6:7]
	global_store_dword v[4:5], v14, off
.LBB131_39:
	s_or_b64 exec, exec, s[14:15]
	v_add3_u32 v4, v1, s11, 32
	v_cmp_gt_u32_e64 s[6:7], s8, v4
	s_and_b64 exec, exec, s[6:7]
	s_cbranch_execz .LBB131_63
; %bb.40:
	v_mul_lo_u32 v4, v4, s10
	s_and_saveexec_b64 s[14:15], vcc
	s_cbranch_execnz .LBB131_73
; %bb.41:
	s_or_b64 exec, exec, s[14:15]
	s_and_saveexec_b64 s[14:15], s[0:1]
	s_cbranch_execnz .LBB131_74
.LBB131_42:
	s_or_b64 exec, exec, s[14:15]
	s_and_saveexec_b64 s[14:15], s[2:3]
	s_cbranch_execnz .LBB131_75
.LBB131_43:
	s_or_b64 exec, exec, s[14:15]
	s_and_saveexec_b64 s[14:15], s[4:5]
	s_cbranch_execz .LBB131_45
.LBB131_44:
	v_add_u32_e32 v4, v4, v3
	v_mov_b32_e32 v5, 0
	v_lshlrev_b64 v[4:5], 2, v[4:5]
	s_waitcnt lgkmcnt(0)
	v_mov_b32_e32 v6, s13
	v_add_co_u32_e64 v4, s[6:7], s12, v4
	v_addc_co_u32_e64 v5, s[6:7], v6, v5, s[6:7]
	global_store_dword v[4:5], v88, off
.LBB131_45:
	s_or_b64 exec, exec, s[14:15]
	v_add3_u32 v4, v1, s11, 40
	v_cmp_gt_u32_e64 s[6:7], s8, v4
	s_and_b64 exec, exec, s[6:7]
	s_cbranch_execz .LBB131_63
; %bb.46:
	v_mul_lo_u32 v4, v4, s10
	s_and_saveexec_b64 s[14:15], vcc
	s_cbranch_execnz .LBB131_76
; %bb.47:
	s_or_b64 exec, exec, s[14:15]
	s_and_saveexec_b64 s[14:15], s[0:1]
	s_cbranch_execnz .LBB131_77
.LBB131_48:
	s_or_b64 exec, exec, s[14:15]
	s_and_saveexec_b64 s[14:15], s[2:3]
	s_cbranch_execnz .LBB131_78
.LBB131_49:
	s_or_b64 exec, exec, s[14:15]
	s_and_saveexec_b64 s[14:15], s[4:5]
	s_cbranch_execz .LBB131_51
.LBB131_50:
	v_add_u32_e32 v4, v4, v3
	v_mov_b32_e32 v5, 0
	v_lshlrev_b64 v[4:5], 2, v[4:5]
	s_waitcnt lgkmcnt(0)
	v_mov_b32_e32 v6, s13
	v_add_co_u32_e64 v4, s[6:7], s12, v4
	v_addc_co_u32_e64 v5, s[6:7], v6, v5, s[6:7]
	global_store_dword v[4:5], v74, off
.LBB131_51:
	s_or_b64 exec, exec, s[14:15]
	v_add3_u32 v4, v1, s11, 48
	v_cmp_gt_u32_e64 s[6:7], s8, v4
	s_and_b64 exec, exec, s[6:7]
	s_cbranch_execz .LBB131_63
; %bb.52:
	v_mul_lo_u32 v4, v4, s10
	s_and_saveexec_b64 s[14:15], vcc
	s_cbranch_execnz .LBB131_79
; %bb.53:
	s_or_b64 exec, exec, s[14:15]
	s_and_saveexec_b64 s[14:15], s[0:1]
	s_cbranch_execnz .LBB131_80
.LBB131_54:
	s_or_b64 exec, exec, s[14:15]
	s_and_saveexec_b64 s[14:15], s[2:3]
	s_cbranch_execnz .LBB131_81
.LBB131_55:
	s_or_b64 exec, exec, s[14:15]
	s_and_saveexec_b64 s[14:15], s[4:5]
	s_cbranch_execz .LBB131_57
.LBB131_56:
	v_add_u32_e32 v4, v4, v3
	v_mov_b32_e32 v5, 0
	v_lshlrev_b64 v[4:5], 2, v[4:5]
	s_waitcnt lgkmcnt(0)
	v_mov_b32_e32 v6, s13
	v_add_co_u32_e64 v4, s[6:7], s12, v4
	v_addc_co_u32_e64 v5, s[6:7], v6, v5, s[6:7]
	global_store_dword v[4:5], v47, off
.LBB131_57:
	s_or_b64 exec, exec, s[14:15]
	v_add3_u32 v4, v1, s11, 56
	v_cmp_gt_u32_e64 s[6:7], s8, v4
	s_and_b64 exec, exec, s[6:7]
	s_cbranch_execz .LBB131_63
; %bb.58:
	v_mul_lo_u32 v4, v4, s10
	s_and_saveexec_b64 s[6:7], vcc
	s_cbranch_execnz .LBB131_82
; %bb.59:
	s_or_b64 exec, exec, s[6:7]
	s_and_saveexec_b64 s[6:7], s[0:1]
	s_cbranch_execnz .LBB131_83
.LBB131_60:
	s_or_b64 exec, exec, s[6:7]
	s_and_saveexec_b64 s[0:1], s[2:3]
	s_cbranch_execnz .LBB131_84
.LBB131_61:
	s_or_b64 exec, exec, s[0:1]
	s_and_b64 exec, exec, s[4:5]
	s_cbranch_execz .LBB131_63
.LBB131_62:
	v_add_u32_e32 v0, v4, v3
	v_mov_b32_e32 v1, 0
	v_lshlrev_b64 v[0:1], 2, v[0:1]
	s_waitcnt lgkmcnt(0)
	v_mov_b32_e32 v2, s13
	v_add_co_u32_e32 v0, vcc, s12, v0
	v_addc_co_u32_e32 v1, vcc, v2, v1, vcc
	global_store_dword v[0:1], v37, off
.LBB131_63:
	s_endpgm
.LBB131_64:
	v_add_u32_e32 v5, v4, v0
	v_mov_b32_e32 v6, 0
	v_lshlrev_b64 v[5:6], 2, v[5:6]
	s_waitcnt lgkmcnt(0)
	v_mov_b32_e32 v7, s13
	v_add_co_u32_e64 v5, s[6:7], s12, v5
	v_addc_co_u32_e64 v6, s[6:7], v7, v6, s[6:7]
	global_store_dword v[5:6], v26, off
	s_or_b64 exec, exec, s[14:15]
	s_and_saveexec_b64 s[14:15], s[0:1]
	s_cbranch_execz .LBB131_24
.LBB131_65:
	v_add_u32_e32 v5, v4, v8
	v_mov_b32_e32 v6, 0
	v_lshlrev_b64 v[5:6], 2, v[5:6]
	s_waitcnt lgkmcnt(0)
	v_mov_b32_e32 v7, s13
	v_add_co_u32_e64 v5, s[6:7], s12, v5
	v_addc_co_u32_e64 v6, s[6:7], v7, v6, s[6:7]
	global_store_dword v[5:6], v24, off
	s_or_b64 exec, exec, s[14:15]
	s_and_saveexec_b64 s[14:15], s[2:3]
	s_cbranch_execz .LBB131_25
.LBB131_66:
	v_add_u32_e32 v5, v4, v2
	v_mov_b32_e32 v6, 0
	v_lshlrev_b64 v[5:6], 2, v[5:6]
	s_waitcnt lgkmcnt(0)
	v_mov_b32_e32 v7, s13
	v_add_co_u32_e64 v5, s[6:7], s12, v5
	v_addc_co_u32_e64 v6, s[6:7], v7, v6, s[6:7]
	global_store_dword v[5:6], v23, off
	s_or_b64 exec, exec, s[14:15]
	s_and_saveexec_b64 s[14:15], s[4:5]
	s_cbranch_execnz .LBB131_26
	s_branch .LBB131_27
.LBB131_67:
	v_add_u32_e32 v5, v4, v0
	v_mov_b32_e32 v6, 0
	v_lshlrev_b64 v[5:6], 2, v[5:6]
	s_waitcnt lgkmcnt(0)
	v_mov_b32_e32 v7, s13
	v_add_co_u32_e64 v5, s[6:7], s12, v5
	v_addc_co_u32_e64 v6, s[6:7], v7, v6, s[6:7]
	global_store_dword v[5:6], v21, off
	s_or_b64 exec, exec, s[14:15]
	s_and_saveexec_b64 s[14:15], s[0:1]
	s_cbranch_execz .LBB131_30
.LBB131_68:
	v_add_u32_e32 v5, v4, v8
	v_mov_b32_e32 v6, 0
	v_lshlrev_b64 v[5:6], 2, v[5:6]
	s_waitcnt lgkmcnt(0)
	v_mov_b32_e32 v7, s13
	v_add_co_u32_e64 v5, s[6:7], s12, v5
	v_addc_co_u32_e64 v6, s[6:7], v7, v6, s[6:7]
	global_store_dword v[5:6], v20, off
	s_or_b64 exec, exec, s[14:15]
	s_and_saveexec_b64 s[14:15], s[2:3]
	s_cbranch_execz .LBB131_31
.LBB131_69:
	v_add_u32_e32 v5, v4, v2
	v_mov_b32_e32 v6, 0
	v_lshlrev_b64 v[5:6], 2, v[5:6]
	s_waitcnt lgkmcnt(0)
	v_mov_b32_e32 v7, s13
	v_add_co_u32_e64 v5, s[6:7], s12, v5
	v_addc_co_u32_e64 v6, s[6:7], v7, v6, s[6:7]
	global_store_dword v[5:6], v19, off
	s_or_b64 exec, exec, s[14:15]
	s_and_saveexec_b64 s[14:15], s[4:5]
	s_cbranch_execnz .LBB131_32
	s_branch .LBB131_33
.LBB131_70:
	v_add_u32_e32 v5, v4, v0
	v_mov_b32_e32 v6, 0
	v_lshlrev_b64 v[5:6], 2, v[5:6]
	s_waitcnt lgkmcnt(0)
	v_mov_b32_e32 v7, s13
	v_add_co_u32_e64 v5, s[6:7], s12, v5
	v_addc_co_u32_e64 v6, s[6:7], v7, v6, s[6:7]
	global_store_dword v[5:6], v17, off
	s_or_b64 exec, exec, s[14:15]
	s_and_saveexec_b64 s[14:15], s[0:1]
	s_cbranch_execz .LBB131_36
.LBB131_71:
	v_add_u32_e32 v5, v4, v8
	v_mov_b32_e32 v6, 0
	v_lshlrev_b64 v[5:6], 2, v[5:6]
	s_waitcnt lgkmcnt(0)
	v_mov_b32_e32 v7, s13
	v_add_co_u32_e64 v5, s[6:7], s12, v5
	v_addc_co_u32_e64 v6, s[6:7], v7, v6, s[6:7]
	global_store_dword v[5:6], v16, off
	s_or_b64 exec, exec, s[14:15]
	s_and_saveexec_b64 s[14:15], s[2:3]
	s_cbranch_execz .LBB131_37
.LBB131_72:
	v_add_u32_e32 v5, v4, v2
	v_mov_b32_e32 v6, 0
	v_lshlrev_b64 v[5:6], 2, v[5:6]
	s_waitcnt lgkmcnt(0)
	v_mov_b32_e32 v7, s13
	v_add_co_u32_e64 v5, s[6:7], s12, v5
	v_addc_co_u32_e64 v6, s[6:7], v7, v6, s[6:7]
	global_store_dword v[5:6], v15, off
	s_or_b64 exec, exec, s[14:15]
	s_and_saveexec_b64 s[14:15], s[4:5]
	s_cbranch_execnz .LBB131_38
	s_branch .LBB131_39
.LBB131_73:
	v_add_u32_e32 v5, v4, v0
	v_mov_b32_e32 v6, 0
	v_lshlrev_b64 v[5:6], 2, v[5:6]
	s_waitcnt lgkmcnt(0)
	v_mov_b32_e32 v7, s13
	v_add_co_u32_e64 v5, s[6:7], s12, v5
	v_addc_co_u32_e64 v6, s[6:7], v7, v6, s[6:7]
	global_store_dword v[5:6], v13, off
	s_or_b64 exec, exec, s[14:15]
	s_and_saveexec_b64 s[14:15], s[0:1]
	s_cbranch_execz .LBB131_42
.LBB131_74:
	v_add_u32_e32 v5, v4, v8
	v_mov_b32_e32 v6, 0
	v_lshlrev_b64 v[5:6], 2, v[5:6]
	s_waitcnt lgkmcnt(0)
	v_mov_b32_e32 v7, s13
	v_add_co_u32_e64 v5, s[6:7], s12, v5
	v_addc_co_u32_e64 v6, s[6:7], v7, v6, s[6:7]
	global_store_dword v[5:6], v90, off
	s_or_b64 exec, exec, s[14:15]
	s_and_saveexec_b64 s[14:15], s[2:3]
	s_cbranch_execz .LBB131_43
.LBB131_75:
	v_add_u32_e32 v5, v4, v2
	v_mov_b32_e32 v6, 0
	v_lshlrev_b64 v[5:6], 2, v[5:6]
	s_waitcnt lgkmcnt(0)
	v_mov_b32_e32 v7, s13
	v_add_co_u32_e64 v5, s[6:7], s12, v5
	v_addc_co_u32_e64 v6, s[6:7], v7, v6, s[6:7]
	global_store_dword v[5:6], v89, off
	s_or_b64 exec, exec, s[14:15]
	s_and_saveexec_b64 s[14:15], s[4:5]
	s_cbranch_execnz .LBB131_44
	s_branch .LBB131_45
.LBB131_76:
	v_add_u32_e32 v5, v4, v0
	v_mov_b32_e32 v6, 0
	v_lshlrev_b64 v[5:6], 2, v[5:6]
	s_waitcnt lgkmcnt(0)
	v_mov_b32_e32 v7, s13
	v_add_co_u32_e64 v5, s[6:7], s12, v5
	v_addc_co_u32_e64 v6, s[6:7], v7, v6, s[6:7]
	global_store_dword v[5:6], v87, off
	s_or_b64 exec, exec, s[14:15]
	s_and_saveexec_b64 s[14:15], s[0:1]
	s_cbranch_execz .LBB131_48
.LBB131_77:
	v_add_u32_e32 v5, v4, v8
	v_mov_b32_e32 v6, 0
	v_lshlrev_b64 v[5:6], 2, v[5:6]
	s_waitcnt lgkmcnt(0)
	v_mov_b32_e32 v7, s13
	v_add_co_u32_e64 v5, s[6:7], s12, v5
	v_addc_co_u32_e64 v6, s[6:7], v7, v6, s[6:7]
	global_store_dword v[5:6], v77, off
	s_or_b64 exec, exec, s[14:15]
	s_and_saveexec_b64 s[14:15], s[2:3]
	s_cbranch_execz .LBB131_49
.LBB131_78:
	v_add_u32_e32 v5, v4, v2
	v_mov_b32_e32 v6, 0
	v_lshlrev_b64 v[5:6], 2, v[5:6]
	s_waitcnt lgkmcnt(0)
	v_mov_b32_e32 v7, s13
	v_add_co_u32_e64 v5, s[6:7], s12, v5
	v_addc_co_u32_e64 v6, s[6:7], v7, v6, s[6:7]
	global_store_dword v[5:6], v75, off
	s_or_b64 exec, exec, s[14:15]
	s_and_saveexec_b64 s[14:15], s[4:5]
	s_cbranch_execnz .LBB131_50
	s_branch .LBB131_51
.LBB131_79:
	v_add_u32_e32 v5, v4, v0
	v_mov_b32_e32 v6, 0
	v_lshlrev_b64 v[5:6], 2, v[5:6]
	s_waitcnt lgkmcnt(0)
	v_mov_b32_e32 v7, s13
	v_add_co_u32_e64 v5, s[6:7], s12, v5
	v_addc_co_u32_e64 v6, s[6:7], v7, v6, s[6:7]
	global_store_dword v[5:6], v66, off
	s_or_b64 exec, exec, s[14:15]
	s_and_saveexec_b64 s[14:15], s[0:1]
	s_cbranch_execz .LBB131_54
.LBB131_80:
	v_add_u32_e32 v5, v4, v8
	v_mov_b32_e32 v6, 0
	v_lshlrev_b64 v[5:6], 2, v[5:6]
	s_waitcnt lgkmcnt(0)
	v_mov_b32_e32 v7, s13
	v_add_co_u32_e64 v5, s[6:7], s12, v5
	v_addc_co_u32_e64 v6, s[6:7], v7, v6, s[6:7]
	global_store_dword v[5:6], v61, off
	s_or_b64 exec, exec, s[14:15]
	s_and_saveexec_b64 s[14:15], s[2:3]
	s_cbranch_execz .LBB131_55
.LBB131_81:
	v_add_u32_e32 v5, v4, v2
	v_mov_b32_e32 v6, 0
	v_lshlrev_b64 v[5:6], 2, v[5:6]
	s_waitcnt lgkmcnt(0)
	v_mov_b32_e32 v7, s13
	v_add_co_u32_e64 v5, s[6:7], s12, v5
	v_addc_co_u32_e64 v6, s[6:7], v7, v6, s[6:7]
	global_store_dword v[5:6], v54, off
	s_or_b64 exec, exec, s[14:15]
	s_and_saveexec_b64 s[14:15], s[4:5]
	s_cbranch_execnz .LBB131_56
	s_branch .LBB131_57
.LBB131_82:
	v_add_u32_e32 v5, v4, v0
	v_mov_b32_e32 v6, 0
	v_lshlrev_b64 v[5:6], 2, v[5:6]
	s_waitcnt lgkmcnt(0)
	v_mov_b32_e32 v0, s13
	v_add_co_u32_e32 v5, vcc, s12, v5
	v_addc_co_u32_e32 v6, vcc, v0, v6, vcc
	global_store_dword v[5:6], v40, off
	s_or_b64 exec, exec, s[6:7]
	s_and_saveexec_b64 s[6:7], s[0:1]
	s_cbranch_execz .LBB131_60
.LBB131_83:
	v_add_u32_e32 v0, v4, v8
	v_mov_b32_e32 v1, 0
	v_lshlrev_b64 v[0:1], 2, v[0:1]
	s_waitcnt lgkmcnt(0)
	v_mov_b32_e32 v5, s13
	v_add_co_u32_e32 v0, vcc, s12, v0
	v_addc_co_u32_e32 v1, vcc, v5, v1, vcc
	global_store_dword v[0:1], v39, off
	s_or_b64 exec, exec, s[6:7]
	s_and_saveexec_b64 s[0:1], s[2:3]
	s_cbranch_execz .LBB131_61
.LBB131_84:
	v_add_u32_e32 v0, v4, v2
	v_mov_b32_e32 v1, 0
	v_lshlrev_b64 v[0:1], 2, v[0:1]
	s_waitcnt lgkmcnt(0)
	v_mov_b32_e32 v2, s13
	v_add_co_u32_e32 v0, vcc, s12, v0
	v_addc_co_u32_e32 v1, vcc, v2, v1, vcc
	global_store_dword v[0:1], v38, off
	s_or_b64 exec, exec, s[0:1]
	s_and_b64 exec, exec, s[4:5]
	s_cbranch_execnz .LBB131_62
	s_branch .LBB131_63
	.section	.rodata,"a",@progbits
	.p2align	6, 0x0
	.amdhsa_kernel _ZL12mul_mat_q4_KIfLb0EEvPKvS1_PT_iiiii
		.amdhsa_group_segment_fixed_size 28752
		.amdhsa_private_segment_fixed_size 432
		.amdhsa_kernarg_size 44
		.amdhsa_user_sgpr_count 6
		.amdhsa_user_sgpr_private_segment_buffer 1
		.amdhsa_user_sgpr_dispatch_ptr 0
		.amdhsa_user_sgpr_queue_ptr 0
		.amdhsa_user_sgpr_kernarg_segment_ptr 1
		.amdhsa_user_sgpr_dispatch_id 0
		.amdhsa_user_sgpr_flat_scratch_init 0
		.amdhsa_user_sgpr_private_segment_size 0
		.amdhsa_uses_dynamic_stack 0
		.amdhsa_system_sgpr_private_segment_wavefront_offset 1
		.amdhsa_system_sgpr_workgroup_id_x 1
		.amdhsa_system_sgpr_workgroup_id_y 1
		.amdhsa_system_sgpr_workgroup_id_z 0
		.amdhsa_system_sgpr_workgroup_info 0
		.amdhsa_system_vgpr_workitem_id 1
		.amdhsa_next_free_vgpr 128
		.amdhsa_next_free_sgpr 98
		.amdhsa_reserve_vcc 1
		.amdhsa_reserve_flat_scratch 0
		.amdhsa_float_round_mode_32 0
		.amdhsa_float_round_mode_16_64 0
		.amdhsa_float_denorm_mode_32 3
		.amdhsa_float_denorm_mode_16_64 3
		.amdhsa_dx10_clamp 1
		.amdhsa_ieee_mode 1
		.amdhsa_fp16_overflow 0
		.amdhsa_exception_fp_ieee_invalid_op 0
		.amdhsa_exception_fp_denorm_src 0
		.amdhsa_exception_fp_ieee_div_zero 0
		.amdhsa_exception_fp_ieee_overflow 0
		.amdhsa_exception_fp_ieee_underflow 0
		.amdhsa_exception_fp_ieee_inexact 0
		.amdhsa_exception_int_div_zero 0
	.end_amdhsa_kernel
	.section	.text._ZL12mul_mat_q4_KIfLb0EEvPKvS1_PT_iiiii,"axG",@progbits,_ZL12mul_mat_q4_KIfLb0EEvPKvS1_PT_iiiii,comdat
.Lfunc_end131:
	.size	_ZL12mul_mat_q4_KIfLb0EEvPKvS1_PT_iiiii, .Lfunc_end131-_ZL12mul_mat_q4_KIfLb0EEvPKvS1_PT_iiiii
                                        ; -- End function
	.set _ZL12mul_mat_q4_KIfLb0EEvPKvS1_PT_iiiii.num_vgpr, 128
	.set _ZL12mul_mat_q4_KIfLb0EEvPKvS1_PT_iiiii.num_agpr, 0
	.set _ZL12mul_mat_q4_KIfLb0EEvPKvS1_PT_iiiii.numbered_sgpr, 24
	.set _ZL12mul_mat_q4_KIfLb0EEvPKvS1_PT_iiiii.num_named_barrier, 0
	.set _ZL12mul_mat_q4_KIfLb0EEvPKvS1_PT_iiiii.private_seg_size, 432
	.set _ZL12mul_mat_q4_KIfLb0EEvPKvS1_PT_iiiii.uses_vcc, 1
	.set _ZL12mul_mat_q4_KIfLb0EEvPKvS1_PT_iiiii.uses_flat_scratch, 0
	.set _ZL12mul_mat_q4_KIfLb0EEvPKvS1_PT_iiiii.has_dyn_sized_stack, 0
	.set _ZL12mul_mat_q4_KIfLb0EEvPKvS1_PT_iiiii.has_recursion, 0
	.set _ZL12mul_mat_q4_KIfLb0EEvPKvS1_PT_iiiii.has_indirect_call, 0
	.section	.AMDGPU.csdata,"",@progbits
; Kernel info:
; codeLenInByte = 24612
; TotalNumSgprs: 28
; NumVgprs: 128
; ScratchSize: 432
; MemoryBound: 0
; FloatMode: 240
; IeeeMode: 1
; LDSByteSize: 28752 bytes/workgroup (compile time only)
; SGPRBlocks: 12
; VGPRBlocks: 31
; NumSGPRsForWavesPerEU: 102
; NumVGPRsForWavesPerEU: 128
; Occupancy: 2
; WaveLimiterHint : 0
; COMPUTE_PGM_RSRC2:SCRATCH_EN: 1
; COMPUTE_PGM_RSRC2:USER_SGPR: 6
; COMPUTE_PGM_RSRC2:TRAP_HANDLER: 0
; COMPUTE_PGM_RSRC2:TGID_X_EN: 1
; COMPUTE_PGM_RSRC2:TGID_Y_EN: 1
; COMPUTE_PGM_RSRC2:TGID_Z_EN: 0
; COMPUTE_PGM_RSRC2:TIDIG_COMP_CNT: 1
	.section	.text._ZL12mul_mat_q4_KIfLb1EEvPKvS1_PT_iiiii,"axG",@progbits,_ZL12mul_mat_q4_KIfLb1EEvPKvS1_PT_iiiii,comdat
	.globl	_ZL12mul_mat_q4_KIfLb1EEvPKvS1_PT_iiiii ; -- Begin function _ZL12mul_mat_q4_KIfLb1EEvPKvS1_PT_iiiii
	.p2align	8
	.type	_ZL12mul_mat_q4_KIfLb1EEvPKvS1_PT_iiiii,@function
_ZL12mul_mat_q4_KIfLb1EEvPKvS1_PT_iiiii: ; @_ZL12mul_mat_q4_KIfLb1EEvPKvS1_PT_iiiii
; %bb.0:
	s_mov_b64 s[22:23], s[2:3]
	s_mov_b64 s[20:21], s[0:1]
	s_add_u32 s20, s20, s8
	s_addc_u32 s21, s21, 0
	buffer_store_dword v0, off, s[20:23], 0 offset:52 ; 4-byte Folded Spill
	s_load_dwordx4 s[8:11], s[4:5], 0x18
	s_load_dword s14, s[4:5], 0x28
	s_lshl_b32 s15, s7, 6
	v_add_u32_e32 v24, s15, v1
	s_waitcnt lgkmcnt(0)
	s_cmpk_gt_i32 s8, 0xff
	s_cbranch_scc1 .LBB132_2
; %bb.1:
	v_add_u32_e32 v0, s15, v1
	s_mov_b64 s[0:1], 0
	s_branch .LBB132_3
.LBB132_2:
	s_mov_b64 s[0:1], -1
                                        ; implicit-def: $vgpr0
.LBB132_3:
	s_load_dwordx2 s[12:13], s[4:5], 0x10
	s_lshl_b32 s6, s6, 7
	v_mov_b32_e32 v57, 0
	s_andn2_b64 vcc, exec, s[0:1]
	v_mov_b32_e32 v79, 0
	v_mov_b32_e32 v94, 0
	;; [unrolled: 1-line block ×31, first 2 shown]
	s_cbranch_vccnz .LBB132_12
; %bb.4:
	buffer_load_dword v30, off, s[20:23], 0 offset:52 ; 4-byte Folded Reload
	s_load_dwordx4 s[0:3], s[4:5], 0x0
	s_ashr_i32 s4, s8, 31
	s_lshr_b32 s4, s4, 24
	s_add_i32 s4, s8, s4
	s_ashr_i32 s5, s11, 31
	s_ashr_i32 s4, s4, 8
	s_lshr_b32 s5, s5, 27
	s_add_i32 s5, s11, s5
	s_mul_i32 s7, s4, s6
	s_ashr_i32 s11, s5, 5
	s_mul_hi_i32 s8, s7, 0x90
	s_mulk_i32 s7, 0x90
	s_waitcnt lgkmcnt(0)
	s_add_u32 s7, s0, s7
	s_addc_u32 s8, s1, s8
	s_not_b32 s0, s6
	s_add_i32 s18, s9, s0
	s_movk_i32 s0, 0x84
	v_add_u32_e32 v27, 16, v1
	v_add_u32_e32 v4, 24, v1
	;; [unrolled: 1-line block ×6, first 2 shown]
	s_movk_i32 s1, 0x6e40
	v_mov_b32_e32 v20, 0x4200
	v_lshlrev_b32_e32 v21, 7, v5
	v_lshlrev_b32_e32 v22, 7, v6
	;; [unrolled: 1-line block ×3, first 2 shown]
	s_movk_i32 s5, 0x90
	s_mov_b32 s9, 0
	v_mov_b32_e32 v90, 0
	v_mov_b32_e32 v98, 0
	;; [unrolled: 1-line block ×19, first 2 shown]
	s_waitcnt vmcnt(0)
	v_lshlrev_b32_e32 v101, 2, v30
	v_and_b32_e32 v0, 0x7c, v101
	buffer_store_dword v0, off, s[20:23], 0 offset:288 ; 4-byte Folded Spill
	v_min_i32_e32 v0, s18, v1
	v_mul_lo_u32 v2, v0, s4
	v_and_b32_e32 v16, 3, v30
	v_cmp_gt_u32_e32 vcc, 2, v16
	v_lshlrev_b32_e32 v18, 2, v16
	buffer_store_dword v2, off, s[20:23], 0 offset:292 ; 4-byte Folded Spill
	v_mad_u64_u32 v[2:3], s[16:17], v0, s0, v[101:102]
	buffer_store_dword v2, off, s[20:23], 0 offset:296 ; 4-byte Folded Spill
	s_nop 0
	buffer_store_dword v3, off, s[20:23], 0 offset:300 ; 4-byte Folded Spill
	v_add_u32_e32 v0, 8, v1
	v_min_i32_e32 v2, s18, v0
	v_mul_lo_u32 v3, v2, s4
	v_and_b32_e32 v19, 31, v30
	v_lshl_or_b32 v28, v19, 2, v20
	v_lshrrev_b32_e32 v25, 5, v30
	buffer_store_dword v3, off, s[20:23], 0 offset:304 ; 4-byte Folded Spill
	v_mad_u64_u32 v[2:3], s[16:17], v2, s0, v[101:102]
	buffer_store_dword v2, off, s[20:23], 0 offset:308 ; 4-byte Folded Spill
	s_nop 0
	buffer_store_dword v3, off, s[20:23], 0 offset:312 ; 4-byte Folded Spill
	v_min_i32_e32 v2, s18, v27
	v_mul_lo_u32 v3, v2, s4
	v_and_b32_e32 v15, 28, v101
	v_lshrrev_b32_e32 v29, 3, v30
	v_lshlrev_b32_e32 v118, 2, v29
	buffer_store_dword v3, off, s[20:23], 0 offset:316 ; 4-byte Folded Spill
	v_mad_u64_u32 v[2:3], s[16:17], v2, s0, v[101:102]
	buffer_store_dword v2, off, s[20:23], 0 offset:320 ; 4-byte Folded Spill
	s_nop 0
	buffer_store_dword v3, off, s[20:23], 0 offset:324 ; 4-byte Folded Spill
	v_min_i32_e32 v2, s18, v4
	v_mul_lo_u32 v3, v2, s4
	buffer_store_dword v3, off, s[20:23], 0 offset:328 ; 4-byte Folded Spill
	v_mad_u64_u32 v[2:3], s[16:17], v2, s0, v[101:102]
	buffer_store_dword v2, off, s[20:23], 0 offset:332 ; 4-byte Folded Spill
	s_nop 0
	buffer_store_dword v3, off, s[20:23], 0 offset:336 ; 4-byte Folded Spill
	v_min_i32_e32 v2, s18, v5
	v_mul_lo_u32 v3, v2, s4
	buffer_store_dword v3, off, s[20:23], 0 offset:340 ; 4-byte Folded Spill
	v_mad_u64_u32 v[2:3], s[16:17], v2, s0, v[101:102]
	buffer_store_dword v2, off, s[20:23], 0 offset:344 ; 4-byte Folded Spill
	s_nop 0
	buffer_store_dword v3, off, s[20:23], 0 offset:348 ; 4-byte Folded Spill
	v_min_i32_e32 v2, s18, v6
	v_mul_lo_u32 v3, v2, s4
	buffer_store_dword v3, off, s[20:23], 0 offset:352 ; 4-byte Folded Spill
	v_mad_u64_u32 v[2:3], s[16:17], v2, s0, v[101:102]
	buffer_store_dword v2, off, s[20:23], 0 offset:356 ; 4-byte Folded Spill
	s_nop 0
	buffer_store_dword v3, off, s[20:23], 0 offset:360 ; 4-byte Folded Spill
	v_min_i32_e32 v2, s18, v7
	v_mul_lo_u32 v3, v2, s4
	buffer_store_dword v3, off, s[20:23], 0 offset:364 ; 4-byte Folded Spill
	v_mad_u64_u32 v[2:3], s[16:17], v2, s0, v[101:102]
	buffer_store_dword v2, off, s[20:23], 0 offset:368 ; 4-byte Folded Spill
	s_nop 0
	buffer_store_dword v3, off, s[20:23], 0 offset:372 ; 4-byte Folded Spill
	v_min_i32_e32 v2, s18, v8
	v_mul_lo_u32 v3, v2, s4
	buffer_store_dword v3, off, s[20:23], 0 offset:376 ; 4-byte Folded Spill
	v_mad_u64_u32 v[2:3], s[16:17], v2, s0, v[101:102]
	buffer_store_dword v2, off, s[20:23], 0 offset:380 ; 4-byte Folded Spill
	s_nop 0
	buffer_store_dword v3, off, s[20:23], 0 offset:384 ; 4-byte Folded Spill
	v_add_u32_e32 v2, 64, v1
	v_min_i32_e32 v2, s18, v2
	v_mul_lo_u32 v3, v2, s4
	buffer_store_dword v3, off, s[20:23], 0 offset:388 ; 4-byte Folded Spill
	v_mad_u64_u32 v[2:3], s[16:17], v2, s0, v[101:102]
	buffer_store_dword v2, off, s[20:23], 0 offset:392 ; 4-byte Folded Spill
	s_nop 0
	buffer_store_dword v3, off, s[20:23], 0 offset:396 ; 4-byte Folded Spill
	v_add_u32_e32 v2, 0x48, v1
	v_min_i32_e32 v2, s18, v2
	v_mul_lo_u32 v3, v2, s4
	;; [unrolled: 8-line block ×8, first 2 shown]
	buffer_store_dword v3, off, s[20:23], 0 offset:472 ; 4-byte Folded Spill
	v_mad_u64_u32 v[2:3], s[16:17], v2, s0, v[101:102]
	buffer_store_dword v2, off, s[20:23], 0 offset:476 ; 4-byte Folded Spill
	s_nop 0
	buffer_store_dword v3, off, s[20:23], 0 offset:480 ; 4-byte Folded Spill
	v_lshlrev_b32_e32 v2, 5, v1
	buffer_store_dword v2, off, s[20:23], 0 offset:136 ; 4-byte Folded Spill
	v_add_u32_e32 v2, v2, v30
	v_and_b32_e32 v2, 0x7f, v2
	v_min_i32_e32 v2, s18, v2
	v_mul_lo_u32 v3, v2, s4
	s_movk_i32 s16, 0x6200
	v_mov_b32_e32 v102, 0
	buffer_store_dword v3, off, s[20:23], 0 offset:484 ; 4-byte Folded Spill
	v_ashrrev_i32_e32 v3, 31, v2
	v_lshrrev_b32_e32 v3, 27, v3
	v_add_u32_e32 v3, v2, v3
	v_ashrrev_i32_e32 v3, 5, v3
	v_lshlrev_b32_e32 v3, 2, v3
	v_lshlrev_b32_e32 v2, 2, v2
	v_add3_u32 v2, v3, v2, s1
	buffer_store_dword v2, off, s[20:23], 0 offset:488 ; 4-byte Folded Spill
	v_lshrrev_b32_e32 v2, 2, v30
	v_lshl_add_u32 v17, v1, 3, v2
	v_add_u32_e32 v2, 0xfe, v16
	v_and_b32_e32 v2, 0xff, v2
	v_cndmask_b32_e32 v2, v2, v16, vcc
	v_cmp_ne_u32_e32 vcc, 0, v16
	v_addc_co_u32_e32 v9, vcc, 0, v2, vcc
	v_cmp_lt_u32_e32 vcc, 1, v16
	v_and_b32_e32 v3, 4, v101
	v_lshlrev_b32_e32 v2, 1, v2
	v_cndmask_b32_e32 v3, 0, v3, vcc
	buffer_store_dword v2, off, s[20:23], 0 offset:496 ; 4-byte Folded Spill
	v_and_b32_e32 v2, 0x7f, v17
	buffer_store_dword v3, off, s[20:23], 0 offset:492 ; 4-byte Folded Spill
	v_min_i32_e32 v3, s18, v2
	v_mul_lo_u32 v11, v3, s4
	v_xor_b32_e32 v2, 64, v2
	v_min_i32_e32 v2, s18, v2
	v_lshlrev_b32_e32 v12, 4, v3
	buffer_store_dword v11, off, s[20:23], 0 offset:500 ; 4-byte Folded Spill
	v_ashrrev_i32_e32 v11, 31, v3
	v_lshrrev_b32_e32 v11, 29, v11
	v_add_u32_e32 v11, v3, v11
	v_mul_lo_u32 v3, v2, s4
	v_ashrrev_i32_e32 v11, 3, v11
	v_lshlrev_b32_e32 v11, 2, v11
	v_and_b32_e32 v17, 63, v17
	buffer_store_dword v3, off, s[20:23], 0 offset:504 ; 4-byte Folded Spill
	v_ashrrev_i32_e32 v3, 31, v2
	v_lshrrev_b32_e32 v3, 29, v3
	v_add_u32_e32 v3, v2, v3
	v_ashrrev_i32_e32 v3, 3, v3
	v_lshlrev_b32_e32 v3, 2, v3
	v_add3_u32 v11, v11, v18, s16
	v_add3_u32 v13, v3, v18, s16
	s_add_i32 s16, s10, -1
	v_or_b32_e32 v19, s15, v17
	v_min_i32_e32 v19, s16, v19
	v_lshlrev_b32_e32 v14, 4, v2
	v_cvt_f64_i32_e32 v[2:3], s16
	v_mad_u64_u32 v[19:20], s[16:17], v19, s11, v[16:17]
	v_lshl_or_b32 v16, v17, 4, v18
	v_add_u32_e32 v16, 0x6a40, v16
	buffer_store_dword v19, off, s[20:23], 0 offset:512 ; 4-byte Folded Spill
	s_nop 0
	buffer_store_dword v20, off, s[20:23], 0 offset:516 ; 4-byte Folded Spill
	buffer_store_dword v16, off, s[20:23], 0 offset:192 ; 4-byte Folded Spill
	v_cvt_f64_u32_e32 v[16:17], v24
	buffer_store_dword v24, off, s[20:23], 0 offset:556 ; 4-byte Folded Spill
	buffer_store_dword v25, off, s[20:23], 0 offset:284 ; 4-byte Folded Spill
	v_cndmask_b32_e64 v10, 0, 1, vcc
	v_min_f64 v[16:17], v[16:17], v[2:3]
	v_lshlrev_b32_e32 v20, 7, v4
	v_lshlrev_b32_e32 v19, 7, v27
	v_cvt_i32_f64_e32 v16, v[16:17]
	v_mul_lo_u32 v16, s11, v16
	buffer_store_dword v16, off, s[20:23], 0 offset:196 ; 4-byte Folded Spill
	v_lshlrev_b32_e32 v16, 7, v1
	buffer_store_dword v16, off, s[20:23], 0 offset:200 ; 4-byte Folded Spill
	v_add_u32_e32 v16, 8, v24
	v_cvt_f64_u32_e32 v[16:17], v16
	v_min_f64 v[16:17], v[16:17], v[2:3]
	v_cvt_i32_f64_e32 v16, v[16:17]
	v_add_u32_e32 v17, 16, v24
	v_cvt_f64_u32_e32 v[17:18], v17
	v_mul_lo_u32 v16, s11, v16
	v_min_f64 v[17:18], v[17:18], v[2:3]
	buffer_store_dword v16, off, s[20:23], 0 offset:204 ; 4-byte Folded Spill
	v_lshlrev_b32_e32 v16, 7, v0
	v_lshlrev_b32_e32 v0, 5, v0
	buffer_store_dword v0, off, s[20:23], 0 offset:140 ; 4-byte Folded Spill
	v_lshlrev_b32_e32 v0, 5, v27
	buffer_store_dword v0, off, s[20:23], 0 offset:144 ; 4-byte Folded Spill
	v_cvt_i32_f64_e32 v17, v[17:18]
	v_lshlrev_b32_e32 v0, 5, v4
	buffer_store_dword v0, off, s[20:23], 0 offset:148 ; 4-byte Folded Spill
	v_lshlrev_b32_e32 v0, 5, v5
	v_mul_lo_u32 v17, s11, v17
	buffer_store_dword v0, off, s[20:23], 0 offset:152 ; 4-byte Folded Spill
	v_lshlrev_b32_e32 v0, 5, v6
	buffer_store_dword v0, off, s[20:23], 0 offset:156 ; 4-byte Folded Spill
	buffer_store_dword v17, off, s[20:23], 0 offset:208 ; 4-byte Folded Spill
	v_add_u32_e32 v17, 24, v24
	v_cvt_f64_u32_e32 v[17:18], v17
	v_lshlrev_b32_e32 v0, 5, v7
	buffer_store_dword v0, off, s[20:23], 0 offset:160 ; 4-byte Folded Spill
	v_lshlrev_b32_e32 v0, 5, v8
	v_min_f64 v[17:18], v[17:18], v[2:3]
	buffer_store_dword v0, off, s[20:23], 0 offset:164 ; 4-byte Folded Spill
	v_mov_b32_e32 v0, 0x1080
	v_mad_u32_u24 v0, v30, s0, v0
	buffer_store_dword v0, off, s[20:23], 0 offset:168 ; 4-byte Folded Spill
	v_mov_b32_e32 v0, 0x2100
	v_mad_u32_u24 v0, v30, s0, v0
	buffer_store_dword v0, off, s[20:23], 0 offset:172 ; 4-byte Folded Spill
	v_cvt_i32_f64_e32 v17, v[17:18]
	v_mov_b32_e32 v0, 0x3180
	v_mad_u32_u24 v0, v30, s0, v0
	buffer_store_dword v0, off, s[20:23], 0 offset:176 ; 4-byte Folded Spill
	v_mul_lo_u32 v17, s11, v17
	v_add_co_u32_e32 v4, vcc, s2, v15
	v_mov_b32_e32 v0, s3
	buffer_store_dword v17, off, s[20:23], 0 offset:212 ; 4-byte Folded Spill
	v_add_u32_e32 v17, 32, v24
	v_cvt_f64_u32_e32 v[17:18], v17
	v_addc_co_u32_e32 v5, vcc, 0, v0, vcc
	v_mad_u32_u24 v0, v30, s0, 64
	v_min_f64 v[17:18], v[17:18], v[2:3]
	v_mov_b32_e32 v15, 0
	v_cvt_i32_f64_e32 v17, v[17:18]
	v_mul_lo_u32 v17, s11, v17
	buffer_store_dword v17, off, s[20:23], 0 offset:216 ; 4-byte Folded Spill
	v_add_u32_e32 v17, 40, v24
	v_cvt_f64_u32_e32 v[17:18], v17
	v_min_f64 v[17:18], v[17:18], v[2:3]
	v_cvt_i32_f64_e32 v17, v[17:18]
	v_mul_lo_u32 v17, s11, v17
	buffer_store_dword v17, off, s[20:23], 0 offset:220 ; 4-byte Folded Spill
	v_add_u32_e32 v17, 48, v24
	v_cvt_f64_u32_e32 v[17:18], v17
	v_min_f64 v[17:18], v[17:18], v[2:3]
	;; [unrolled: 6-line block ×3, first 2 shown]
	v_cvt_i32_f64_e32 v2, v[2:3]
	v_lshlrev_b32_e32 v3, 2, v25
	v_add3_u32 v3, v101, v3, s1
	buffer_store_dword v3, off, s[20:23], 0 offset:232 ; 4-byte Folded Spill
	v_add_u32_e32 v3, 32, v30
	v_lshrrev_b32_e32 v31, 3, v3
	v_lshlrev_b32_e32 v17, 2, v3
	v_and_b32_e32 v3, 60, v31
	v_add3_u32 v3, v101, v3, s1
	buffer_store_dword v3, off, s[20:23], 0 offset:236 ; 4-byte Folded Spill
	v_add_u32_e32 v3, 64, v30
	v_lshlrev_b32_e32 v18, 2, v3
	v_lshrrev_b32_e32 v3, 3, v3
	v_and_b32_e32 v24, 60, v3
	v_add3_u32 v24, v101, v24, s1
	v_mul_lo_u32 v2, s11, v2
	buffer_store_dword v24, off, s[20:23], 0 offset:240 ; 4-byte Folded Spill
	v_add_u32_e32 v24, 0x60, v30
	v_lshlrev_b32_e32 v25, 2, v24
	v_lshrrev_b32_e32 v24, 3, v24
	v_and_b32_e32 v26, 60, v24
	v_add3_u32 v26, v101, v26, s1
	buffer_store_dword v2, off, s[20:23], 0 offset:228 ; 4-byte Folded Spill
	buffer_store_dword v26, off, s[20:23], 0 offset:244 ; 4-byte Folded Spill
	;; [unrolled: 1-line block ×3, first 2 shown]
	s_nop 0
	buffer_store_dword v5, off, s[20:23], 0 offset:252 ; 4-byte Folded Spill
	buffer_store_dword v0, off, s[20:23], 0 offset:528 ; 4-byte Folded Spill
	v_mov_b32_e32 v0, 0x6a40
	v_lshl_add_u32 v0, v1, 4, v0
	buffer_store_dword v0, off, s[20:23], 0 offset:532 ; 4-byte Folded Spill
	v_lshlrev_b32_e32 v0, 2, v24
	buffer_store_dword v0, off, s[20:23], 0 offset:56 ; 4-byte Folded Spill
	v_lshlrev_b32_e32 v0, 2, v9
	;; [unrolled: 2-line block ×3, first 2 shown]
	buffer_store_dword v0, off, s[20:23], 0 offset:540 ; 4-byte Folded Spill
	v_add_u32_e32 v0, v11, v12
	buffer_store_dword v0, off, s[20:23], 0 offset:544 ; 4-byte Folded Spill
	v_add_u32_e32 v0, v13, v14
	buffer_store_dword v0, off, s[20:23], 0 offset:548 ; 4-byte Folded Spill
	v_lshlrev_b32_e32 v0, 2, v17
	buffer_store_dword v0, off, s[20:23], 0 offset:180 ; 4-byte Folded Spill
	v_lshlrev_b32_e32 v0, 2, v18
	;; [unrolled: 2-line block ×3, first 2 shown]
	buffer_store_dword v0, off, s[20:23], 0 offset:188 ; 4-byte Folded Spill
	v_add_u32_e32 v0, v28, v16
	buffer_store_dword v0, off, s[20:23], 0 offset:256 ; 4-byte Folded Spill
	v_add_u32_e32 v0, v28, v19
	;; [unrolled: 2-line block ×5, first 2 shown]
	v_lshlrev_b32_e32 v2, 7, v8
	buffer_store_dword v0, off, s[20:23], 0 offset:272 ; 4-byte Folded Spill
	v_add_u32_e32 v0, v28, v23
	buffer_store_dword v1, off, s[20:23], 0 offset:552 ; 4-byte Folded Spill
	v_lshlrev_b32_e32 v116, 2, v3
	buffer_store_dword v31, off, s[20:23], 0 offset:524 ; 4-byte Folded Spill
	v_lshlrev_b32_e32 v117, 2, v31
	buffer_store_dword v29, off, s[20:23], 0 offset:520 ; 4-byte Folded Spill
	s_mov_b32 s11, 0x30303030
	buffer_store_dword v0, off, s[20:23], 0 offset:276 ; 4-byte Folded Spill
	buffer_store_dword v28, off, s[20:23], 0 offset:508 ; 4-byte Folded Spill
	v_add_u32_e32 v0, v28, v2
	v_mov_b32_e32 v20, 0
	v_mov_b32_e32 v16, 0
	;; [unrolled: 1-line block ×11, first 2 shown]
	buffer_store_dword v0, off, s[20:23], 0 offset:280 ; 4-byte Folded Spill
	buffer_store_dword v101, off, s[20:23], 0 offset:96 ; 4-byte Folded Spill
	s_nop 0
	buffer_store_dword v102, off, s[20:23], 0 offset:100 ; 4-byte Folded Spill
	buffer_store_dword v116, off, s[20:23], 0 offset:60 ; 4-byte Folded Spill
	;; [unrolled: 1-line block ×4, first 2 shown]
.LBB132_5:                              ; =>This Loop Header: Depth=1
                                        ;     Child Loop BB132_6 Depth 2
                                        ;     Child Loop BB132_8 Depth 2
	buffer_store_dword v20, off, s[20:23], 0 offset:44 ; 4-byte Folded Spill
	buffer_store_dword v19, off, s[20:23], 0 offset:40 ; 4-byte Folded Spill
	buffer_store_dword v18, off, s[20:23], 0 offset:36 ; 4-byte Folded Spill
	buffer_store_dword v17, off, s[20:23], 0 offset:32 ; 4-byte Folded Spill
	buffer_store_dword v16, off, s[20:23], 0 offset:28 ; 4-byte Folded Spill
	buffer_store_dword v15, off, s[20:23], 0 offset:24 ; 4-byte Folded Spill
	buffer_store_dword v14, off, s[20:23], 0 offset:20 ; 4-byte Folded Spill
	buffer_store_dword v13, off, s[20:23], 0 offset:16 ; 4-byte Folded Spill
	buffer_store_dword v12, off, s[20:23], 0 offset:12 ; 4-byte Folded Spill
	buffer_store_dword v11, off, s[20:23], 0 offset:8 ; 4-byte Folded Spill
	buffer_store_dword v10, off, s[20:23], 0 offset:4 ; 4-byte Folded Spill
	buffer_store_dword v9, off, s[20:23], 0 ; 4-byte Folded Spill
	buffer_load_dword v0, off, s[20:23], 0 offset:284 ; 4-byte Folded Reload
	buffer_load_dword v6, off, s[20:23], 0 offset:288 ; 4-byte Folded Reload
	s_mul_i32 s0, s9, 0x90
	s_mul_hi_u32 s1, s9, 0x90
	s_add_u32 s0, s7, s0
	s_addc_u32 s1, s8, s1
	v_mov_b32_e32 v3, s1
	v_mov_b32_e32 v2, s0
	s_lshl_b32 s16, s9, 3
	s_mov_b32 s18, 0
	s_waitcnt vmcnt(1)
	v_mad_u64_u32 v[4:5], s[0:1], v0, s5, v[2:3]
	buffer_load_dword v0, off, s[20:23], 0 offset:292 ; 4-byte Folded Reload
	s_waitcnt vmcnt(0)
	v_mad_i64_i32 v[0:1], s[0:1], v0, s5, v[4:5]
	v_add_co_u32_e32 v0, vcc, v0, v6
	v_addc_co_u32_e32 v1, vcc, 0, v1, vcc
	global_load_dword v0, v[0:1], off offset:16
	s_nop 0
	buffer_load_dword v7, off, s[20:23], 0 offset:296 ; 4-byte Folded Reload
	buffer_load_dword v8, off, s[20:23], 0 offset:300 ; 4-byte Folded Reload
	s_waitcnt vmcnt(1)
	ds_write_b32 v7, v0
	buffer_load_dword v0, off, s[20:23], 0 offset:304 ; 4-byte Folded Reload
	s_waitcnt vmcnt(0)
	v_mad_i64_i32 v[0:1], s[0:1], v0, s5, v[4:5]
	v_add_co_u32_e32 v0, vcc, v0, v6
	v_addc_co_u32_e32 v1, vcc, 0, v1, vcc
	global_load_dword v0, v[0:1], off offset:16
	s_nop 0
	buffer_load_dword v7, off, s[20:23], 0 offset:308 ; 4-byte Folded Reload
	buffer_load_dword v8, off, s[20:23], 0 offset:312 ; 4-byte Folded Reload
	s_waitcnt vmcnt(1)
	ds_write_b32 v7, v0
	;; [unrolled: 11-line block ×15, first 2 shown]
	buffer_load_dword v0, off, s[20:23], 0 offset:472 ; 4-byte Folded Reload
	s_waitcnt vmcnt(0)
	v_mad_i64_i32 v[0:1], s[0:1], v0, s5, v[4:5]
	v_add_co_u32_e32 v0, vcc, v0, v6
	v_addc_co_u32_e32 v1, vcc, 0, v1, vcc
	global_load_dword v0, v[0:1], off offset:16
	s_nop 0
	buffer_load_dword v4, off, s[20:23], 0 offset:476 ; 4-byte Folded Reload
	buffer_load_dword v5, off, s[20:23], 0 offset:480 ; 4-byte Folded Reload
	;; [unrolled: 1-line block ×5, first 2 shown]
	s_waitcnt vmcnt(4)
	ds_write_b32 v4, v0
	buffer_load_dword v0, off, s[20:23], 0 offset:484 ; 4-byte Folded Reload
	s_waitcnt vmcnt(0)
	v_mad_i64_i32 v[0:1], s[0:1], v0, s5, v[2:3]
	global_load_dword v0, v[0:1], off
	s_nop 0
	buffer_load_dword v1, off, s[20:23], 0 offset:488 ; 4-byte Folded Reload
	s_waitcnt vmcnt(0)
	ds_write_b32 v1, v0
	buffer_load_dword v0, off, s[20:23], 0 offset:500 ; 4-byte Folded Reload
	s_waitcnt vmcnt(0)
	v_mad_i64_i32 v[0:1], s[0:1], v0, s5, v[2:3]
	v_add_co_u32_e32 v4, vcc, v0, v7
	v_addc_co_u32_e32 v5, vcc, 0, v1, vcc
	global_load_dword v4, v[4:5], off offset:4
	v_add_co_u32_e32 v0, vcc, v0, v8
	buffer_load_dword v5, off, s[20:23], 0 offset:492 ; 4-byte Folded Reload
	v_addc_co_u32_e32 v1, vcc, 0, v1, vcc
	global_load_dword v0, v[0:1], off offset:4
	s_waitcnt vmcnt(1)
	v_ashrrev_i32_e32 v4, v5, v4
	buffer_load_dword v1, off, s[20:23], 0 offset:544 ; 4-byte Folded Reload
	v_and_b32_e32 v4, 0xf0f0f0f, v4
	s_waitcnt vmcnt(1)
	v_ashrrev_i32_e32 v0, v6, v0
	v_and_or_b32 v0, v0, s11, v4
	s_waitcnt vmcnt(0)
	ds_write_b32 v1, v0
	buffer_load_dword v0, off, s[20:23], 0 offset:504 ; 4-byte Folded Reload
	s_waitcnt vmcnt(0)
	v_mad_i64_i32 v[0:1], s[0:1], v0, s5, v[2:3]
	v_add_co_u32_e32 v2, vcc, v0, v7
	v_addc_co_u32_e32 v3, vcc, 0, v1, vcc
	v_add_co_u32_e32 v0, vcc, v0, v8
	global_load_dword v2, v[2:3], off offset:4
	v_addc_co_u32_e32 v1, vcc, 0, v1, vcc
	global_load_dword v0, v[0:1], off offset:4
	s_waitcnt vmcnt(1)
	v_ashrrev_i32_e32 v2, v5, v2
	buffer_load_dword v1, off, s[20:23], 0 offset:548 ; 4-byte Folded Reload
	v_and_b32_e32 v2, 0xf0f0f0f, v2
	s_waitcnt vmcnt(1)
	v_ashrrev_i32_e32 v0, v6, v0
	v_and_or_b32 v0, v0, s11, v2
	s_waitcnt vmcnt(0)
	ds_write_b32 v1, v0
	buffer_load_dword v0, off, s[20:23], 0 offset:512 ; 4-byte Folded Reload
	buffer_load_dword v1, off, s[20:23], 0 offset:516 ; 4-byte Folded Reload
	s_waitcnt vmcnt(1)
	v_add_u32_e32 v6, s16, v0
	buffer_load_dword v0, off, s[20:23], 0 offset:520 ; 4-byte Folded Reload
	s_waitcnt vmcnt(0)
	v_add_u32_e32 v2, s16, v0
	buffer_load_dword v0, off, s[20:23], 0 offset:196 ; 4-byte Folded Reload
	buffer_load_dword v4, off, s[20:23], 0 offset:248 ; 4-byte Folded Reload
	;; [unrolled: 1-line block ×3, first 2 shown]
	s_waitcnt vmcnt(2)
	v_add_u32_e32 v0, v2, v0
	s_waitcnt vmcnt(0)
	v_mad_i64_i32 v[0:1], s[0:1], v0, 36, v[4:5]
	global_load_dword v0, v[0:1], off offset:4
	s_nop 0
	buffer_load_dword v1, off, s[20:23], 0 offset:508 ; 4-byte Folded Reload
	buffer_load_dword v3, off, s[20:23], 0 offset:200 ; 4-byte Folded Reload
	s_waitcnt vmcnt(0)
	v_add_u32_e32 v1, v1, v3
	ds_write_b32 v1, v0
	buffer_load_dword v0, off, s[20:23], 0 offset:204 ; 4-byte Folded Reload
	s_waitcnt vmcnt(0)
	v_add_u32_e32 v0, v2, v0
	buffer_store_dword v1, off, s[20:23], 0 offset:76 ; 4-byte Folded Spill
	v_mad_i64_i32 v[0:1], s[0:1], v0, 36, v[4:5]
	buffer_store_dword v6, off, s[20:23], 0 offset:72 ; 4-byte Folded Spill
	global_load_dword v0, v[0:1], off offset:4
	s_nop 0
	buffer_load_dword v1, off, s[20:23], 0 offset:256 ; 4-byte Folded Reload
	s_waitcnt vmcnt(0)
	ds_write_b32 v1, v0
	buffer_load_dword v0, off, s[20:23], 0 offset:208 ; 4-byte Folded Reload
	s_waitcnt vmcnt(0)
	v_add_u32_e32 v0, v2, v0
	v_mad_i64_i32 v[0:1], s[0:1], v0, 36, v[4:5]
	global_load_dword v0, v[0:1], off offset:4
	s_nop 0
	buffer_load_dword v1, off, s[20:23], 0 offset:260 ; 4-byte Folded Reload
	s_waitcnt vmcnt(0)
	ds_write_b32 v1, v0
	buffer_load_dword v0, off, s[20:23], 0 offset:212 ; 4-byte Folded Reload
	s_waitcnt vmcnt(0)
	v_add_u32_e32 v0, v2, v0
	v_mad_i64_i32 v[0:1], s[0:1], v0, 36, v[4:5]
	;; [unrolled: 9-line block ×6, first 2 shown]
	global_load_dword v0, v[0:1], off offset:4
	s_nop 0
	buffer_load_dword v1, off, s[20:23], 0 offset:280 ; 4-byte Folded Reload
	s_waitcnt vmcnt(0)
	ds_write_b32 v1, v0
	v_mad_u64_u32 v[0:1], s[0:1], v6, 36, s[2:3]
	s_mov_b64 s[0:1], -1
	global_load_dword v0, v[0:1], off
	s_nop 0
	buffer_load_dword v1, off, s[20:23], 0 offset:192 ; 4-byte Folded Reload
	s_waitcnt vmcnt(0)
	ds_write_b32 v1, v0
	s_waitcnt lgkmcnt(0)
	s_barrier
	buffer_load_dword v0, off, s[20:23], 0 offset:232 ; 4-byte Folded Reload
	s_waitcnt vmcnt(0)
	ds_read_b32 v0, v0
	s_waitcnt lgkmcnt(0)
	v_cvt_f32_f16_e32 v65, v0
	v_cvt_f32_f16_sdwa v26, v0 dst_sel:DWORD dst_unused:UNUSED_PAD src0_sel:WORD_1
	buffer_load_dword v0, off, s[20:23], 0 offset:236 ; 4-byte Folded Reload
	s_waitcnt vmcnt(0)
	ds_read_b32 v0, v0 offset:128
	s_waitcnt lgkmcnt(0)
	v_cvt_f32_f16_sdwa v66, v0 dst_sel:DWORD dst_unused:UNUSED_PAD src0_sel:WORD_1
	v_cvt_f32_f16_e32 v27, v0
	buffer_load_dword v0, off, s[20:23], 0 offset:240 ; 4-byte Folded Reload
	s_waitcnt vmcnt(0)
	ds_read_b32 v0, v0 offset:256
	s_waitcnt lgkmcnt(0)
	v_cvt_f32_f16_sdwa v68, v0 dst_sel:DWORD dst_unused:UNUSED_PAD src0_sel:WORD_1
	v_cvt_f32_f16_e32 v28, v0
	;; [unrolled: 6-line block ×3, first 2 shown]
.LBB132_6:                              ;   Parent Loop BB132_5 Depth=1
                                        ; =>  This Inner Loop Header: Depth=2
	buffer_load_dword v0, off, s[20:23], 0 offset:136 ; 4-byte Folded Reload
	s_lshl_b32 s17, s18, 1
	s_lshr_b32 s19, s18, 2
	s_addk_i32 s19, 0x6200
	s_lshl_b32 s18, s18, 2
	s_and_b64 vcc, exec, s[0:1]
	s_mov_b64 s[0:1], 0
	s_waitcnt vmcnt(0)
	v_or_b32_e32 v0, s17, v0
	v_lshlrev_b32_e32 v1, 2, v0
	v_lshrrev_b32_e32 v18, 1, v0
	v_lshlrev_b32_e32 v0, 2, v101
	ds_read_b128 v[14:17], v1 offset:16896
	ds_read_b128 v[10:13], v1 offset:16912
	;; [unrolled: 1-line block ×4, first 2 shown]
	v_add3_u32 v30, s19, v118, v0
	buffer_load_dword v0, off, s[20:23], 0 offset:52 ; 4-byte Folded Reload
	s_waitcnt vmcnt(0)
	v_mul_u32_u24_e32 v0, 0x84, v0
	v_add_u32_e32 v19, s18, v0
	ds_read2_b32 v[0:1], v19 offset1:1
	s_waitcnt lgkmcnt(0)
	v_and_b32_e32 v77, 0xf0f0f0f, v0
	v_dot4_i32_i8 v20, v77, v14, 0
	v_and_b32_e32 v78, 0xf0f0f0f, v1
	v_dot4_i32_i8 v22, v78, v15, v20
	ds_read2_b32 v[20:21], v19 offset0:2 offset1:3
	v_lshrrev_b32_e32 v0, 4, v0
	v_and_b32_e32 v111, 0xf0f0f0f, v0
	v_lshrrev_b32_e32 v1, 4, v1
	v_dot4_i32_i8 v0, v111, v6, 0
	s_waitcnt lgkmcnt(0)
	v_and_b32_e32 v83, 0xf0f0f0f, v20
	v_dot4_i32_i8 v22, v83, v16, v22
	v_and_b32_e32 v85, 0xf0f0f0f, v21
	v_dot4_i32_i8 v24, v85, v17, v22
	ds_read2_b32 v[22:23], v19 offset0:4 offset1:5
	v_and_b32_e32 v86, 0xf0f0f0f, v1
	v_lshrrev_b32_e32 v1, 4, v20
	v_dot4_i32_i8 v0, v86, v7, v0
	v_and_b32_e32 v81, 0xf0f0f0f, v1
	s_waitcnt lgkmcnt(0)
	v_and_b32_e32 v35, 0xf0f0f0f, v22
	v_dot4_i32_i8 v24, v35, v10, v24
	v_and_b32_e32 v56, 0xf0f0f0f, v23
	v_dot4_i32_i8 v31, v56, v11, v24
	ds_read2_b32 v[24:25], v19 offset0:6 offset1:7
	v_lshrrev_b32_e32 v1, 4, v21
	v_dot4_i32_i8 v0, v81, v8, v0
	v_and_b32_e32 v82, 0xf0f0f0f, v1
	v_lshrrev_b32_e32 v1, 4, v22
	ds_read_u16 v32, v30
	ds_read_u8 v33, v30 offset:8
	ds_read_u8 v30, v30 offset:9
	v_dot4_i32_i8 v0, v82, v9, v0
	v_and_b32_e32 v88, 0xf0f0f0f, v1
	v_lshrrev_b32_e32 v1, 4, v23
	s_waitcnt lgkmcnt(3)
	v_and_b32_e32 v19, 0xf0f0f0f, v24
	v_dot4_i32_i8 v0, v88, v2, v0
	v_and_b32_e32 v92, 0xf0f0f0f, v1
	v_lshrrev_b32_e32 v1, 4, v24
	v_dot4_i32_i8 v31, v19, v12, v31
	v_and_b32_e32 v125, 0xf0f0f0f, v25
	v_dot4_i32_i8 v0, v92, v3, v0
	v_and_b32_e32 v95, 0xf0f0f0f, v1
	v_lshrrev_b32_e32 v1, 4, v25
	v_dot4_i32_i8 v31, v125, v13, v31
	v_dot4_i32_i8 v0, v95, v4, v0
	v_and_b32_e32 v99, 0xf0f0f0f, v1
	s_waitcnt lgkmcnt(2)
	v_and_b32_e32 v105, 0xff, v32
	v_dot4_i32_i8 v0, v99, v5, v0
	v_lshrrev_b16_e32 v100, 8, v32
	v_mul_lo_u32 v1, v31, v105
	v_mul_lo_u32 v0, v0, v100
	ds_read_b64 v[38:39], v18 offset:27200
	s_waitcnt lgkmcnt(2)
	v_cvt_f32_ubyte0_e32 v126, v33
	v_cvt_f32_i32_e32 v1, v1
	v_cvt_f32_i32_e32 v0, v0
	s_waitcnt lgkmcnt(1)
	v_cvt_f32_ubyte0_e32 v103, v30
	s_waitcnt lgkmcnt(0)
	v_fma_mix_f32 v18, v38, v126, 0 op_sel:[1,0,0] op_sel_hi:[1,0,0]
	v_fma_mix_f32 v1, v38, v1, 0 op_sel_hi:[1,0,0]
	v_fma_mix_f32 v0, v39, v0, v1 op_sel_hi:[1,0,0]
	v_fma_mix_f32 v1, v39, v103, v18 op_sel:[1,0,0] op_sel_hi:[1,0,0]
	v_mul_f32_e32 v1, v1, v26
	v_fma_f32 v0, v0, v65, -v1
	v_add_f32_e32 v90, v90, v0
	buffer_load_dword v0, off, s[20:23], 0 offset:180 ; 4-byte Folded Reload
	buffer_load_dword v1, off, s[20:23], 0 offset:168 ; 4-byte Folded Reload
	s_waitcnt vmcnt(1)
	v_add3_u32 v0, s19, v117, v0
	s_waitcnt vmcnt(0)
	v_add_u32_e32 v1, s18, v1
	ds_read2_b32 v[22:23], v1 offset1:1
	ds_read2_b32 v[24:25], v1 offset0:2 offset1:3
	ds_read2_b32 v[30:31], v1 offset0:4 offset1:5
	;; [unrolled: 1-line block ×3, first 2 shown]
	ds_read_u16 v20, v0
	ds_read_u16 v0, v0 offset:8
	s_waitcnt lgkmcnt(5)
	v_and_b32_e32 v107, 0xf0f0f0f, v22
	v_dot4_i32_i8 v18, v107, v14, 0
	v_and_b32_e32 v109, 0xf0f0f0f, v23
	v_dot4_i32_i8 v18, v109, v15, v18
	s_waitcnt lgkmcnt(4)
	v_and_b32_e32 v110, 0xf0f0f0f, v24
	v_dot4_i32_i8 v18, v110, v16, v18
	v_and_b32_e32 v112, 0xf0f0f0f, v25
	v_dot4_i32_i8 v18, v112, v17, v18
	;; [unrolled: 5-line block ×4, first 2 shown]
	s_waitcnt lgkmcnt(1)
	v_and_b32_e32 v21, 0xff, v20
	v_mul_lo_u32 v18, v18, v21
	v_lshrrev_b32_e32 v23, 4, v23
	v_and_b32_e32 v61, 0xf0f0f0f, v23
	v_lshrrev_b32_e32 v23, 4, v24
	v_cvt_f32_i32_e32 v34, v18
	v_lshrrev_b32_e32 v18, 4, v22
	v_and_b32_e32 v22, 0xf0f0f0f, v18
	v_dot4_i32_i8 v18, v22, v6, 0
	v_dot4_i32_i8 v18, v61, v7, v18
	v_and_b32_e32 v23, 0xf0f0f0f, v23
	v_lshrrev_b32_e32 v24, 4, v25
	v_dot4_i32_i8 v18, v23, v8, v18
	v_and_b32_e32 v63, 0xf0f0f0f, v24
	v_lshrrev_b32_e32 v24, 4, v30
	;; [unrolled: 3-line block ×5, first 2 shown]
	v_dot4_i32_i8 v18, v64, v4, v18
	v_and_b32_e32 v55, 0xf0f0f0f, v30
	v_dot4_i32_i8 v18, v55, v5, v18
	v_lshrrev_b16_e32 v76, 8, v20
	v_mul_lo_u32 v18, v18, v76
	s_waitcnt lgkmcnt(0)
	v_cvt_f32_ubyte0_e32 v60, v0
	v_fma_mix_f32 v30, v38, v34, 0 op_sel_hi:[1,0,0]
	v_cvt_f32_i32_e32 v20, v18
	v_cvt_f32_ubyte1_e32 v18, v0
	v_fma_mix_f32 v0, v38, v60, 0 op_sel:[1,0,0] op_sel_hi:[1,0,0]
	v_fma_mix_f32 v0, v39, v18, v0 op_sel:[1,0,0] op_sel_hi:[1,0,0]
	v_fma_mix_f32 v20, v39, v20, v30 op_sel_hi:[1,0,0]
	v_mul_f32_e32 v0, v0, v66
	v_fma_f32 v0, v20, v27, -v0
	v_add_f32_e32 v80, v80, v0
	buffer_load_dword v0, off, s[20:23], 0 offset:184 ; 4-byte Folded Reload
	buffer_load_dword v20, off, s[20:23], 0 offset:172 ; 4-byte Folded Reload
	s_waitcnt vmcnt(1)
	v_add3_u32 v0, s19, v116, v0
	s_waitcnt vmcnt(0)
	v_add_u32_e32 v20, s18, v20
	ds_read2_b32 v[30:31], v20 offset1:1
	ds_read2_b32 v[40:41], v20 offset0:4 offset1:5
	ds_read2_b32 v[42:43], v20 offset0:6 offset1:7
	s_waitcnt lgkmcnt(2)
	v_and_b32_e32 v36, 0xf0f0f0f, v30
	v_dot4_i32_i8 v32, v36, v14, 0
	v_and_b32_e32 v37, 0xf0f0f0f, v31
	v_dot4_i32_i8 v34, v37, v15, v32
	ds_read2_b32 v[32:33], v20 offset0:2 offset1:3
	s_waitcnt lgkmcnt(2)
	v_and_b32_e32 v117, 0xf0f0f0f, v40
	v_and_b32_e32 v118, 0xf0f0f0f, v41
	s_waitcnt lgkmcnt(1)
	v_and_b32_e32 v119, 0xf0f0f0f, v42
	v_and_b32_e32 v120, 0xf0f0f0f, v43
	s_waitcnt lgkmcnt(0)
	v_and_b32_e32 v115, 0xf0f0f0f, v32
	v_dot4_i32_i8 v34, v115, v16, v34
	v_and_b32_e32 v116, 0xf0f0f0f, v33
	v_dot4_i32_i8 v34, v116, v17, v34
	v_dot4_i32_i8 v34, v117, v10, v34
	;; [unrolled: 1-line block ×4, first 2 shown]
	ds_read_u16 v34, v0
	ds_read_u16 v44, v0 offset:8
	v_dot4_i32_i8 v20, v120, v13, v20
	s_waitcnt lgkmcnt(1)
	v_and_b32_e32 v121, 0xff, v34
	v_mul_lo_u32 v0, v20, v121
	v_lshrrev_b32_e32 v20, 4, v31
	v_and_b32_e32 v124, 0xf0f0f0f, v20
	v_lshrrev_b32_e32 v20, 4, v32
	v_cvt_f32_i32_e32 v45, v0
	v_lshrrev_b32_e32 v0, 4, v30
	v_and_b32_e32 v123, 0xf0f0f0f, v0
	v_dot4_i32_i8 v0, v123, v6, 0
	v_dot4_i32_i8 v0, v124, v7, v0
	v_and_b32_e32 v54, 0xf0f0f0f, v20
	v_lshrrev_b32_e32 v20, 4, v33
	v_dot4_i32_i8 v0, v54, v8, v0
	v_and_b32_e32 v89, 0xf0f0f0f, v20
	v_lshrrev_b32_e32 v20, 4, v40
	;; [unrolled: 3-line block ×5, first 2 shown]
	v_dot4_i32_i8 v0, v59, v4, v0
	v_and_b32_e32 v127, 0xf0f0f0f, v30
	v_dot4_i32_i8 v30, v127, v5, v0
	v_lshrrev_b16_e32 v0, 8, v34
	v_mul_lo_u32 v30, v30, v0
	s_waitcnt lgkmcnt(0)
	v_cvt_f32_ubyte0_e32 v122, v44
	v_cvt_f32_ubyte1_e32 v47, v44
	v_fma_mix_f32 v31, v38, v122, 0 op_sel:[1,0,0] op_sel_hi:[1,0,0]
	v_cvt_f32_i32_e32 v30, v30
	v_fma_mix_f32 v32, v38, v45, 0 op_sel_hi:[1,0,0]
	v_fma_mix_f32 v31, v39, v47, v31 op_sel:[1,0,0] op_sel_hi:[1,0,0]
	v_mul_f32_e32 v31, v31, v68
	v_fma_mix_f32 v30, v39, v30, v32 op_sel_hi:[1,0,0]
	v_fma_f32 v30, v30, v28, -v31
	v_add_f32_e32 v46, v46, v30
	buffer_store_dword v46, off, s[20:23], 0 offset:48 ; 4-byte Folded Spill
	buffer_load_dword v30, off, s[20:23], 0 offset:56 ; 4-byte Folded Reload
	buffer_load_dword v31, off, s[20:23], 0 offset:188 ; 4-byte Folded Reload
	s_waitcnt vmcnt(0)
	v_add3_u32 v30, s19, v30, v31
	buffer_load_dword v31, off, s[20:23], 0 offset:176 ; 4-byte Folded Reload
	s_waitcnt vmcnt(0)
	v_add_u32_e32 v33, s18, v31
	ds_read2_b32 v[31:32], v33 offset1:1
	s_mov_b32 s18, 8
	s_waitcnt lgkmcnt(0)
	v_and_b32_e32 v49, 0xf0f0f0f, v31
	v_dot4_i32_i8 v14, v49, v14, 0
	v_and_b32_e32 v50, 0xf0f0f0f, v32
	v_dot4_i32_i8 v34, v50, v15, v14
	ds_read2_b32 v[14:15], v33 offset0:2 offset1:3
	s_waitcnt lgkmcnt(0)
	v_and_b32_e32 v48, 0xf0f0f0f, v14
	v_dot4_i32_i8 v16, v48, v16, v34
	v_and_b32_e32 v40, 0xf0f0f0f, v15
	v_dot4_i32_i8 v34, v40, v17, v16
	ds_read2_b32 v[16:17], v33 offset0:4 offset1:5
	;; [unrolled: 6-line block ×3, first 2 shown]
	s_waitcnt lgkmcnt(0)
	v_and_b32_e32 v43, 0xf0f0f0f, v10
	v_dot4_i32_i8 v12, v43, v12, v34
	v_and_b32_e32 v44, 0xf0f0f0f, v11
	v_dot4_i32_i8 v12, v44, v13, v12
	ds_read_u16 v13, v30
	ds_read_u16 v51, v30 offset:8
	v_lshrrev_b32_e32 v30, 4, v31
	v_and_b32_e32 v75, 0xf0f0f0f, v30
	v_lshrrev_b32_e32 v30, 4, v32
	v_dot4_i32_i8 v6, v75, v6, 0
	v_and_b32_e32 v34, 0xf0f0f0f, v30
	v_dot4_i32_i8 v6, v34, v7, v6
	v_lshrrev_b32_e32 v7, 4, v14
	v_and_b32_e32 v33, 0xf0f0f0f, v7
	v_lshrrev_b32_e32 v7, 4, v15
	v_dot4_i32_i8 v6, v33, v8, v6
	v_and_b32_e32 v74, 0xf0f0f0f, v7
	v_lshrrev_b32_e32 v7, 4, v16
	v_dot4_i32_i8 v6, v74, v9, v6
	v_and_b32_e32 v32, 0xf0f0f0f, v7
	v_dot4_i32_i8 v2, v32, v2, v6
	v_lshrrev_b32_e32 v6, 4, v17
	v_and_b32_e32 v73, 0xf0f0f0f, v6
	v_dot4_i32_i8 v2, v73, v3, v2
	v_lshrrev_b32_e32 v3, 4, v10
	v_and_b32_e32 v31, 0xf0f0f0f, v3
	v_lshrrev_b32_e32 v3, 4, v11
	s_waitcnt lgkmcnt(1)
	v_and_b32_e32 v45, 0xff, v13
	v_dot4_i32_i8 v2, v31, v4, v2
	v_and_b32_e32 v30, 0xf0f0f0f, v3
	v_mul_lo_u32 v12, v12, v45
	v_dot4_i32_i8 v2, v30, v5, v2
	v_lshrrev_b16_e32 v71, 8, v13
	v_mul_lo_u32 v2, v2, v71
	v_cvt_f32_i32_e32 v12, v12
	s_waitcnt lgkmcnt(0)
	v_cvt_f32_ubyte0_e32 v46, v51
	v_cvt_f32_ubyte1_e32 v70, v51
	v_cvt_f32_i32_e32 v2, v2
	v_fma_mix_f32 v3, v38, v46, 0 op_sel:[1,0,0] op_sel_hi:[1,0,0]
	v_fma_mix_f32 v4, v38, v12, 0 op_sel_hi:[1,0,0]
	v_fma_mix_f32 v3, v39, v70, v3 op_sel:[1,0,0] op_sel_hi:[1,0,0]
	v_fma_mix_f32 v2, v39, v2, v4 op_sel_hi:[1,0,0]
	v_mul_f32_e32 v3, v3, v69
	v_fma_f32 v2, v2, v29, -v3
	v_add_f32_e32 v101, v52, v2
	buffer_load_dword v2, off, s[20:23], 0 offset:140 ; 4-byte Folded Reload
	s_waitcnt vmcnt(0)
	v_or_b32_e32 v2, s17, v2
	v_lshlrev_b32_e32 v3, 2, v2
	v_lshrrev_b32_e32 v38, 1, v2
	ds_read_b128 v[14:17], v3 offset:16896
	ds_read_b128 v[10:13], v3 offset:16912
	;; [unrolled: 1-line block ×4, first 2 shown]
	ds_read_b64 v[38:39], v38 offset:27200
	s_waitcnt lgkmcnt(4)
	v_dot4_i32_i8 v51, v77, v14, 0
	v_dot4_i32_i8 v51, v78, v15, v51
	s_waitcnt lgkmcnt(2)
	v_dot4_i32_i8 v53, v111, v6, 0
	v_dot4_i32_i8 v51, v83, v16, v51
	;; [unrolled: 1-line block ×8, first 2 shown]
	s_waitcnt lgkmcnt(1)
	v_dot4_i32_i8 v53, v88, v2, v53
	v_dot4_i32_i8 v51, v19, v12, v51
	v_dot4_i32_i8 v53, v92, v3, v53
	v_dot4_i32_i8 v51, v125, v13, v51
	v_dot4_i32_i8 v53, v95, v4, v53
	v_mul_lo_u32 v51, v51, v105
	v_dot4_i32_i8 v53, v99, v5, v53
	v_mul_lo_u32 v53, v53, v100
	s_waitcnt lgkmcnt(0)
	v_fma_mix_f32 v52, v126, v38, 0 op_sel:[0,1,0] op_sel_hi:[0,1,0]
	v_cvt_f32_i32_e32 v51, v51
	v_fma_mix_f32 v52, v103, v39, v52 op_sel:[0,1,0] op_sel_hi:[0,1,0]
	v_cvt_f32_i32_e32 v53, v53
	v_mul_f32_e32 v52, v52, v26
	v_fma_mix_f32 v51, v51, v38, 0 op_sel_hi:[0,1,0]
	v_fma_mix_f32 v51, v53, v39, v51 op_sel_hi:[0,1,0]
	v_fma_f32 v51, v51, v65, -v52
	buffer_load_dword v52, off, s[20:23], 0 offset:44 ; 4-byte Folded Reload
	v_dot4_i32_i8 v53, v22, v6, 0
	v_dot4_i32_i8 v53, v61, v7, v53
	;; [unrolled: 1-line block ×8, first 2 shown]
	v_mul_lo_u32 v53, v53, v76
	v_cvt_f32_i32_e32 v53, v53
	s_waitcnt vmcnt(0)
	v_add_f32_e32 v52, v52, v51
	v_dot4_i32_i8 v51, v107, v14, 0
	v_dot4_i32_i8 v51, v109, v15, v51
	;; [unrolled: 1-line block ×8, first 2 shown]
	v_mul_lo_u32 v51, v51, v21
	buffer_store_dword v52, off, s[20:23], 0 offset:44 ; 4-byte Folded Spill
	v_fma_mix_f32 v52, v60, v38, 0 op_sel:[0,1,0] op_sel_hi:[0,1,0]
	v_fma_mix_f32 v52, v18, v39, v52 op_sel:[0,1,0] op_sel_hi:[0,1,0]
	v_cvt_f32_i32_e32 v51, v51
	v_mul_f32_e32 v52, v52, v66
	v_fma_mix_f32 v51, v51, v38, 0 op_sel_hi:[0,1,0]
	v_fma_mix_f32 v51, v53, v39, v51 op_sel_hi:[0,1,0]
	v_fma_f32 v51, v51, v27, -v52
	buffer_load_dword v52, off, s[20:23], 0 offset:40 ; 4-byte Folded Reload
	v_dot4_i32_i8 v53, v123, v6, 0
	v_dot4_i32_i8 v6, v75, v6, 0
	;; [unrolled: 1-line block ×16, first 2 shown]
	v_mul_lo_u32 v53, v53, v0
	v_mul_lo_u32 v2, v2, v71
	v_cvt_f32_i32_e32 v53, v53
	v_cvt_f32_i32_e32 v2, v2
	s_waitcnt vmcnt(0)
	v_add_f32_e32 v52, v52, v51
	v_dot4_i32_i8 v51, v36, v14, 0
	v_dot4_i32_i8 v14, v49, v14, 0
	;; [unrolled: 1-line block ×16, first 2 shown]
	v_mul_lo_u32 v51, v51, v121
	v_mul_lo_u32 v10, v10, v45
	buffer_store_dword v52, off, s[20:23], 0 offset:40 ; 4-byte Folded Spill
	v_fma_mix_f32 v52, v122, v38, 0 op_sel:[0,1,0] op_sel_hi:[0,1,0]
	v_cvt_f32_i32_e32 v51, v51
	v_cvt_f32_i32_e32 v10, v10
	v_fma_mix_f32 v11, v46, v38, 0 op_sel:[0,1,0] op_sel_hi:[0,1,0]
	v_fma_mix_f32 v52, v47, v39, v52 op_sel:[0,1,0] op_sel_hi:[0,1,0]
	v_fma_mix_f32 v51, v51, v38, 0 op_sel_hi:[0,1,0]
	v_fma_mix_f32 v10, v10, v38, 0 op_sel_hi:[0,1,0]
	v_fma_mix_f32 v3, v70, v39, v11 op_sel:[0,1,0] op_sel_hi:[0,1,0]
	v_fma_mix_f32 v51, v53, v39, v51 op_sel_hi:[0,1,0]
	v_mul_f32_e32 v52, v52, v68
	v_fma_mix_f32 v2, v2, v39, v10 op_sel_hi:[0,1,0]
	v_mul_f32_e32 v3, v3, v69
	v_fma_f32 v51, v51, v28, -v52
	buffer_load_dword v52, off, s[20:23], 0 offset:36 ; 4-byte Folded Reload
	v_fma_f32 v2, v2, v29, -v3
	buffer_load_dword v3, off, s[20:23], 0 offset:32 ; 4-byte Folded Reload
	s_waitcnt vmcnt(1)
	v_add_f32_e32 v52, v52, v51
	buffer_store_dword v52, off, s[20:23], 0 offset:36 ; 4-byte Folded Spill
	s_waitcnt vmcnt(1)
	v_add_f32_e32 v3, v3, v2
	buffer_load_dword v2, off, s[20:23], 0 offset:144 ; 4-byte Folded Reload
	s_waitcnt vmcnt(0)
	v_or_b32_e32 v2, s17, v2
	buffer_store_dword v3, off, s[20:23], 0 offset:32 ; 4-byte Folded Spill
	v_lshlrev_b32_e32 v3, 2, v2
	v_lshrrev_b32_e32 v38, 1, v2
	ds_read_b128 v[14:17], v3 offset:16896
	ds_read_b128 v[10:13], v3 offset:16912
	;; [unrolled: 1-line block ×4, first 2 shown]
	ds_read_b64 v[38:39], v38 offset:27200
	s_waitcnt lgkmcnt(4)
	v_dot4_i32_i8 v51, v77, v14, 0
	v_dot4_i32_i8 v51, v78, v15, v51
	s_waitcnt lgkmcnt(2)
	v_dot4_i32_i8 v53, v111, v6, 0
	v_dot4_i32_i8 v51, v83, v16, v51
	;; [unrolled: 1-line block ×8, first 2 shown]
	s_waitcnt lgkmcnt(1)
	v_dot4_i32_i8 v53, v88, v2, v53
	v_dot4_i32_i8 v51, v19, v12, v51
	;; [unrolled: 1-line block ×5, first 2 shown]
	v_mul_lo_u32 v51, v51, v105
	v_dot4_i32_i8 v53, v99, v5, v53
	v_mul_lo_u32 v53, v53, v100
	s_waitcnt lgkmcnt(0)
	v_fma_mix_f32 v52, v126, v38, 0 op_sel:[0,1,0] op_sel_hi:[0,1,0]
	v_cvt_f32_i32_e32 v51, v51
	v_fma_mix_f32 v52, v103, v39, v52 op_sel:[0,1,0] op_sel_hi:[0,1,0]
	v_cvt_f32_i32_e32 v53, v53
	v_mul_f32_e32 v52, v52, v26
	v_fma_mix_f32 v51, v51, v38, 0 op_sel_hi:[0,1,0]
	v_fma_mix_f32 v51, v53, v39, v51 op_sel_hi:[0,1,0]
	v_fma_f32 v51, v51, v65, -v52
	buffer_load_dword v52, off, s[20:23], 0 offset:28 ; 4-byte Folded Reload
	v_dot4_i32_i8 v53, v22, v6, 0
	v_dot4_i32_i8 v53, v61, v7, v53
	;; [unrolled: 1-line block ×8, first 2 shown]
	v_mul_lo_u32 v53, v53, v76
	v_cvt_f32_i32_e32 v53, v53
	s_waitcnt vmcnt(0)
	v_add_f32_e32 v52, v52, v51
	v_dot4_i32_i8 v51, v107, v14, 0
	v_dot4_i32_i8 v51, v109, v15, v51
	;; [unrolled: 1-line block ×8, first 2 shown]
	v_mul_lo_u32 v51, v51, v21
	buffer_store_dword v52, off, s[20:23], 0 offset:28 ; 4-byte Folded Spill
	v_fma_mix_f32 v52, v60, v38, 0 op_sel:[0,1,0] op_sel_hi:[0,1,0]
	v_fma_mix_f32 v52, v18, v39, v52 op_sel:[0,1,0] op_sel_hi:[0,1,0]
	v_cvt_f32_i32_e32 v51, v51
	v_mul_f32_e32 v52, v52, v66
	v_fma_mix_f32 v51, v51, v38, 0 op_sel_hi:[0,1,0]
	v_fma_mix_f32 v51, v53, v39, v51 op_sel_hi:[0,1,0]
	v_fma_f32 v51, v51, v27, -v52
	buffer_load_dword v52, off, s[20:23], 0 offset:24 ; 4-byte Folded Reload
	v_dot4_i32_i8 v53, v123, v6, 0
	v_dot4_i32_i8 v6, v75, v6, 0
	;; [unrolled: 1-line block ×16, first 2 shown]
	v_mul_lo_u32 v53, v53, v0
	v_mul_lo_u32 v2, v2, v71
	v_cvt_f32_i32_e32 v53, v53
	v_cvt_f32_i32_e32 v2, v2
	s_waitcnt vmcnt(0)
	v_add_f32_e32 v52, v52, v51
	v_dot4_i32_i8 v51, v36, v14, 0
	v_dot4_i32_i8 v14, v49, v14, 0
	;; [unrolled: 1-line block ×16, first 2 shown]
	v_mul_lo_u32 v51, v51, v121
	v_mul_lo_u32 v10, v10, v45
	buffer_store_dword v52, off, s[20:23], 0 offset:24 ; 4-byte Folded Spill
	v_fma_mix_f32 v52, v122, v38, 0 op_sel:[0,1,0] op_sel_hi:[0,1,0]
	v_cvt_f32_i32_e32 v51, v51
	v_cvt_f32_i32_e32 v10, v10
	v_fma_mix_f32 v11, v46, v38, 0 op_sel:[0,1,0] op_sel_hi:[0,1,0]
	v_fma_mix_f32 v52, v47, v39, v52 op_sel:[0,1,0] op_sel_hi:[0,1,0]
	v_fma_mix_f32 v51, v51, v38, 0 op_sel_hi:[0,1,0]
	v_fma_mix_f32 v10, v10, v38, 0 op_sel_hi:[0,1,0]
	v_fma_mix_f32 v3, v70, v39, v11 op_sel:[0,1,0] op_sel_hi:[0,1,0]
	v_fma_mix_f32 v51, v53, v39, v51 op_sel_hi:[0,1,0]
	v_mul_f32_e32 v52, v52, v68
	v_fma_mix_f32 v2, v2, v39, v10 op_sel_hi:[0,1,0]
	v_mul_f32_e32 v3, v3, v69
	v_fma_f32 v51, v51, v28, -v52
	buffer_load_dword v52, off, s[20:23], 0 offset:20 ; 4-byte Folded Reload
	v_fma_f32 v2, v2, v29, -v3
	buffer_load_dword v3, off, s[20:23], 0 offset:16 ; 4-byte Folded Reload
	s_waitcnt vmcnt(1)
	v_add_f32_e32 v52, v52, v51
	buffer_store_dword v52, off, s[20:23], 0 offset:20 ; 4-byte Folded Spill
	s_waitcnt vmcnt(1)
	v_add_f32_e32 v3, v3, v2
	buffer_load_dword v2, off, s[20:23], 0 offset:148 ; 4-byte Folded Reload
	s_waitcnt vmcnt(0)
	v_or_b32_e32 v2, s17, v2
	buffer_store_dword v3, off, s[20:23], 0 offset:16 ; 4-byte Folded Spill
	v_lshlrev_b32_e32 v3, 2, v2
	v_lshrrev_b32_e32 v38, 1, v2
	ds_read_b128 v[14:17], v3 offset:16896
	ds_read_b128 v[10:13], v3 offset:16912
	;; [unrolled: 1-line block ×4, first 2 shown]
	ds_read_b64 v[38:39], v38 offset:27200
	s_waitcnt lgkmcnt(4)
	v_dot4_i32_i8 v51, v77, v14, 0
	v_dot4_i32_i8 v51, v78, v15, v51
	s_waitcnt lgkmcnt(2)
	v_dot4_i32_i8 v53, v111, v6, 0
	v_dot4_i32_i8 v51, v83, v16, v51
	;; [unrolled: 1-line block ×8, first 2 shown]
	s_waitcnt lgkmcnt(1)
	v_dot4_i32_i8 v53, v88, v2, v53
	v_dot4_i32_i8 v51, v19, v12, v51
	;; [unrolled: 1-line block ×5, first 2 shown]
	v_mul_lo_u32 v51, v51, v105
	v_dot4_i32_i8 v53, v99, v5, v53
	v_mul_lo_u32 v53, v53, v100
	s_waitcnt lgkmcnt(0)
	v_fma_mix_f32 v52, v126, v38, 0 op_sel:[0,1,0] op_sel_hi:[0,1,0]
	v_cvt_f32_i32_e32 v51, v51
	v_fma_mix_f32 v52, v103, v39, v52 op_sel:[0,1,0] op_sel_hi:[0,1,0]
	v_cvt_f32_i32_e32 v53, v53
	v_mul_f32_e32 v52, v52, v26
	v_fma_mix_f32 v51, v51, v38, 0 op_sel_hi:[0,1,0]
	v_fma_mix_f32 v51, v53, v39, v51 op_sel_hi:[0,1,0]
	v_fma_f32 v51, v51, v65, -v52
	buffer_load_dword v52, off, s[20:23], 0 offset:12 ; 4-byte Folded Reload
	v_dot4_i32_i8 v53, v22, v6, 0
	v_dot4_i32_i8 v53, v61, v7, v53
	;; [unrolled: 1-line block ×8, first 2 shown]
	v_mul_lo_u32 v53, v53, v76
	v_cvt_f32_i32_e32 v53, v53
	s_waitcnt vmcnt(0)
	v_add_f32_e32 v52, v52, v51
	v_dot4_i32_i8 v51, v107, v14, 0
	v_dot4_i32_i8 v51, v109, v15, v51
	;; [unrolled: 1-line block ×8, first 2 shown]
	v_mul_lo_u32 v51, v51, v21
	buffer_store_dword v52, off, s[20:23], 0 offset:12 ; 4-byte Folded Spill
	v_fma_mix_f32 v52, v60, v38, 0 op_sel:[0,1,0] op_sel_hi:[0,1,0]
	v_fma_mix_f32 v52, v18, v39, v52 op_sel:[0,1,0] op_sel_hi:[0,1,0]
	v_cvt_f32_i32_e32 v51, v51
	v_mul_f32_e32 v52, v52, v66
	v_fma_mix_f32 v51, v51, v38, 0 op_sel_hi:[0,1,0]
	v_fma_mix_f32 v51, v53, v39, v51 op_sel_hi:[0,1,0]
	v_fma_f32 v51, v51, v27, -v52
	buffer_load_dword v52, off, s[20:23], 0 offset:8 ; 4-byte Folded Reload
	v_dot4_i32_i8 v53, v123, v6, 0
	v_dot4_i32_i8 v6, v75, v6, 0
	;; [unrolled: 1-line block ×16, first 2 shown]
	v_mul_lo_u32 v53, v53, v0
	v_mul_lo_u32 v2, v2, v71
	v_cvt_f32_i32_e32 v53, v53
	v_cvt_f32_i32_e32 v2, v2
	s_waitcnt vmcnt(0)
	v_add_f32_e32 v52, v52, v51
	v_dot4_i32_i8 v51, v36, v14, 0
	v_dot4_i32_i8 v14, v49, v14, 0
	;; [unrolled: 1-line block ×16, first 2 shown]
	v_mul_lo_u32 v51, v51, v121
	v_mul_lo_u32 v10, v10, v45
	buffer_store_dword v52, off, s[20:23], 0 offset:8 ; 4-byte Folded Spill
	v_fma_mix_f32 v52, v122, v38, 0 op_sel:[0,1,0] op_sel_hi:[0,1,0]
	v_cvt_f32_i32_e32 v51, v51
	v_cvt_f32_i32_e32 v10, v10
	v_fma_mix_f32 v11, v46, v38, 0 op_sel:[0,1,0] op_sel_hi:[0,1,0]
	v_fma_mix_f32 v52, v47, v39, v52 op_sel:[0,1,0] op_sel_hi:[0,1,0]
	v_fma_mix_f32 v51, v51, v38, 0 op_sel_hi:[0,1,0]
	v_fma_mix_f32 v10, v10, v38, 0 op_sel_hi:[0,1,0]
	v_fma_mix_f32 v3, v70, v39, v11 op_sel:[0,1,0] op_sel_hi:[0,1,0]
	v_fma_mix_f32 v51, v53, v39, v51 op_sel_hi:[0,1,0]
	v_mul_f32_e32 v52, v52, v68
	v_fma_mix_f32 v2, v2, v39, v10 op_sel_hi:[0,1,0]
	v_mul_f32_e32 v3, v3, v69
	v_fma_f32 v51, v51, v28, -v52
	buffer_load_dword v52, off, s[20:23], 0 offset:4 ; 4-byte Folded Reload
	v_fma_f32 v2, v2, v29, -v3
	buffer_load_dword v3, off, s[20:23], 0  ; 4-byte Folded Reload
	s_waitcnt vmcnt(1)
	v_add_f32_e32 v52, v52, v51
	buffer_store_dword v52, off, s[20:23], 0 offset:4 ; 4-byte Folded Spill
	s_waitcnt vmcnt(1)
	v_add_f32_e32 v3, v3, v2
	buffer_load_dword v2, off, s[20:23], 0 offset:152 ; 4-byte Folded Reload
	s_waitcnt vmcnt(0)
	v_or_b32_e32 v2, s17, v2
	buffer_store_dword v3, off, s[20:23], 0 ; 4-byte Folded Spill
	v_lshlrev_b32_e32 v3, 2, v2
	v_lshrrev_b32_e32 v38, 1, v2
	ds_read_b128 v[14:17], v3 offset:16896
	ds_read_b128 v[10:13], v3 offset:16912
	;; [unrolled: 1-line block ×4, first 2 shown]
	ds_read_b64 v[38:39], v38 offset:27200
	s_waitcnt lgkmcnt(4)
	v_dot4_i32_i8 v51, v77, v14, 0
	v_dot4_i32_i8 v51, v78, v15, v51
	s_waitcnt lgkmcnt(2)
	v_dot4_i32_i8 v53, v111, v6, 0
	v_dot4_i32_i8 v51, v83, v16, v51
	v_dot4_i32_i8 v53, v86, v7, v53
	v_dot4_i32_i8 v51, v85, v17, v51
	v_dot4_i32_i8 v53, v81, v8, v53
	v_dot4_i32_i8 v51, v35, v10, v51
	v_dot4_i32_i8 v53, v82, v9, v53
	v_dot4_i32_i8 v51, v56, v11, v51
	s_waitcnt lgkmcnt(1)
	v_dot4_i32_i8 v53, v88, v2, v53
	v_dot4_i32_i8 v51, v19, v12, v51
	;; [unrolled: 1-line block ×5, first 2 shown]
	v_mul_lo_u32 v51, v51, v105
	v_dot4_i32_i8 v53, v99, v5, v53
	v_mul_lo_u32 v53, v53, v100
	s_waitcnt lgkmcnt(0)
	v_fma_mix_f32 v52, v126, v38, 0 op_sel:[0,1,0] op_sel_hi:[0,1,0]
	v_cvt_f32_i32_e32 v51, v51
	v_fma_mix_f32 v52, v103, v39, v52 op_sel:[0,1,0] op_sel_hi:[0,1,0]
	v_cvt_f32_i32_e32 v53, v53
	v_mul_f32_e32 v52, v52, v26
	v_fma_mix_f32 v51, v51, v38, 0 op_sel_hi:[0,1,0]
	v_fma_mix_f32 v51, v53, v39, v51 op_sel_hi:[0,1,0]
	v_fma_f32 v51, v51, v65, -v52
	v_add_f32_e32 v102, v102, v51
	v_dot4_i32_i8 v51, v107, v14, 0
	v_dot4_i32_i8 v51, v109, v15, v51
	;; [unrolled: 1-line block ×15, first 2 shown]
	v_mul_lo_u32 v51, v51, v21
	v_dot4_i32_i8 v53, v55, v5, v53
	v_mul_lo_u32 v53, v53, v76
	v_fma_mix_f32 v52, v60, v38, 0 op_sel:[0,1,0] op_sel_hi:[0,1,0]
	v_cvt_f32_i32_e32 v51, v51
	v_fma_mix_f32 v52, v18, v39, v52 op_sel:[0,1,0] op_sel_hi:[0,1,0]
	v_cvt_f32_i32_e32 v53, v53
	v_mul_f32_e32 v52, v52, v66
	v_fma_mix_f32 v51, v51, v38, 0 op_sel_hi:[0,1,0]
	v_fma_mix_f32 v51, v53, v39, v51 op_sel_hi:[0,1,0]
	v_fma_f32 v51, v51, v27, -v52
	v_add_f32_e32 v108, v108, v51
	v_dot4_i32_i8 v51, v36, v14, 0
	v_dot4_i32_i8 v14, v49, v14, 0
	;; [unrolled: 1-line block ×25, first 2 shown]
	v_mul_lo_u32 v10, v10, v45
	v_dot4_i32_i8 v2, v30, v5, v2
	v_mul_lo_u32 v2, v2, v71
	v_dot4_i32_i8 v51, v118, v11, v51
	v_cvt_f32_i32_e32 v10, v10
	v_fma_mix_f32 v11, v46, v38, 0 op_sel:[0,1,0] op_sel_hi:[0,1,0]
	v_cvt_f32_i32_e32 v2, v2
	v_dot4_i32_i8 v53, v20, v3, v53
	v_fma_mix_f32 v10, v10, v38, 0 op_sel_hi:[0,1,0]
	v_fma_mix_f32 v3, v70, v39, v11 op_sel:[0,1,0] op_sel_hi:[0,1,0]
	v_fma_mix_f32 v2, v2, v39, v10 op_sel_hi:[0,1,0]
	v_mul_f32_e32 v3, v3, v69
	v_fma_f32 v2, v2, v29, -v3
	v_add_f32_e32 v104, v104, v2
	buffer_load_dword v2, off, s[20:23], 0 offset:156 ; 4-byte Folded Reload
	v_dot4_i32_i8 v51, v119, v12, v51
	v_dot4_i32_i8 v51, v120, v13, v51
	;; [unrolled: 1-line block ×3, first 2 shown]
	v_mul_lo_u32 v51, v51, v121
	v_dot4_i32_i8 v53, v127, v5, v53
	v_mul_lo_u32 v53, v53, v0
	v_fma_mix_f32 v52, v122, v38, 0 op_sel:[0,1,0] op_sel_hi:[0,1,0]
	v_cvt_f32_i32_e32 v51, v51
	v_fma_mix_f32 v52, v47, v39, v52 op_sel:[0,1,0] op_sel_hi:[0,1,0]
	v_cvt_f32_i32_e32 v53, v53
	v_mul_f32_e32 v52, v52, v68
	v_fma_mix_f32 v51, v51, v38, 0 op_sel_hi:[0,1,0]
	v_fma_mix_f32 v51, v53, v39, v51 op_sel_hi:[0,1,0]
	v_fma_f32 v51, v51, v28, -v52
	v_add_f32_e32 v106, v106, v51
	s_waitcnt vmcnt(0)
	v_or_b32_e32 v2, s17, v2
	v_lshlrev_b32_e32 v3, 2, v2
	v_lshrrev_b32_e32 v38, 1, v2
	ds_read_b128 v[14:17], v3 offset:16896
	ds_read_b128 v[10:13], v3 offset:16912
	;; [unrolled: 1-line block ×4, first 2 shown]
	ds_read_b64 v[38:39], v38 offset:27200
	s_waitcnt lgkmcnt(4)
	v_dot4_i32_i8 v51, v77, v14, 0
	v_dot4_i32_i8 v51, v78, v15, v51
	s_waitcnt lgkmcnt(2)
	v_dot4_i32_i8 v53, v111, v6, 0
	v_dot4_i32_i8 v51, v83, v16, v51
	;; [unrolled: 1-line block ×8, first 2 shown]
	s_waitcnt lgkmcnt(1)
	v_dot4_i32_i8 v53, v88, v2, v53
	v_dot4_i32_i8 v51, v19, v12, v51
	;; [unrolled: 1-line block ×5, first 2 shown]
	v_mul_lo_u32 v51, v51, v105
	v_dot4_i32_i8 v53, v99, v5, v53
	v_mul_lo_u32 v53, v53, v100
	s_waitcnt lgkmcnt(0)
	v_fma_mix_f32 v52, v126, v38, 0 op_sel:[0,1,0] op_sel_hi:[0,1,0]
	v_cvt_f32_i32_e32 v51, v51
	v_fma_mix_f32 v52, v103, v39, v52 op_sel:[0,1,0] op_sel_hi:[0,1,0]
	v_cvt_f32_i32_e32 v53, v53
	v_mul_f32_e32 v52, v52, v26
	v_fma_mix_f32 v51, v51, v38, 0 op_sel_hi:[0,1,0]
	v_fma_mix_f32 v51, v53, v39, v51 op_sel_hi:[0,1,0]
	v_fma_f32 v51, v51, v65, -v52
	v_add_f32_e32 v98, v98, v51
	v_dot4_i32_i8 v51, v107, v14, 0
	v_dot4_i32_i8 v51, v109, v15, v51
	;; [unrolled: 1-line block ×15, first 2 shown]
	v_mul_lo_u32 v51, v51, v21
	v_dot4_i32_i8 v53, v55, v5, v53
	v_mul_lo_u32 v53, v53, v76
	v_fma_mix_f32 v52, v60, v38, 0 op_sel:[0,1,0] op_sel_hi:[0,1,0]
	v_cvt_f32_i32_e32 v51, v51
	v_fma_mix_f32 v52, v18, v39, v52 op_sel:[0,1,0] op_sel_hi:[0,1,0]
	v_cvt_f32_i32_e32 v53, v53
	v_mul_f32_e32 v52, v52, v66
	v_fma_mix_f32 v51, v51, v38, 0 op_sel_hi:[0,1,0]
	v_fma_mix_f32 v51, v53, v39, v51 op_sel_hi:[0,1,0]
	v_fma_f32 v51, v51, v27, -v52
	v_add_f32_e32 v97, v97, v51
	v_dot4_i32_i8 v51, v36, v14, 0
	v_dot4_i32_i8 v14, v49, v14, 0
	;; [unrolled: 1-line block ×25, first 2 shown]
	v_mul_lo_u32 v10, v10, v45
	v_dot4_i32_i8 v2, v30, v5, v2
	v_mul_lo_u32 v2, v2, v71
	v_dot4_i32_i8 v51, v118, v11, v51
	v_cvt_f32_i32_e32 v10, v10
	v_fma_mix_f32 v11, v46, v38, 0 op_sel:[0,1,0] op_sel_hi:[0,1,0]
	v_cvt_f32_i32_e32 v2, v2
	v_dot4_i32_i8 v53, v20, v3, v53
	v_fma_mix_f32 v10, v10, v38, 0 op_sel_hi:[0,1,0]
	v_fma_mix_f32 v3, v70, v39, v11 op_sel:[0,1,0] op_sel_hi:[0,1,0]
	v_fma_mix_f32 v2, v2, v39, v10 op_sel_hi:[0,1,0]
	v_mul_f32_e32 v3, v3, v69
	v_fma_f32 v2, v2, v29, -v3
	v_add_f32_e32 v94, v94, v2
	buffer_load_dword v2, off, s[20:23], 0 offset:160 ; 4-byte Folded Reload
	v_dot4_i32_i8 v51, v119, v12, v51
	v_dot4_i32_i8 v51, v120, v13, v51
	;; [unrolled: 1-line block ×3, first 2 shown]
	v_mul_lo_u32 v51, v51, v121
	v_dot4_i32_i8 v53, v127, v5, v53
	v_mul_lo_u32 v53, v53, v0
	v_fma_mix_f32 v52, v122, v38, 0 op_sel:[0,1,0] op_sel_hi:[0,1,0]
	v_cvt_f32_i32_e32 v51, v51
	v_fma_mix_f32 v52, v47, v39, v52 op_sel:[0,1,0] op_sel_hi:[0,1,0]
	v_cvt_f32_i32_e32 v53, v53
	v_mul_f32_e32 v52, v52, v68
	v_fma_mix_f32 v51, v51, v38, 0 op_sel_hi:[0,1,0]
	v_fma_mix_f32 v51, v53, v39, v51 op_sel_hi:[0,1,0]
	v_fma_f32 v51, v51, v28, -v52
	v_add_f32_e32 v96, v96, v51
	s_waitcnt vmcnt(0)
	v_or_b32_e32 v2, s17, v2
	v_lshlrev_b32_e32 v3, 2, v2
	v_lshrrev_b32_e32 v38, 1, v2
	ds_read_b128 v[14:17], v3 offset:16896
	ds_read_b128 v[10:13], v3 offset:16912
	;; [unrolled: 1-line block ×4, first 2 shown]
	ds_read_b64 v[38:39], v38 offset:27200
	s_waitcnt lgkmcnt(4)
	v_dot4_i32_i8 v51, v77, v14, 0
	v_dot4_i32_i8 v51, v78, v15, v51
	s_waitcnt lgkmcnt(2)
	v_dot4_i32_i8 v53, v111, v6, 0
	v_dot4_i32_i8 v51, v83, v16, v51
	;; [unrolled: 1-line block ×8, first 2 shown]
	s_waitcnt lgkmcnt(1)
	v_dot4_i32_i8 v53, v88, v2, v53
	v_dot4_i32_i8 v51, v19, v12, v51
	;; [unrolled: 1-line block ×5, first 2 shown]
	v_mul_lo_u32 v51, v51, v105
	v_dot4_i32_i8 v53, v99, v5, v53
	v_mul_lo_u32 v53, v53, v100
	s_waitcnt lgkmcnt(0)
	v_fma_mix_f32 v52, v126, v38, 0 op_sel:[0,1,0] op_sel_hi:[0,1,0]
	v_cvt_f32_i32_e32 v51, v51
	v_fma_mix_f32 v52, v103, v39, v52 op_sel:[0,1,0] op_sel_hi:[0,1,0]
	v_cvt_f32_i32_e32 v53, v53
	v_mul_f32_e32 v52, v52, v26
	v_fma_mix_f32 v51, v51, v38, 0 op_sel_hi:[0,1,0]
	v_fma_mix_f32 v51, v53, v39, v51 op_sel_hi:[0,1,0]
	v_fma_f32 v51, v51, v65, -v52
	v_add_f32_e32 v91, v91, v51
	v_dot4_i32_i8 v51, v107, v14, 0
	v_dot4_i32_i8 v51, v109, v15, v51
	;; [unrolled: 1-line block ×15, first 2 shown]
	v_mul_lo_u32 v51, v51, v21
	v_dot4_i32_i8 v53, v55, v5, v53
	v_mul_lo_u32 v53, v53, v76
	v_fma_mix_f32 v52, v60, v38, 0 op_sel:[0,1,0] op_sel_hi:[0,1,0]
	v_cvt_f32_i32_e32 v51, v51
	v_fma_mix_f32 v52, v18, v39, v52 op_sel:[0,1,0] op_sel_hi:[0,1,0]
	v_cvt_f32_i32_e32 v53, v53
	v_mul_f32_e32 v52, v52, v66
	v_fma_mix_f32 v51, v51, v38, 0 op_sel_hi:[0,1,0]
	v_fma_mix_f32 v51, v53, v39, v51 op_sel_hi:[0,1,0]
	v_fma_f32 v51, v51, v27, -v52
	v_add_f32_e32 v87, v87, v51
	v_dot4_i32_i8 v51, v36, v14, 0
	v_dot4_i32_i8 v14, v49, v14, 0
	v_dot4_i32_i8 v51, v37, v15, v51
	v_dot4_i32_i8 v53, v123, v6, 0
	v_dot4_i32_i8 v14, v50, v15, v14
	v_dot4_i32_i8 v6, v75, v6, 0
	v_dot4_i32_i8 v51, v115, v16, v51
	v_dot4_i32_i8 v53, v124, v7, v53
	v_dot4_i32_i8 v14, v48, v16, v14
	v_dot4_i32_i8 v6, v34, v7, v6
	v_dot4_i32_i8 v51, v116, v17, v51
	v_dot4_i32_i8 v53, v54, v8, v53
	v_dot4_i32_i8 v14, v40, v17, v14
	v_dot4_i32_i8 v6, v33, v8, v6
	v_dot4_i32_i8 v51, v117, v10, v51
	v_dot4_i32_i8 v53, v89, v9, v53
	v_dot4_i32_i8 v10, v41, v10, v14
	v_dot4_i32_i8 v6, v74, v9, v6
	v_dot4_i32_i8 v53, v58, v2, v53
	v_dot4_i32_i8 v10, v42, v11, v10
	v_dot4_i32_i8 v2, v32, v2, v6
	v_dot4_i32_i8 v10, v43, v12, v10
	v_dot4_i32_i8 v2, v73, v3, v2
	v_dot4_i32_i8 v10, v44, v13, v10
	v_dot4_i32_i8 v2, v31, v4, v2
	v_mul_lo_u32 v10, v10, v45
	v_dot4_i32_i8 v2, v30, v5, v2
	v_mul_lo_u32 v2, v2, v71
	v_dot4_i32_i8 v51, v118, v11, v51
	v_cvt_f32_i32_e32 v10, v10
	v_fma_mix_f32 v11, v46, v38, 0 op_sel:[0,1,0] op_sel_hi:[0,1,0]
	v_cvt_f32_i32_e32 v2, v2
	v_dot4_i32_i8 v53, v20, v3, v53
	v_fma_mix_f32 v10, v10, v38, 0 op_sel_hi:[0,1,0]
	v_fma_mix_f32 v3, v70, v39, v11 op_sel:[0,1,0] op_sel_hi:[0,1,0]
	v_fma_mix_f32 v2, v2, v39, v10 op_sel_hi:[0,1,0]
	v_mul_f32_e32 v3, v3, v69
	v_fma_f32 v2, v2, v29, -v3
	v_add_f32_e32 v79, v79, v2
	buffer_load_dword v2, off, s[20:23], 0 offset:164 ; 4-byte Folded Reload
	v_dot4_i32_i8 v51, v119, v12, v51
	v_dot4_i32_i8 v51, v120, v13, v51
	;; [unrolled: 1-line block ×3, first 2 shown]
	v_mul_lo_u32 v51, v51, v121
	v_dot4_i32_i8 v53, v127, v5, v53
	v_mul_lo_u32 v53, v53, v0
	v_fma_mix_f32 v52, v122, v38, 0 op_sel:[0,1,0] op_sel_hi:[0,1,0]
	v_cvt_f32_i32_e32 v51, v51
	v_fma_mix_f32 v52, v47, v39, v52 op_sel:[0,1,0] op_sel_hi:[0,1,0]
	v_cvt_f32_i32_e32 v53, v53
	v_mul_f32_e32 v52, v52, v68
	v_fma_mix_f32 v51, v51, v38, 0 op_sel_hi:[0,1,0]
	v_fma_mix_f32 v51, v53, v39, v51 op_sel_hi:[0,1,0]
	v_fma_f32 v51, v51, v28, -v52
	v_add_f32_e32 v84, v84, v51
	v_mov_b32_e32 v52, v101
	s_waitcnt vmcnt(0)
	v_or_b32_e32 v2, s17, v2
	v_lshlrev_b32_e32 v3, 2, v2
	v_lshrrev_b32_e32 v38, 1, v2
	ds_read_b128 v[14:17], v3 offset:16896
	ds_read_b128 v[10:13], v3 offset:16912
	;; [unrolled: 1-line block ×4, first 2 shown]
	ds_read_b64 v[38:39], v38 offset:27200
	s_waitcnt lgkmcnt(4)
	v_dot4_i32_i8 v51, v77, v14, 0
	v_dot4_i32_i8 v51, v78, v15, v51
	;; [unrolled: 1-line block ×4, first 2 shown]
	s_waitcnt lgkmcnt(3)
	v_dot4_i32_i8 v35, v35, v10, v51
	s_waitcnt lgkmcnt(2)
	v_dot4_i32_i8 v51, v111, v6, 0
	v_dot4_i32_i8 v51, v86, v7, v51
	;; [unrolled: 1-line block ×5, first 2 shown]
	s_waitcnt lgkmcnt(1)
	v_dot4_i32_i8 v51, v88, v2, v51
	v_dot4_i32_i8 v19, v19, v12, v35
	;; [unrolled: 1-line block ×5, first 2 shown]
	v_mul_lo_u32 v19, v19, v105
	v_dot4_i32_i8 v51, v99, v5, v51
	v_mul_lo_u32 v51, v51, v100
	s_waitcnt lgkmcnt(0)
	v_fma_mix_f32 v35, v126, v38, 0 op_sel:[0,1,0] op_sel_hi:[0,1,0]
	v_cvt_f32_i32_e32 v19, v19
	v_fma_mix_f32 v35, v103, v39, v35 op_sel:[0,1,0] op_sel_hi:[0,1,0]
	v_cvt_f32_i32_e32 v51, v51
	v_mul_f32_e32 v35, v35, v26
	v_fma_mix_f32 v19, v19, v38, 0 op_sel_hi:[0,1,0]
	v_fma_mix_f32 v19, v51, v39, v19 op_sel_hi:[0,1,0]
	v_fma_f32 v19, v19, v65, -v35
	v_add_f32_e32 v72, v72, v19
	v_dot4_i32_i8 v19, v107, v14, 0
	v_dot4_i32_i8 v19, v109, v15, v19
	;; [unrolled: 1-line block ×8, first 2 shown]
	v_mul_lo_u32 v1, v1, v21
	v_dot4_i32_i8 v21, v22, v6, 0
	v_dot4_i32_i8 v21, v61, v7, v21
	;; [unrolled: 1-line block ×8, first 2 shown]
	v_mul_lo_u32 v21, v21, v76
	v_cvt_f32_i32_e32 v1, v1
	v_fma_mix_f32 v19, v60, v38, 0 op_sel:[0,1,0] op_sel_hi:[0,1,0]
	v_fma_mix_f32 v18, v18, v39, v19 op_sel:[0,1,0] op_sel_hi:[0,1,0]
	v_cvt_f32_i32_e32 v21, v21
	v_fma_mix_f32 v1, v1, v38, 0 op_sel_hi:[0,1,0]
	v_mul_f32_e32 v18, v18, v66
	v_dot4_i32_i8 v19, v123, v6, 0
	v_fma_mix_f32 v1, v21, v39, v1 op_sel_hi:[0,1,0]
	v_fma_f32 v1, v1, v27, -v18
	v_add_f32_e32 v67, v67, v1
	v_dot4_i32_i8 v1, v36, v14, 0
	v_dot4_i32_i8 v1, v37, v15, v1
	;; [unrolled: 1-line block ×14, first 2 shown]
	v_mul_lo_u32 v1, v1, v121
	v_dot4_i32_i8 v19, v127, v5, v19
	v_mul_lo_u32 v0, v19, v0
	v_fma_mix_f32 v18, v122, v38, 0 op_sel:[0,1,0] op_sel_hi:[0,1,0]
	v_cvt_f32_i32_e32 v1, v1
	v_dot4_i32_i8 v6, v75, v6, 0
	v_cvt_f32_i32_e32 v0, v0
	v_dot4_i32_i8 v6, v34, v7, v6
	v_fma_mix_f32 v1, v1, v38, 0 op_sel_hi:[0,1,0]
	v_dot4_i32_i8 v6, v33, v8, v6
	v_fma_mix_f32 v0, v0, v39, v1 op_sel_hi:[0,1,0]
	v_fma_mix_f32 v1, v47, v39, v18 op_sel:[0,1,0] op_sel_hi:[0,1,0]
	v_mul_f32_e32 v1, v1, v68
	v_fma_f32 v0, v0, v28, -v1
	v_add_f32_e32 v62, v62, v0
	v_dot4_i32_i8 v0, v49, v14, 0
	v_dot4_i32_i8 v0, v50, v15, v0
	;; [unrolled: 1-line block ×8, first 2 shown]
	v_mul_lo_u32 v0, v0, v45
	v_dot4_i32_i8 v6, v74, v9, v6
	buffer_load_dword v116, off, s[20:23], 0 offset:60 ; 4-byte Folded Reload
	buffer_load_dword v117, off, s[20:23], 0 offset:64 ; 4-byte Folded Reload
	;; [unrolled: 1-line block ×3, first 2 shown]
	v_cvt_f32_i32_e32 v0, v0
	v_dot4_i32_i8 v2, v32, v2, v6
	v_dot4_i32_i8 v2, v73, v3, v2
	v_dot4_i32_i8 v2, v31, v4, v2
	v_fma_mix_f32 v1, v0, v38, 0 op_sel_hi:[0,1,0]
	v_fma_mix_f32 v0, v46, v38, 0 op_sel:[0,1,0] op_sel_hi:[0,1,0]
	buffer_load_dword v46, off, s[20:23], 0 offset:48 ; 4-byte Folded Reload
	buffer_load_dword v6, off, s[20:23], 0 offset:96 ; 4-byte Folded Reload
	;; [unrolled: 1-line block ×3, first 2 shown]
	v_dot4_i32_i8 v2, v30, v5, v2
	v_mul_lo_u32 v2, v2, v71
	v_fma_mix_f32 v0, v70, v39, v0 op_sel:[0,1,0] op_sel_hi:[0,1,0]
	v_mul_f32_e32 v0, v0, v69
	v_cvt_f32_i32_e32 v2, v2
	v_fma_mix_f32 v1, v2, v39, v1 op_sel_hi:[0,1,0]
	v_fma_f32 v0, v1, v29, -v0
	v_add_f32_e32 v57, v57, v0
	s_waitcnt vmcnt(1)
	v_mov_b32_e32 v101, v6
	s_cbranch_vccnz .LBB132_6
; %bb.7:                                ;   in Loop: Header=BB132_5 Depth=1
	s_waitcnt vmcnt(0)
	s_barrier
	buffer_load_dword v0, off, s[20:23], 0 offset:524 ; 4-byte Folded Reload
	v_mov_b32_e32 v101, v80
	s_waitcnt vmcnt(0)
	v_add_u32_e32 v2, s16, v0
	buffer_load_dword v0, off, s[20:23], 0 offset:196 ; 4-byte Folded Reload
	buffer_load_dword v3, off, s[20:23], 0 offset:248 ; 4-byte Folded Reload
	buffer_load_dword v4, off, s[20:23], 0 offset:252 ; 4-byte Folded Reload
	s_mov_b32 s16, 0
	s_waitcnt vmcnt(2)
	v_add_u32_e32 v0, v2, v0
	s_waitcnt vmcnt(0)
	v_mad_i64_i32 v[0:1], s[0:1], v0, 36, v[3:4]
	global_load_dword v0, v[0:1], off offset:4
	s_nop 0
	buffer_load_dword v1, off, s[20:23], 0 offset:76 ; 4-byte Folded Reload
	s_waitcnt vmcnt(0)
	ds_write_b32 v1, v0
	buffer_load_dword v0, off, s[20:23], 0 offset:204 ; 4-byte Folded Reload
	s_waitcnt vmcnt(0)
	v_add_u32_e32 v0, v2, v0
	v_mad_i64_i32 v[0:1], s[0:1], v0, 36, v[3:4]
	global_load_dword v0, v[0:1], off offset:4
	s_nop 0
	buffer_load_dword v1, off, s[20:23], 0 offset:256 ; 4-byte Folded Reload
	s_waitcnt vmcnt(0)
	ds_write_b32 v1, v0
	buffer_load_dword v0, off, s[20:23], 0 offset:208 ; 4-byte Folded Reload
	s_waitcnt vmcnt(0)
	v_add_u32_e32 v0, v2, v0
	;; [unrolled: 9-line block ×8, first 2 shown]
	v_mad_u64_u32 v[0:1], s[0:1], v0, 36, s[2:3]
	s_mov_b32 s0, 16
	s_mov_b32 s1, 0
	global_load_dword v0, v[0:1], off
	s_nop 0
	buffer_load_dword v1, off, s[20:23], 0 offset:192 ; 4-byte Folded Reload
	s_waitcnt vmcnt(0)
	ds_write_b32 v1, v0
	s_waitcnt lgkmcnt(0)
	s_barrier
	buffer_load_dword v0, off, s[20:23], 0 offset:232 ; 4-byte Folded Reload
	s_waitcnt vmcnt(0)
	ds_read_b32 v0, v0
	s_waitcnt lgkmcnt(0)
	v_cvt_f32_f16_e32 v1, v0
	v_cvt_f32_f16_sdwa v0, v0 dst_sel:DWORD dst_unused:UNUSED_PAD src0_sel:WORD_1
	buffer_store_dword v1, off, s[20:23], 0 offset:104 ; 4-byte Folded Spill
	buffer_store_dword v0, off, s[20:23], 0 offset:108 ; 4-byte Folded Spill
	buffer_load_dword v0, off, s[20:23], 0 offset:236 ; 4-byte Folded Reload
	s_waitcnt vmcnt(0)
	ds_read_b32 v0, v0 offset:128
	s_waitcnt lgkmcnt(0)
	v_cvt_f32_f16_sdwa v1, v0 dst_sel:DWORD dst_unused:UNUSED_PAD src0_sel:WORD_1
	v_cvt_f32_f16_e32 v0, v0
	buffer_store_dword v1, off, s[20:23], 0 offset:112 ; 4-byte Folded Spill
	buffer_store_dword v0, off, s[20:23], 0 offset:116 ; 4-byte Folded Spill
	buffer_load_dword v0, off, s[20:23], 0 offset:240 ; 4-byte Folded Reload
	s_waitcnt vmcnt(0)
	ds_read_b32 v0, v0 offset:256
	s_waitcnt lgkmcnt(0)
	v_cvt_f32_f16_sdwa v1, v0 dst_sel:DWORD dst_unused:UNUSED_PAD src0_sel:WORD_1
	v_cvt_f32_f16_e32 v0, v0
	buffer_store_dword v1, off, s[20:23], 0 offset:120 ; 4-byte Folded Spill
	buffer_store_dword v0, off, s[20:23], 0 offset:124 ; 4-byte Folded Spill
	buffer_load_dword v0, off, s[20:23], 0 offset:244 ; 4-byte Folded Reload
	s_waitcnt vmcnt(0)
	ds_read_b32 v0, v0 offset:384
	s_waitcnt lgkmcnt(0)
	v_cvt_f32_f16_sdwa v1, v0 dst_sel:DWORD dst_unused:UNUSED_PAD src0_sel:WORD_1
	v_cvt_f32_f16_e32 v0, v0
	buffer_store_dword v1, off, s[20:23], 0 offset:128 ; 4-byte Folded Spill
	buffer_store_dword v0, off, s[20:23], 0 offset:132 ; 4-byte Folded Spill
	buffer_load_dword v0, off, s[20:23], 0 offset:200 ; 4-byte Folded Reload
	s_nop 0
	buffer_load_dword v26, off, s[20:23], 0 offset:532 ; 4-byte Folded Reload
	buffer_load_dword v27, off, s[20:23], 0 offset:528 ; 4-byte Folded Reload
	s_waitcnt vmcnt(2)
	v_add_u32_e32 v25, 0x4200, v0
.LBB132_8:                              ;   Parent Loop BB132_5 Depth=1
                                        ; =>  This Inner Loop Header: Depth=2
	buffer_store_dword v46, off, s[20:23], 0 offset:48 ; 4-byte Folded Spill
	buffer_store_dword v52, off, s[20:23], 0 offset:92 ; 4-byte Folded Spill
	;; [unrolled: 1-line block ×7, first 2 shown]
	ds_read_b128 v[2:5], v25
	s_waitcnt vmcnt(7)
	ds_read2_b32 v[8:9], v27 offset1:1
	ds_read2_b32 v[6:7], v27 offset0:2 offset1:3
	v_add_u32_e32 v0, 0x1080, v27
	v_add_u32_e32 v1, 0x1088, v27
	;; [unrolled: 1-line block ×6, first 2 shown]
	ds_read_b128 v[18:21], v25 offset:1024
	ds_read_b128 v[28:31], v25 offset:2048
	;; [unrolled: 1-line block ×7, first 2 shown]
	ds_read2_b32 v[22:23], v0 offset1:1
	ds_read2_b32 v[0:1], v1 offset1:1
	;; [unrolled: 1-line block ×6, first 2 shown]
	s_waitcnt lgkmcnt(14)
	v_and_b32_e32 v24, 0xf0f0f0f, v8
	v_and_b32_e32 v50, 0xf0f0f0f, v9
	s_waitcnt lgkmcnt(13)
	v_and_b32_e32 v51, 0xf0f0f0f, v6
	v_lshrrev_b32_e32 v53, 4, v8
	v_lshrrev_b32_e32 v56, 4, v9
	;; [unrolled: 1-line block ×3, first 2 shown]
	v_dot4_i32_i8 v6, v24, v2, 0
	s_waitcnt lgkmcnt(5)
	v_and_b32_e32 v8, 0xf0f0f0f, v22
	v_and_b32_e32 v9, 0xf0f0f0f, v23
	s_waitcnt lgkmcnt(4)
	v_and_b32_e32 v69, 0xf0f0f0f, v0
	v_lshrrev_b32_e32 v93, 4, v23
	v_lshrrev_b32_e32 v95, 4, v0
	s_waitcnt lgkmcnt(3)
	v_and_b32_e32 v0, 0xf0f0f0f, v48
	s_waitcnt lgkmcnt(1)
	v_and_b32_e32 v23, 0xf0f0f0f, v58
	v_and_b32_e32 v52, 0xf0f0f0f, v7
	v_lshrrev_b32_e32 v88, 4, v7
	v_lshrrev_b32_e32 v92, 4, v22
	v_and_b32_e32 v22, 0xf0f0f0f, v49
	v_and_b32_e32 v68, 0xf0f0f0f, v59
	v_lshrrev_b32_e32 v113, 4, v58
	v_dot4_i32_i8 v6, v50, v3, v6
	v_dot4_i32_i8 v7, v8, v2, 0
	;; [unrolled: 1-line block ×4, first 2 shown]
	v_and_b32_e32 v100, 0xf0f0f0f, v54
	s_waitcnt lgkmcnt(0)
	v_and_b32_e32 v105, 0xf0f0f0f, v60
	v_dot4_i32_i8 v6, v51, v4, v6
	v_dot4_i32_i8 v7, v9, v3, v7
	;; [unrolled: 1-line block ×4, first 2 shown]
	v_and_b32_e32 v89, 0xf0f0f0f, v1
	v_lshrrev_b32_e32 v99, 4, v1
	v_and_b32_e32 v103, 0xf0f0f0f, v55
	v_and_b32_e32 v107, 0xf0f0f0f, v61
	v_dot4_i32_i8 v1, v24, v18, 0
	v_dot4_i32_i8 v86, v52, v5, v6
	;; [unrolled: 1-line block ×35, first 2 shown]
	v_lshrrev_b32_e32 v115, 4, v60
	v_lshrrev_b32_e32 v116, 4, v61
	v_dot4_i32_i8 v60, v103, v31, v3
	v_dot4_i32_i8 v61, v107, v31, v4
	;; [unrolled: 1-line block ×11, first 2 shown]
	v_lshrrev_b32_e32 v114, 4, v59
	v_dot4_i32_i8 v63, v89, v21, v1
	v_dot4_i32_i8 v1, v24, v32, 0
	;; [unrolled: 1-line block ×45, first 2 shown]
	ds_read_b128 v[20:23], v25 offset:32
	v_dot4_i32_i8 v3, v51, v42, v3
	v_dot4_i32_i8 v4, v51, v46, v4
	;; [unrolled: 1-line block ×13, first 2 shown]
	ds_read_b128 v[28:31], v25 offset:1056
	v_dot4_i32_i8 v2, v100, v46, v32
	v_lshrrev_b32_e32 v48, 4, v48
	v_dot4_i32_i8 v8, v69, v111, v8
	v_dot4_i32_i8 v73, v89, v43, v3
	;; [unrolled: 1-line block ×5, first 2 shown]
	v_lshrrev_b32_e32 v49, 4, v49
	v_dot4_i32_i8 v1, v51, v34, v1
	v_dot4_i32_i8 v75, v107, v43, v9
	v_dot4_i32_i8 v69, v89, v47, v5
	v_dot4_i32_i8 v71, v107, v47, v3
	v_dot4_i32_i8 v3, v105, v111, v36
	v_dot4_i32_i8 v8, v89, v112, v8
	v_dot4_i32_i8 v9, v103, v112, v2
	v_and_b32_e32 v2, 0xf0f0f0f, v53
	v_and_b32_e32 v41, 0xf0f0f0f, v88
	;; [unrolled: 1-line block ×6, first 2 shown]
	v_lshrrev_b32_e32 v54, 4, v54
	v_dot4_i32_i8 v1, v52, v35, v1
	ds_read_b128 v[32:35], v25 offset:2080
	ds_read_b128 v[36:39], v25 offset:3104
	v_and_b32_e32 v24, 0xf0f0f0f, v56
	v_and_b32_e32 v40, 0xf0f0f0f, v66
	v_dot4_i32_i8 v66, v107, v112, v3
	s_waitcnt lgkmcnt(3)
	v_dot4_i32_i8 v3, v2, v20, 0
	v_and_b32_e32 v92, 0xf0f0f0f, v49
	v_and_b32_e32 v100, 0xf0f0f0f, v114
	v_dot4_i32_i8 v42, v51, v20, 0
	v_dot4_i32_i8 v43, v89, v20, 0
	;; [unrolled: 1-line block ×3, first 2 shown]
	v_lshrrev_b32_e32 v55, 4, v55
	v_and_b32_e32 v52, 0xf0f0f0f, v93
	v_and_b32_e32 v93, 0xf0f0f0f, v54
	;; [unrolled: 1-line block ×3, first 2 shown]
	v_dot4_i32_i8 v3, v24, v21, v3
	v_dot4_i32_i8 v43, v92, v21, v43
	;; [unrolled: 1-line block ×3, first 2 shown]
	v_and_b32_e32 v53, 0xf0f0f0f, v95
	v_and_b32_e32 v95, 0xf0f0f0f, v55
	;; [unrolled: 1-line block ×3, first 2 shown]
	s_waitcnt lgkmcnt(2)
	v_dot4_i32_i8 v5, v2, v28, 0
	v_dot4_i32_i8 v3, v40, v22, v3
	;; [unrolled: 1-line block ×18, first 2 shown]
	s_waitcnt lgkmcnt(1)
	v_dot4_i32_i8 v3, v2, v32, 0
	v_dot4_i32_i8 v42, v41, v31, v5
	;; [unrolled: 1-line block ×16, first 2 shown]
	ds_read_b128 v[30:33], v25 offset:4128
	ds_read2_b32 v[122:123], v27 offset0:6 offset1:7
	v_dot4_i32_i8 v43, v41, v35, v3
	v_dot4_i32_i8 v3, v53, v34, v20
	;; [unrolled: 1-line block ×5, first 2 shown]
	s_waitcnt lgkmcnt(2)
	v_dot4_i32_i8 v20, v89, v36, 0
	v_dot4_i32_i8 v48, v88, v35, v3
	v_dot4_i32_i8 v50, v105, v35, v21
	v_dot4_i32_i8 v3, v51, v36, 0
	v_dot4_i32_i8 v21, v99, v36, 0
	v_dot4_i32_i8 v20, v92, v37, v20
	v_dot4_i32_i8 v3, v52, v37, v3
	v_dot4_i32_i8 v21, v100, v37, v21
	v_dot4_i32_i8 v20, v93, v38, v20
	v_dot4_i32_i8 v3, v53, v38, v3
	v_dot4_i32_i8 v21, v103, v38, v21
	v_dot4_i32_i8 v28, v95, v39, v20
	s_waitcnt lgkmcnt(1)
	v_dot4_i32_i8 v20, v51, v30, 0
	v_dot4_i32_i8 v23, v88, v39, v3
	;; [unrolled: 1-line block ×19, first 2 shown]
	ds_read_b128 v[33:36], v25 offset:5152
	v_dot4_i32_i8 v5, v24, v37, v5
	v_dot4_i32_i8 v5, v40, v38, v5
	;; [unrolled: 1-line block ×3, first 2 shown]
	s_waitcnt lgkmcnt(1)
	v_and_b32_e32 v72, 0xf0f0f0f, v122
	s_waitcnt lgkmcnt(0)
	v_dot4_i32_i8 v21, v51, v33, 0
	v_dot4_i32_i8 v3, v2, v33, 0
	;; [unrolled: 1-line block ×16, first 2 shown]
	ds_read_b128 v[36:39], v25 offset:6176
	v_mov_b32_e32 v17, v102
	v_mov_b32_e32 v102, v84
	v_mov_b32_e32 v14, v104
	v_mov_b32_e32 v104, v87
	s_waitcnt lgkmcnt(0)
	v_dot4_i32_i8 v22, v51, v36, 0
	v_dot4_i32_i8 v107, v52, v37, v22
	;; [unrolled: 1-line block ×9, first 2 shown]
	ds_read_b128 v[109:112], v25 offset:7200
	v_dot4_i32_i8 v3, v40, v38, v3
	v_dot4_i32_i8 v22, v41, v39, v3
	;; [unrolled: 1-line block ×4, first 2 shown]
	s_waitcnt lgkmcnt(0)
	v_dot4_i32_i8 v2, v2, v109, 0
	v_dot4_i32_i8 v2, v24, v110, v2
	;; [unrolled: 1-line block ×12, first 2 shown]
	v_add_u32_e32 v52, 0x1090, v27
	v_dot4_i32_i8 v24, v41, v112, v2
	v_dot4_i32_i8 v2, v53, v111, v3
	;; [unrolled: 1-line block ×4, first 2 shown]
	ds_read2_b32 v[116:117], v52 offset1:1
	v_dot4_i32_i8 v39, v88, v112, v2
	v_dot4_i32_i8 v40, v95, v112, v3
	v_dot4_i32_i8 v41, v105, v112, v41
	ds_read2_b32 v[2:3], v27 offset0:4 offset1:5
	ds_read_b128 v[109:112], v25 offset:16
	s_waitcnt lgkmcnt(2)
	v_and_b32_e32 v57, 0xf0f0f0f, v116
	v_and_b32_e32 v79, 0xf0f0f0f, v117
	;; [unrolled: 1-line block ×3, first 2 shown]
	s_waitcnt lgkmcnt(1)
	v_and_b32_e32 v95, 0xf0f0f0f, v2
	s_waitcnt lgkmcnt(0)
	v_dot4_i32_i8 v52, v57, v109, v85
	v_add_u32_e32 v85, 0x2110, v27
	ds_read2_b32 v[118:119], v85 offset1:1
	v_add_u32_e32 v85, 0x3190, v27
	ds_read2_b32 v[120:121], v85 offset1:1
	v_dot4_i32_i8 v51, v95, v109, v86
	v_and_b32_e32 v53, 0xf0f0f0f, v3
	v_dot4_i32_i8 v51, v53, v110, v51
	s_waitcnt lgkmcnt(1)
	v_and_b32_e32 v62, 0xf0f0f0f, v118
	s_waitcnt lgkmcnt(0)
	v_and_b32_e32 v67, 0xf0f0f0f, v120
	v_dot4_i32_i8 v83, v62, v109, v83
	v_dot4_i32_i8 v82, v67, v109, v82
	;; [unrolled: 1-line block ×3, first 2 shown]
	v_and_b32_e32 v80, 0xf0f0f0f, v119
	v_and_b32_e32 v84, 0xf0f0f0f, v121
	v_dot4_i32_i8 v52, v79, v110, v52
	v_dot4_i32_i8 v83, v80, v110, v83
	;; [unrolled: 1-line block ×4, first 2 shown]
	v_add_u32_e32 v51, 0x1098, v27
	ds_read2_b32 v[124:125], v51 offset1:1
	v_add_u32_e32 v51, 0x2118, v27
	v_mov_b32_e32 v15, v106
	v_mov_b32_e32 v106, v90
	ds_read2_b32 v[126:127], v51 offset1:1
	s_waitcnt lgkmcnt(1)
	v_and_b32_e32 v90, 0xf0f0f0f, v124
	v_add_u32_e32 v51, 0x3198, v27
	v_dot4_i32_i8 v85, v90, v111, v52
	ds_read2_b32 v[51:52], v51 offset1:1
	v_mov_b32_e32 v16, v108
	v_mov_b32_e32 v108, v91
	s_waitcnt lgkmcnt(1)
	v_and_b32_e32 v91, 0xf0f0f0f, v126
	v_mov_b32_e32 v10, v94
	s_waitcnt lgkmcnt(0)
	v_and_b32_e32 v94, 0xf0f0f0f, v51
	v_dot4_i32_i8 v83, v91, v111, v83
	v_dot4_i32_i8 v82, v94, v111, v82
	v_mov_b32_e32 v11, v96
	v_and_b32_e32 v96, 0xf0f0f0f, v125
	v_mov_b32_e32 v12, v97
	v_and_b32_e32 v97, 0xf0f0f0f, v127
	;; [unrolled: 2-line block ×3, first 2 shown]
	v_dot4_i32_i8 v109, v96, v112, v85
	v_dot4_i32_i8 v105, v97, v112, v83
	;; [unrolled: 1-line block ×3, first 2 shown]
	ds_read_b128 v[111:114], v25 offset:1040
	v_lshrrev_b32_e32 v2, 4, v2
	v_lshrrev_b32_e32 v3, 4, v3
	;; [unrolled: 1-line block ×4, first 2 shown]
	s_waitcnt lgkmcnt(0)
	v_dot4_i32_i8 v7, v95, v111, v7
	v_dot4_i32_i8 v7, v53, v112, v7
	;; [unrolled: 1-line block ×16, first 2 shown]
	ds_read_b128 v[112:115], v25 offset:2064
	v_and_b32_e32 v51, 0xf0f0f0f, v51
	s_lshr_b32 s17, s0, 2
	s_and_b32 s17, s17, 0x3ffffffc
	s_add_i32 s0, s0, 8
	s_waitcnt lgkmcnt(0)
	v_dot4_i32_i8 v6, v95, v112, v6
	v_dot4_i32_i8 v6, v53, v113, v6
	;; [unrolled: 1-line block ×16, first 2 shown]
	ds_read_b128 v[112:115], v25 offset:3088
	s_add_i32 s18, s16, 16
	v_add_u32_e32 v27, 32, v27
	s_waitcnt lgkmcnt(0)
	v_dot4_i32_i8 v1, v95, v112, v1
	v_dot4_i32_i8 v1, v53, v113, v1
	;; [unrolled: 1-line block ×16, first 2 shown]
	ds_read_b128 v[112:115], v25 offset:4112
	s_waitcnt lgkmcnt(0)
	v_dot4_i32_i8 v1, v95, v112, v76
	v_dot4_i32_i8 v1, v53, v113, v1
	v_dot4_i32_i8 v6, v57, v112, v77
	v_dot4_i32_i8 v7, v62, v112, v78
	v_dot4_i32_i8 v18, v67, v112, v81
	v_dot4_i32_i8 v1, v72, v114, v1
	v_dot4_i32_i8 v6, v79, v113, v6
	v_dot4_i32_i8 v7, v80, v113, v7
	v_dot4_i32_i8 v18, v84, v113, v18
	v_dot4_i32_i8 v65, v87, v115, v1
	v_dot4_i32_i8 v1, v90, v114, v6
	v_dot4_i32_i8 v6, v91, v114, v7
	v_dot4_i32_i8 v7, v94, v114, v18
	v_dot4_i32_i8 v64, v96, v115, v1
	v_dot4_i32_i8 v61, v97, v115, v6
	v_dot4_i32_i8 v59, v98, v115, v7
	ds_read_b128 v[112:115], v25 offset:5136
	s_waitcnt lgkmcnt(0)
	v_dot4_i32_i8 v6, v57, v112, v73
	v_dot4_i32_i8 v7, v62, v112, v74
	;; [unrolled: 1-line block ×3, first 2 shown]
	ds_read_b128 v[73:76], v25 offset:6160
	v_dot4_i32_i8 v1, v95, v112, v68
	v_dot4_i32_i8 v1, v53, v113, v1
	;; [unrolled: 1-line block ×10, first 2 shown]
	s_waitcnt lgkmcnt(0)
	v_dot4_i32_i8 v0, v95, v73, v0
	v_dot4_i32_i8 v63, v96, v115, v1
	;; [unrolled: 1-line block ×19, first 2 shown]
	ds_read_b128 v[73:76], v25 offset:7184
	v_lshrrev_b32_e32 v69, 4, v118
	buffer_load_dword v118, off, s[20:23], 0 offset:68 ; 4-byte Folded Reload
	ds_read_b128 v[112:115], v25 offset:1072
	v_lshrrev_b32_e32 v70, 4, v119
	s_waitcnt lgkmcnt(1)
	v_dot4_i32_i8 v18, v67, v73, v66
	v_dot4_i32_i8 v4, v95, v73, v4
	;; [unrolled: 1-line block ×6, first 2 shown]
	v_mov_b32_e32 v94, v10
	v_lshrrev_b32_e32 v57, 4, v116
	buffer_load_dword v116, off, s[20:23], 0 offset:60 ; 4-byte Folded Reload
	buffer_load_dword v10, off, s[20:23], 0 offset:52 ; 4-byte Folded Reload
	v_dot4_i32_i8 v9, v62, v73, v9
	v_dot4_i32_i8 v4, v72, v75, v4
	;; [unrolled: 1-line block ×7, first 2 shown]
	v_lshrrev_b32_e32 v74, 4, v121
	v_dot4_i32_i8 v19, v96, v76, v4
	v_dot4_i32_i8 v9, v97, v76, v8
	;; [unrolled: 1-line block ×3, first 2 shown]
	v_and_b32_e32 v91, 0xf0f0f0f, v74
	ds_read_b128 v[74:77], v25 offset:48
	v_lshrrev_b32_e32 v73, 4, v120
	v_and_b32_e32 v79, 0xf0f0f0f, v2
	v_lshrrev_b32_e32 v4, 4, v122
	v_lshrrev_b32_e32 v62, 4, v117
	v_and_b32_e32 v80, 0xf0f0f0f, v3
	v_and_b32_e32 v57, 0xf0f0f0f, v57
	;; [unrolled: 1-line block ×4, first 2 shown]
	s_waitcnt lgkmcnt(0)
	v_dot4_i32_i8 v2, v79, v74, v44
	v_lshrrev_b32_e32 v53, 4, v123
	v_lshrrev_b32_e32 v66, 4, v124
	;; [unrolled: 1-line block ×3, first 2 shown]
	v_and_b32_e32 v84, 0xf0f0f0f, v4
	v_and_b32_e32 v62, 0xf0f0f0f, v62
	;; [unrolled: 1-line block ×3, first 2 shown]
	v_dot4_i32_i8 v2, v80, v75, v2
	v_dot4_i32_i8 v3, v57, v74, v54
	;; [unrolled: 1-line block ×4, first 2 shown]
	v_lshrrev_b32_e32 v67, 4, v125
	v_lshrrev_b32_e32 v72, 4, v127
	v_and_b32_e32 v53, 0xf0f0f0f, v53
	v_and_b32_e32 v87, 0xf0f0f0f, v66
	;; [unrolled: 1-line block ×3, first 2 shown]
	v_dot4_i32_i8 v2, v84, v76, v2
	v_dot4_i32_i8 v3, v62, v75, v3
	v_dot4_i32_i8 v4, v70, v75, v4
	v_dot4_i32_i8 v44, v91, v75, v44
	v_and_b32_e32 v67, 0xf0f0f0f, v67
	v_and_b32_e32 v72, 0xf0f0f0f, v72
	v_and_b32_e32 v69, 0xf0f0f0f, v52
	v_dot4_i32_i8 v56, v53, v77, v2
	v_dot4_i32_i8 v2, v87, v76, v3
	;; [unrolled: 1-line block ×11, first 2 shown]
	ds_read_b128 v[44:47], v25 offset:2096
	v_dot4_i32_i8 v2, v80, v113, v2
	v_dot4_i32_i8 v2, v84, v114, v2
	;; [unrolled: 1-line block ×10, first 2 shown]
	s_waitcnt lgkmcnt(0)
	v_dot4_i32_i8 v2, v79, v44, v43
	v_dot4_i32_i8 v95, v72, v115, v3
	;; [unrolled: 1-line block ×15, first 2 shown]
	ds_read_b128 v[42:45], v25 offset:3120
	v_dot4_i32_i8 v50, v67, v47, v2
	v_dot4_i32_i8 v48, v72, v47, v3
	;; [unrolled: 1-line block ×3, first 2 shown]
	buffer_load_dword v117, off, s[20:23], 0 offset:64 ; 4-byte Folded Reload
	s_waitcnt lgkmcnt(0)
	v_dot4_i32_i8 v2, v79, v42, v5
	v_dot4_i32_i8 v2, v80, v43, v2
	;; [unrolled: 1-line block ×16, first 2 shown]
	ds_read_b128 v[2:5], v25 offset:4144
	v_mov_b32_e32 v96, v11
	v_mov_b32_e32 v97, v12
	;; [unrolled: 1-line block ×3, first 2 shown]
	s_waitcnt lgkmcnt(0)
	v_dot4_i32_i8 v20, v79, v2, v20
	v_dot4_i32_i8 v20, v80, v3, v20
	v_dot4_i32_i8 v23, v57, v2, v30
	v_dot4_i32_i8 v28, v90, v2, v31
	v_dot4_i32_i8 v2, v73, v2, v32
	v_dot4_i32_i8 v20, v84, v4, v20
	v_dot4_i32_i8 v23, v62, v3, v23
	v_dot4_i32_i8 v28, v70, v3, v28
	v_dot4_i32_i8 v2, v91, v3, v2
	v_dot4_i32_i8 v44, v53, v5, v20
	v_dot4_i32_i8 v3, v87, v4, v23
	v_dot4_i32_i8 v20, v71, v4, v28
	v_dot4_i32_i8 v2, v51, v4, v2
	v_dot4_i32_i8 v43, v67, v5, v3
	v_dot4_i32_i8 v42, v72, v5, v20
	v_dot4_i32_i8 v31, v69, v5, v2
	ds_read_b128 v[2:5], v25 offset:5168
	s_waitcnt lgkmcnt(0)
	v_dot4_i32_i8 v20, v79, v2, v21
	v_dot4_i32_i8 v20, v80, v3, v20
	v_dot4_i32_i8 v21, v57, v2, v33
	v_dot4_i32_i8 v23, v90, v2, v34
	v_dot4_i32_i8 v2, v73, v2, v35
	v_dot4_i32_i8 v20, v84, v4, v20
	v_dot4_i32_i8 v21, v62, v3, v21
	v_dot4_i32_i8 v23, v70, v3, v23
	v_dot4_i32_i8 v2, v91, v3, v2
	v_dot4_i32_i8 v34, v53, v5, v20
	v_dot4_i32_i8 v3, v87, v4, v21
	v_dot4_i32_i8 v20, v71, v4, v23
	v_dot4_i32_i8 v2, v51, v4, v2
	v_dot4_i32_i8 v33, v67, v5, v3
	v_dot4_i32_i8 v32, v72, v5, v20
	v_dot4_i32_i8 v30, v69, v5, v2
	ds_read_b128 v[2:5], v25 offset:6192
	;; [unrolled: 18-line block ×3, first 2 shown]
	v_add_u32_e32 v25, 64, v25
	s_waitcnt lgkmcnt(0)
	v_dot4_i32_i8 v24, v79, v2, v24
	v_dot4_i32_i8 v28, v57, v2, v39
	;; [unrolled: 1-line block ×7, first 2 shown]
	s_waitcnt vmcnt(1)
	v_lshlrev_b32_e32 v2, 4, v10
	buffer_load_dword v10, off, s[20:23], 0 offset:56 ; 4-byte Folded Reload
	v_add_u32_e32 v37, s1, v2
	v_add3_u32 v51, v118, s17, v37
	ds_read_u16 v2, v51 offset:25088
	v_dot4_i32_i8 v24, v80, v3, v24
	v_dot4_i32_i8 v24, v84, v4, v24
	;; [unrolled: 1-line block ×6, first 2 shown]
	s_waitcnt vmcnt(1)
	v_add3_u32 v52, v117, s17, v37
	v_add3_u32 v53, v116, s17, v37
	v_dot4_i32_i8 v28, v67, v5, v3
	v_dot4_i32_i8 v24, v71, v4, v35
	;; [unrolled: 1-line block ×3, first 2 shown]
	v_mov_b32_e32 v87, v104
	v_mov_b32_e32 v104, v14
	;; [unrolled: 1-line block ×8, first 2 shown]
	s_add_i32 s1, s1, 2
	s_waitcnt vmcnt(0)
	v_add3_u32 v57, v10, s17, v37
	ds_read_u16 v37, v57 offset:26624
	s_waitcnt lgkmcnt(1)
	v_lshrrev_b16_e32 v69, 8, v2
	v_and_b32_e32 v70, 0xff, v2
	v_mul_lo_u32 v2, v110, v70
	v_mul_lo_u32 v3, v56, v69
	s_waitcnt lgkmcnt(0)
	v_and_b32_e32 v77, 0xff, v37
	v_mul_lo_u32 v55, v55, v69
	v_cvt_f32_i32_e32 v35, v2
	v_cvt_f32_i32_e32 v36, v3
	ds_read2_b64 v[2:5], v26 offset1:16
	v_cvt_f32_i32_e32 v55, v55
	v_mul_lo_u32 v34, v34, v69
	v_mul_lo_u32 v6, v6, v70
	;; [unrolled: 1-line block ×3, first 2 shown]
	s_waitcnt lgkmcnt(0)
	v_fma_mix_f32 v35, v2, v35, 0 op_sel_hi:[1,0,0]
	v_fma_mix_f32 v56, v3, v36, v35 op_sel_hi:[1,0,0]
	v_mul_lo_u32 v35, v111, v70
	v_mul_lo_u32 v36, v66, v69
	v_cvt_f32_i32_e32 v34, v34
	v_mul_lo_u32 v18, v18, v70
	v_cvt_f32_i32_e32 v35, v35
	v_cvt_f32_i32_e32 v36, v36
	;; [unrolled: 1-line block ×3, first 2 shown]
	v_mul_lo_u32 v29, v29, v69
	v_fma_mix_f32 v35, v35, v4, 0 op_sel_hi:[0,1,0]
	v_fma_mix_f32 v66, v36, v5, v35 op_sel_hi:[0,1,0]
	ds_read_u16 v35, v52 offset:25600
	v_cvt_f32_i32_e32 v23, v23
	v_cvt_f32_i32_e32 v18, v18
	v_mul_lo_u32 v0, v0, v77
	v_mul_lo_u32 v8, v8, v77
	s_waitcnt lgkmcnt(0)
	v_and_b32_e32 v73, 0xff, v35
	v_lshrrev_b16_e32 v71, 8, v35
	v_mul_lo_u32 v35, v109, v73
	v_mul_lo_u32 v36, v74, v71
	;; [unrolled: 1-line block ×4, first 2 shown]
	v_cvt_f32_i32_e32 v35, v35
	v_cvt_f32_i32_e32 v36, v36
	;; [unrolled: 1-line block ×4, first 2 shown]
	v_fma_mix_f32 v35, v2, v35, 0 op_sel_hi:[1,0,0]
	v_fma_mix_f32 v35, v3, v36, v35 op_sel_hi:[1,0,0]
	ds_read_u16 v36, v53 offset:26112
	v_mul_lo_u32 v49, v49, v71
	v_mul_lo_u32 v43, v43, v71
	;; [unrolled: 1-line block ×4, first 2 shown]
	s_waitcnt lgkmcnt(0)
	v_and_b32_e32 v75, 0xff, v36
	v_lshrrev_b16_e32 v74, 8, v36
	v_mul_lo_u32 v36, v105, v75
	v_mul_lo_u32 v38, v76, v74
	v_lshrrev_b16_e32 v76, 8, v37
	v_mul_lo_u32 v37, v99, v77
	v_cvt_f32_i32_e32 v36, v36
	v_cvt_f32_i32_e32 v38, v38
	v_mul_lo_u32 v40, v95, v74
	v_cvt_f32_i32_e32 v37, v37
	v_fma_mix_f32 v36, v2, v36, 0 op_sel_hi:[1,0,0]
	v_fma_mix_f32 v36, v3, v38, v36 op_sel_hi:[1,0,0]
	v_mul_lo_u32 v38, v81, v76
	v_fma_mix_f32 v37, v2, v37, 0 op_sel_hi:[1,0,0]
	v_cvt_f32_i32_e32 v40, v40
	v_mul_lo_u32 v62, v78, v76
	v_cvt_f32_i32_e32 v38, v38
	ds_read_u16 v78, v51 offset:25096
	ds_read_u16 v99, v52 offset:25608
	;; [unrolled: 1-line block ×4, first 2 shown]
	v_mul_lo_u32 v48, v48, v74
	v_cvt_f32_i32_e32 v62, v62
	v_fma_mix_f32 v37, v3, v38, v37 op_sel_hi:[1,0,0]
	v_mul_lo_u32 v38, v107, v73
	s_waitcnt lgkmcnt(3)
	v_cvt_f32_ubyte0_e32 v51, v78
	v_cvt_f32_ubyte1_e32 v52, v78
	s_waitcnt lgkmcnt(2)
	v_cvt_f32_ubyte0_e32 v53, v99
	v_cvt_f32_i32_e32 v38, v38
	s_waitcnt lgkmcnt(0)
	v_cvt_f32_ubyte0_e32 v72, v81
	v_fma_mix_f32 v78, v2, v51, 0 op_sel:[1,0,0] op_sel_hi:[1,0,0]
	v_cvt_f32_ubyte1_e32 v112, v81
	v_fma_mix_f32 v38, v38, v4, 0 op_sel_hi:[0,1,0]
	v_fma_mix_f32 v38, v39, v5, v38 op_sel_hi:[0,1,0]
	v_mul_lo_u32 v39, v103, v75
	v_fma_mix_f32 v107, v3, v52, v78 op_sel:[1,0,0] op_sel_hi:[1,0,0]
	v_fma_mix_f32 v78, v2, v53, 0 op_sel:[1,0,0] op_sel_hi:[1,0,0]
	v_cvt_f32_ubyte1_e32 v67, v95
	v_cvt_f32_i32_e32 v39, v39
	v_cvt_f32_ubyte1_e32 v57, v99
	v_fma_mix_f32 v78, v3, v57, v78 op_sel:[1,0,0] op_sel_hi:[1,0,0]
	v_cvt_f32_i32_e32 v48, v48
	v_fma_mix_f32 v39, v39, v4, 0 op_sel_hi:[0,1,0]
	v_fma_mix_f32 v39, v40, v5, v39 op_sel_hi:[0,1,0]
	v_mul_lo_u32 v40, v100, v77
	v_mul_lo_u32 v46, v46, v76
	v_cvt_f32_i32_e32 v49, v49
	v_mul_lo_u32 v47, v47, v74
	v_cvt_f32_i32_e32 v40, v40
	v_cvt_f32_i32_e32 v46, v46
	v_mul_lo_u32 v45, v45, v76
	v_cvt_f32_i32_e32 v47, v47
	v_fma_mix_f32 v40, v40, v4, 0 op_sel_hi:[0,1,0]
	v_fma_mix_f32 v40, v62, v5, v40 op_sel_hi:[0,1,0]
	v_cvt_f32_ubyte0_e32 v62, v95
	v_fma_mix_f32 v79, v2, v62, 0 op_sel:[1,0,0] op_sel_hi:[1,0,0]
	v_fma_mix_f32 v2, v2, v72, 0 op_sel:[1,0,0] op_sel_hi:[1,0,0]
	;; [unrolled: 1-line block ×12, first 2 shown]
	v_mul_lo_u32 v2, v92, v70
	v_mul_lo_u32 v3, v54, v69
	v_cvt_f32_i32_e32 v45, v45
	buffer_load_dword v11, off, s[20:23], 0 offset:108 ; 4-byte Folded Reload
	buffer_load_dword v12, off, s[20:23], 0 offset:112 ; 4-byte Folded Reload
	buffer_load_dword v13, off, s[20:23], 0 offset:120 ; 4-byte Folded Reload
	buffer_load_dword v10, off, s[20:23], 0 offset:104 ; 4-byte Folded Reload
	v_cvt_f32_i32_e32 v54, v2
	v_cvt_f32_i32_e32 v79, v3
	ds_read2_b64 v[2:5], v26 offset0:32 offset1:48
	v_cvt_f32_i32_e32 v43, v43
	v_mul_lo_u32 v42, v42, v74
	v_mul_lo_u32 v31, v31, v76
	v_cvt_f32_i32_e32 v33, v33
	s_waitcnt lgkmcnt(0)
	v_fma_mix_f32 v54, v54, v2, 0 op_sel_hi:[0,1,0]
	v_fma_mix_f32 v110, v79, v3, v54 op_sel_hi:[0,1,0]
	v_mul_lo_u32 v54, v93, v70
	v_cvt_f32_i32_e32 v42, v42
	v_cvt_f32_i32_e32 v31, v31
	v_mul_lo_u32 v32, v32, v74
	v_cvt_f32_i32_e32 v54, v54
	v_mul_lo_u32 v30, v30, v76
	buffer_load_dword v14, off, s[20:23], 0 offset:128 ; 4-byte Folded Reload
	v_cvt_f32_i32_e32 v32, v32
	v_fma_mix_f32 v54, v54, v4, 0 op_sel_hi:[0,1,0]
	v_fma_mix_f32 v111, v55, v5, v54 op_sel_hi:[0,1,0]
	v_mul_lo_u32 v54, v89, v73
	v_fma_mix_f32 v55, v62, v2, 0 op_sel:[0,1,0] op_sel_hi:[0,1,0]
	v_fma_mix_f32 v55, v67, v3, v55 op_sel:[0,1,0] op_sel_hi:[0,1,0]
	v_cvt_f32_i32_e32 v30, v30
	v_cvt_f32_i32_e32 v54, v54
	v_mul_lo_u32 v19, v19, v73
	v_mul_lo_u32 v1, v1, v75
	;; [unrolled: 1-line block ×3, first 2 shown]
	v_fma_mix_f32 v54, v54, v2, 0 op_sel_hi:[0,1,0]
	v_fma_mix_f32 v50, v50, v3, v54 op_sel_hi:[0,1,0]
	v_mul_lo_u32 v54, v86, v75
	v_mul_lo_u32 v28, v28, v71
	;; [unrolled: 1-line block ×4, first 2 shown]
	v_cvt_f32_i32_e32 v54, v54
	v_cvt_f32_i32_e32 v7, v7
	v_cvt_f32_i32_e32 v1, v1
	v_cvt_f32_i32_e32 v0, v0
	v_fma_mix_f32 v54, v54, v2, 0 op_sel_hi:[0,1,0]
	v_fma_mix_f32 v48, v48, v3, v54 op_sel_hi:[0,1,0]
	v_mul_lo_u32 v54, v83, v77
	v_cvt_f32_i32_e32 v19, v19
	v_cvt_f32_i32_e32 v9, v9
	;; [unrolled: 1-line block ×7, first 2 shown]
	v_fma_mix_f32 v54, v54, v2, 0 op_sel_hi:[0,1,0]
	v_fma_mix_f32 v46, v46, v3, v54 op_sel_hi:[0,1,0]
	v_mul_lo_u32 v54, v88, v73
	v_mul_lo_u32 v22, v22, v71
	;; [unrolled: 1-line block ×4, first 2 shown]
	v_cvt_f32_i32_e32 v54, v54
	v_cvt_f32_i32_e32 v22, v22
	;; [unrolled: 1-line block ×4, first 2 shown]
	v_fma_mix_f32 v54, v54, v4, 0 op_sel_hi:[0,1,0]
	v_fma_mix_f32 v49, v49, v5, v54 op_sel_hi:[0,1,0]
	v_mul_lo_u32 v54, v85, v75
	s_add_i32 s17, s16, 8
	s_mov_b32 s16, s17
	s_cmp_lt_u32 s18, 24
	v_cvt_f32_i32_e32 v54, v54
	v_fma_mix_f32 v54, v54, v4, 0 op_sel_hi:[0,1,0]
	v_fma_mix_f32 v47, v47, v5, v54 op_sel_hi:[0,1,0]
	v_mul_lo_u32 v54, v82, v77
	v_cvt_f32_i32_e32 v54, v54
	v_fma_mix_f32 v54, v54, v4, 0 op_sel_hi:[0,1,0]
	v_fma_mix_f32 v45, v45, v5, v54 op_sel_hi:[0,1,0]
	v_fma_mix_f32 v54, v51, v2, 0 op_sel:[0,1,0] op_sel_hi:[0,1,0]
	v_fma_mix_f32 v113, v52, v3, v54 op_sel:[0,1,0] op_sel_hi:[0,1,0]
	;; [unrolled: 1-line block ×14, first 2 shown]
	v_mul_lo_u32 v2, v65, v70
	v_mul_lo_u32 v3, v44, v69
	s_waitcnt vmcnt(3)
	v_mul_f32_e32 v54, v54, v12
	s_waitcnt vmcnt(2)
	v_mul_f32_e32 v69, v100, v13
	v_cvt_f32_i32_e32 v44, v2
	v_cvt_f32_i32_e32 v65, v3
	ds_read2_b64 v[2:5], v26 offset0:64 offset1:80
	v_mul_f32_e32 v55, v55, v13
	s_waitcnt lgkmcnt(0)
	v_fma_mix_f32 v44, v44, v2, 0 op_sel_hi:[0,1,0]
	v_fma_mix_f32 v115, v65, v3, v44 op_sel_hi:[0,1,0]
	v_mul_lo_u32 v44, v68, v70
	v_cvt_f32_i32_e32 v44, v44
	v_fma_mix_f32 v44, v44, v4, 0 op_sel_hi:[0,1,0]
	v_fma_mix_f32 v44, v34, v5, v44 op_sel_hi:[0,1,0]
	v_mul_lo_u32 v34, v64, v73
	v_cvt_f32_i32_e32 v34, v34
	;; [unrolled: 4-line block ×4, first 2 shown]
	v_fma_mix_f32 v43, v43, v2, 0 op_sel_hi:[0,1,0]
	v_fma_mix_f32 v31, v31, v3, v43 op_sel_hi:[0,1,0]
	v_mul_lo_u32 v43, v63, v73
	v_mul_f32_e32 v73, v85, v13
	v_cvt_f32_i32_e32 v43, v43
	v_fma_mix_f32 v43, v43, v4, 0 op_sel_hi:[0,1,0]
	v_fma_mix_f32 v33, v33, v5, v43 op_sel_hi:[0,1,0]
	v_mul_lo_u32 v43, v60, v75
	v_cvt_f32_i32_e32 v43, v43
	v_fma_mix_f32 v43, v43, v4, 0 op_sel_hi:[0,1,0]
	v_fma_mix_f32 v32, v32, v5, v43 op_sel_hi:[0,1,0]
	v_mul_lo_u32 v43, v58, v77
	v_fma_mix_f32 v58, v62, v2, 0 op_sel:[0,1,0] op_sel_hi:[0,1,0]
	v_fma_mix_f32 v58, v67, v3, v58 op_sel:[0,1,0] op_sel_hi:[0,1,0]
	v_mul_f32_e32 v58, v58, v13
	v_cvt_f32_i32_e32 v43, v43
	v_fma_mix_f32 v43, v43, v4, 0 op_sel_hi:[0,1,0]
	v_fma_mix_f32 v30, v30, v5, v43 op_sel_hi:[0,1,0]
	v_fma_mix_f32 v43, v51, v2, 0 op_sel:[0,1,0] op_sel_hi:[0,1,0]
	v_fma_mix_f32 v79, v52, v3, v43 op_sel:[0,1,0] op_sel_hi:[0,1,0]
	;; [unrolled: 1-line block ×14, first 2 shown]
	ds_read2_b64 v[2:5], v26 offset0:96 offset1:112
	v_mul_f32_e32 v60, v60, v11
	v_mul_f32_e32 v43, v43, v12
	;; [unrolled: 1-line block ×4, first 2 shown]
	s_waitcnt lgkmcnt(0)
	v_fma_mix_f32 v6, v6, v2, 0 op_sel_hi:[0,1,0]
	v_fma_mix_f32 v6, v23, v3, v6 op_sel_hi:[0,1,0]
	v_cvt_f32_i32_e32 v23, v29
	v_fma_mix_f32 v65, v51, v2, 0 op_sel:[0,1,0] op_sel_hi:[0,1,0]
	v_fma_mix_f32 v51, v51, v4, 0 op_sel:[0,1,0] op_sel_hi:[0,1,0]
	;; [unrolled: 1-line block ×10, first 2 shown]
	v_fma_mix_f32 v18, v18, v4, 0 op_sel_hi:[0,1,0]
	v_fma_mix_f32 v93, v67, v3, v51 op_sel:[0,1,0] op_sel_hi:[0,1,0]
	v_fma_mix_f32 v92, v67, v5, v52 op_sel:[0,1,0] op_sel_hi:[0,1,0]
	;; [unrolled: 1-line block ×4, first 2 shown]
	v_fma_mix_f32 v18, v23, v5, v18 op_sel_hi:[0,1,0]
	v_mul_f32_e32 v23, v107, v11
	v_fma_mix_f32 v105, v112, v3, v51 op_sel:[0,1,0] op_sel_hi:[0,1,0]
	v_fma_mix_f32 v51, v112, v5, v52 op_sel:[0,1,0] op_sel_hi:[0,1,0]
	s_waitcnt vmcnt(1)
	v_fma_f32 v23, v56, v10, -v23
	v_mul_f32_e32 v29, v109, v11
	v_mul_f32_e32 v52, v113, v11
	;; [unrolled: 1-line block ×6, first 2 shown]
	buffer_load_dword v11, off, s[20:23], 0 offset:116 ; 4-byte Folded Reload
	v_mul_f32_e32 v57, v78, v12
	v_fma_mix_f32 v7, v7, v2, 0 op_sel_hi:[0,1,0]
	v_fma_mix_f32 v1, v1, v2, 0 op_sel_hi:[0,1,0]
	;; [unrolled: 1-line block ×6, first 2 shown]
	v_mul_f32_e32 v67, v99, v12
	v_mul_f32_e32 v72, v83, v12
	;; [unrolled: 1-line block ×4, first 2 shown]
	v_fma_mix_f32 v2, v28, v5, v2 op_sel_hi:[0,1,0]
	v_fma_mix_f32 v9, v24, v5, v9 op_sel_hi:[0,1,0]
	;; [unrolled: 1-line block ×3, first 2 shown]
	v_mul_f32_e32 v62, v81, v13
	v_fma_f32 v29, v66, v10, -v29
	v_fma_f32 v52, v110, v10, -v52
	;; [unrolled: 1-line block ×4, first 2 shown]
	v_mul_f32_e32 v76, v93, v13
	v_mul_f32_e32 v79, v92, v13
	v_fma_f32 v8, v44, v10, -v60
	v_fma_f32 v6, v6, v10, -v68
	v_fma_mix_f32 v7, v22, v3, v7 op_sel_hi:[0,1,0]
	v_fma_mix_f32 v1, v21, v3, v1 op_sel_hi:[0,1,0]
	;; [unrolled: 1-line block ×3, first 2 shown]
	v_fma_f32 v3, v18, v10, -v65
	s_waitcnt vmcnt(1)
	v_mul_f32_e32 v71, v82, v14
	v_mul_f32_e32 v70, v103, v14
	v_add_f32_e32 v90, v90, v23
	v_mul_f32_e32 v66, v95, v14
	v_mul_f32_e32 v74, v86, v14
	v_mul_f32_e32 v59, v59, v14
	v_mul_f32_e32 v64, v64, v14
	v_mul_f32_e32 v77, v105, v14
	v_mul_f32_e32 v51, v51, v14
	v_add_f32_e32 v98, v98, v8
	v_add_f32_e32 v91, v91, v6
	v_add_u32_e32 v26, 8, v26
	v_add_f32_e32 v102, v102, v56
	s_waitcnt vmcnt(0)
	v_fma_f32 v5, v35, v11, -v57
	buffer_load_dword v57, off, s[20:23], 0 offset:72 ; 4-byte Folded Reload
	buffer_load_dword v12, off, s[20:23], 0 offset:124 ; 4-byte Folded Reload
	v_fma_f32 v20, v38, v11, -v67
	v_add_f32_e32 v101, v101, v5
	v_fma_f32 v23, v50, v11, -v54
	v_fma_f32 v34, v34, v11, -v43
	;; [unrolled: 1-line block ×5, first 2 shown]
	v_add_f32_e32 v108, v108, v34
	v_add_f32_e32 v97, v97, v8
	v_add_f32_e32 v87, v87, v6
	s_waitcnt vmcnt(0)
	v_fma_f32 v18, v36, v12, -v62
	buffer_load_dword v62, off, s[20:23], 0 offset:76 ; 4-byte Folded Reload
	buffer_load_dword v13, off, s[20:23], 0 offset:132 ; 4-byte Folded Reload
	;; [unrolled: 1-line block ×4, first 2 shown]
	v_fma_f32 v21, v39, v12, -v69
	v_fma_f32 v24, v48, v12, -v55
	;; [unrolled: 1-line block ×5, first 2 shown]
	v_add_f32_e32 v96, v96, v32
	v_add_f32_e32 v84, v84, v1
	s_waitcnt vmcnt(2)
	v_fma_f32 v28, v46, v13, -v71
	s_waitcnt vmcnt(1)
	v_add_f32_e32 v10, v10, v29
	buffer_store_dword v10, off, s[20:23], 0 offset:44 ; 4-byte Folded Spill
	buffer_load_dword v10, off, s[20:23], 0 offset:28 ; 4-byte Folded Reload
	v_fma_f32 v22, v40, v13, -v70
	v_fma_f32 v29, v49, v11, -v72
	;; [unrolled: 1-line block ×9, first 2 shown]
	v_add_f32_e32 v106, v106, v37
	v_add_f32_e32 v104, v104, v31
	;; [unrolled: 1-line block ×3, first 2 shown]
	s_waitcnt vmcnt(2)
	v_add_f32_e32 v67, v67, v2
	v_add_f32_e32 v57, v57, v4
	s_waitcnt vmcnt(0)
	v_add_f32_e32 v10, v10, v52
	buffer_store_dword v10, off, s[20:23], 0 offset:28 ; 4-byte Folded Spill
	buffer_load_dword v52, off, s[20:23], 0 offset:92 ; 4-byte Folded Reload
	buffer_load_dword v46, off, s[20:23], 0 offset:48 ; 4-byte Folded Reload
	s_nop 0
	buffer_load_dword v10, off, s[20:23], 0 offset:12 ; 4-byte Folded Reload
	buffer_load_dword v5, off, s[20:23], 0 offset:40 ; 4-byte Folded Reload
	;; [unrolled: 1-line block ×3, first 2 shown]
	s_waitcnt vmcnt(3)
	v_add_f32_e32 v46, v46, v18
	s_waitcnt vmcnt(2)
	v_add_f32_e32 v10, v10, v53
	;; [unrolled: 2-line block ×3, first 2 shown]
	buffer_store_dword v5, off, s[20:23], 0 offset:40 ; 4-byte Folded Spill
	buffer_load_dword v5, off, s[20:23], 0 offset:36 ; 4-byte Folded Reload
	v_add_f32_e32 v52, v52, v19
	buffer_store_dword v10, off, s[20:23], 0 offset:12 ; 4-byte Folded Spill
	s_waitcnt vmcnt(1)
	v_add_f32_e32 v5, v5, v21
	buffer_store_dword v5, off, s[20:23], 0 offset:36 ; 4-byte Folded Spill
	buffer_load_dword v5, off, s[20:23], 0 offset:32 ; 4-byte Folded Reload
	s_waitcnt vmcnt(0)
	v_add_f32_e32 v5, v5, v22
	buffer_store_dword v5, off, s[20:23], 0 offset:32 ; 4-byte Folded Spill
	buffer_load_dword v5, off, s[20:23], 0 offset:24 ; 4-byte Folded Reload
	s_waitcnt vmcnt(0)
	v_add_f32_e32 v5, v5, v23
	buffer_store_dword v5, off, s[20:23], 0 offset:24 ; 4-byte Folded Spill
	buffer_load_dword v5, off, s[20:23], 0 offset:20 ; 4-byte Folded Reload
	s_waitcnt vmcnt(0)
	v_add_f32_e32 v5, v5, v24
	buffer_store_dword v5, off, s[20:23], 0 offset:20 ; 4-byte Folded Spill
	buffer_load_dword v5, off, s[20:23], 0 offset:16 ; 4-byte Folded Reload
	s_waitcnt vmcnt(0)
	v_add_f32_e32 v5, v5, v28
	buffer_store_dword v5, off, s[20:23], 0 offset:16 ; 4-byte Folded Spill
	buffer_load_dword v5, off, s[20:23], 0 offset:8 ; 4-byte Folded Reload
	s_waitcnt vmcnt(0)
	v_add_f32_e32 v5, v5, v29
	buffer_store_dword v5, off, s[20:23], 0 offset:8 ; 4-byte Folded Spill
	buffer_load_dword v5, off, s[20:23], 0 offset:4 ; 4-byte Folded Reload
	s_waitcnt vmcnt(0)
	v_add_f32_e32 v5, v5, v35
	buffer_store_dword v5, off, s[20:23], 0 offset:4 ; 4-byte Folded Spill
	buffer_load_dword v5, off, s[20:23], 0  ; 4-byte Folded Reload
	v_add_f32_e32 v72, v72, v3
	v_fma_f32 v3, v9, v12, -v79
	buffer_load_dword v79, off, s[20:23], 0 offset:88 ; 4-byte Folded Reload
	v_add_f32_e32 v62, v62, v3
	s_waitcnt vmcnt(1)
	v_add_f32_e32 v5, v5, v36
	buffer_store_dword v5, off, s[20:23], 0 ; 4-byte Folded Spill
	s_waitcnt vmcnt(1)
	v_add_f32_e32 v79, v79, v0
	s_cbranch_scc1 .LBB132_8
; %bb.9:                                ;   in Loop: Header=BB132_5 Depth=1
	buffer_load_dword v20, off, s[20:23], 0 offset:44 ; 4-byte Folded Reload
	buffer_load_dword v19, off, s[20:23], 0 offset:40 ; 4-byte Folded Reload
	;; [unrolled: 1-line block ×11, first 2 shown]
	buffer_load_dword v9, off, s[20:23], 0  ; 4-byte Folded Reload
	s_add_i32 s9, s9, 1
	s_cmp_eq_u32 s9, s4
	s_waitcnt vmcnt(0)
	s_barrier
	s_cbranch_scc1 .LBB132_11
; %bb.10:                               ;   in Loop: Header=BB132_5 Depth=1
	v_mov_b32_e32 v80, v101
	v_mov_b32_e32 v0, v102
	buffer_load_dword v101, off, s[20:23], 0 offset:96 ; 4-byte Folded Reload
	buffer_load_dword v102, off, s[20:23], 0 offset:100 ; 4-byte Folded Reload
	s_waitcnt vmcnt(0)
	v_mov_b32_e32 v102, v0
	s_branch .LBB132_5
.LBB132_11:
	buffer_load_dword v0, off, s[20:23], 0 offset:556 ; 4-byte Folded Reload
	buffer_load_dword v1, off, s[20:23], 0 offset:552 ; 4-byte Folded Reload
.LBB132_12:
	s_waitcnt vmcnt(1)
	v_cmp_gt_u32_e32 vcc, s10, v0
	s_and_saveexec_b64 s[0:1], vcc
	s_cbranch_execz .LBB132_63
; %bb.13:
	v_mul_lo_u32 v4, v0, s14
	buffer_load_dword v0, off, s[20:23], 0 offset:52 ; 4-byte Folded Reload
	s_waitcnt vmcnt(0)
	v_add_u32_e32 v0, s6, v0
	v_cmp_gt_u32_e32 vcc, s14, v0
	s_and_saveexec_b64 s[2:3], vcc
	s_cbranch_execz .LBB132_15
; %bb.14:
	v_add_u32_e32 v2, v0, v4
	v_mov_b32_e32 v3, 0
	v_lshlrev_b64 v[5:6], 2, v[2:3]
	s_waitcnt lgkmcnt(0)
	v_mov_b32_e32 v3, s13
	v_add_co_u32_e64 v2, s[0:1], s12, v5
	v_addc_co_u32_e64 v3, s[0:1], v3, v6, s[0:1]
	global_store_dword v[2:3], v90, off
.LBB132_15:
	s_or_b64 exec, exec, s[2:3]
	v_add_u32_e32 v8, 32, v0
	v_cmp_gt_u32_e64 s[0:1], s14, v8
	s_and_saveexec_b64 s[4:5], s[0:1]
	s_cbranch_execz .LBB132_17
; %bb.16:
	v_add_u32_e32 v2, v8, v4
	v_mov_b32_e32 v3, 0
	v_lshlrev_b64 v[2:3], 2, v[2:3]
	s_waitcnt lgkmcnt(0)
	v_mov_b32_e32 v5, s13
	v_add_co_u32_e64 v2, s[2:3], s12, v2
	v_addc_co_u32_e64 v3, s[2:3], v5, v3, s[2:3]
	global_store_dword v[2:3], v101, off
.LBB132_17:
	s_or_b64 exec, exec, s[4:5]
	v_add_u32_e32 v2, 64, v0
	v_cmp_gt_u32_e64 s[2:3], s14, v2
	s_and_saveexec_b64 s[6:7], s[2:3]
	;; [unrolled: 15-line block ×3, first 2 shown]
	s_cbranch_execz .LBB132_21
; %bb.20:
	v_add_u32_e32 v4, v3, v4
	v_mov_b32_e32 v5, 0
	v_lshlrev_b64 v[4:5], 2, v[4:5]
	s_waitcnt lgkmcnt(0)
	v_mov_b32_e32 v6, s13
	v_add_co_u32_e64 v4, s[6:7], s12, v4
	v_addc_co_u32_e64 v5, s[6:7], v6, v5, s[6:7]
	global_store_dword v[4:5], v52, off
.LBB132_21:
	s_or_b64 exec, exec, s[8:9]
	v_add3_u32 v4, v1, s15, 8
	v_cmp_gt_u32_e64 s[6:7], s10, v4
	s_and_b64 exec, exec, s[6:7]
	s_cbranch_execz .LBB132_63
; %bb.22:
	v_mul_lo_u32 v4, v4, s14
	s_and_saveexec_b64 s[8:9], vcc
	s_cbranch_execnz .LBB132_64
; %bb.23:
	s_or_b64 exec, exec, s[8:9]
	s_and_saveexec_b64 s[8:9], s[0:1]
	s_cbranch_execnz .LBB132_65
.LBB132_24:
	s_or_b64 exec, exec, s[8:9]
	s_and_saveexec_b64 s[8:9], s[2:3]
	s_cbranch_execnz .LBB132_66
.LBB132_25:
	s_or_b64 exec, exec, s[8:9]
	s_and_saveexec_b64 s[8:9], s[4:5]
	s_cbranch_execz .LBB132_27
.LBB132_26:
	v_add_u32_e32 v4, v4, v3
	v_mov_b32_e32 v5, 0
	v_lshlrev_b64 v[4:5], 2, v[4:5]
	s_waitcnt lgkmcnt(0)
	v_mov_b32_e32 v6, s13
	v_add_co_u32_e64 v4, s[6:7], s12, v4
	v_addc_co_u32_e64 v5, s[6:7], v6, v5, s[6:7]
	global_store_dword v[4:5], v17, off
.LBB132_27:
	s_or_b64 exec, exec, s[8:9]
	v_add3_u32 v4, v1, s15, 16
	v_cmp_gt_u32_e64 s[6:7], s10, v4
	s_and_b64 exec, exec, s[6:7]
	s_cbranch_execz .LBB132_63
; %bb.28:
	v_mul_lo_u32 v4, v4, s14
	s_and_saveexec_b64 s[8:9], vcc
	s_cbranch_execnz .LBB132_67
; %bb.29:
	s_or_b64 exec, exec, s[8:9]
	s_and_saveexec_b64 s[8:9], s[0:1]
	s_cbranch_execnz .LBB132_68
.LBB132_30:
	s_or_b64 exec, exec, s[8:9]
	s_and_saveexec_b64 s[8:9], s[2:3]
	s_cbranch_execnz .LBB132_69
.LBB132_31:
	s_or_b64 exec, exec, s[8:9]
	s_and_saveexec_b64 s[8:9], s[4:5]
	s_cbranch_execz .LBB132_33
.LBB132_32:
	v_add_u32_e32 v4, v4, v3
	v_mov_b32_e32 v5, 0
	v_lshlrev_b64 v[4:5], 2, v[4:5]
	s_waitcnt lgkmcnt(0)
	v_mov_b32_e32 v6, s13
	v_add_co_u32_e64 v4, s[6:7], s12, v4
	v_addc_co_u32_e64 v5, s[6:7], v6, v5, s[6:7]
	global_store_dword v[4:5], v13, off
.LBB132_33:
	s_or_b64 exec, exec, s[8:9]
	v_add3_u32 v4, v1, s15, 24
	v_cmp_gt_u32_e64 s[6:7], s10, v4
	s_and_b64 exec, exec, s[6:7]
	s_cbranch_execz .LBB132_63
; %bb.34:
	v_mul_lo_u32 v4, v4, s14
	s_and_saveexec_b64 s[8:9], vcc
	s_cbranch_execnz .LBB132_70
; %bb.35:
	s_or_b64 exec, exec, s[8:9]
	s_and_saveexec_b64 s[8:9], s[0:1]
	s_cbranch_execnz .LBB132_71
.LBB132_36:
	s_or_b64 exec, exec, s[8:9]
	s_and_saveexec_b64 s[8:9], s[2:3]
	s_cbranch_execnz .LBB132_72
.LBB132_37:
	s_or_b64 exec, exec, s[8:9]
	s_and_saveexec_b64 s[8:9], s[4:5]
	s_cbranch_execz .LBB132_39
.LBB132_38:
	v_add_u32_e32 v4, v4, v3
	v_mov_b32_e32 v5, 0
	v_lshlrev_b64 v[4:5], 2, v[4:5]
	s_waitcnt lgkmcnt(0)
	v_mov_b32_e32 v6, s13
	v_add_co_u32_e64 v4, s[6:7], s12, v4
	v_addc_co_u32_e64 v5, s[6:7], v6, v5, s[6:7]
	global_store_dword v[4:5], v9, off
.LBB132_39:
	s_or_b64 exec, exec, s[8:9]
	v_add3_u32 v4, v1, s15, 32
	v_cmp_gt_u32_e64 s[6:7], s10, v4
	s_and_b64 exec, exec, s[6:7]
	s_cbranch_execz .LBB132_63
; %bb.40:
	v_mul_lo_u32 v4, v4, s14
	s_and_saveexec_b64 s[8:9], vcc
	s_cbranch_execnz .LBB132_73
; %bb.41:
	s_or_b64 exec, exec, s[8:9]
	s_and_saveexec_b64 s[8:9], s[0:1]
	s_cbranch_execnz .LBB132_74
.LBB132_42:
	s_or_b64 exec, exec, s[8:9]
	s_and_saveexec_b64 s[8:9], s[2:3]
	s_cbranch_execnz .LBB132_75
.LBB132_43:
	s_or_b64 exec, exec, s[8:9]
	s_and_saveexec_b64 s[8:9], s[4:5]
	s_cbranch_execz .LBB132_45
.LBB132_44:
	v_add_u32_e32 v4, v4, v3
	v_mov_b32_e32 v5, 0
	v_lshlrev_b64 v[4:5], 2, v[4:5]
	s_waitcnt lgkmcnt(0)
	v_mov_b32_e32 v6, s13
	v_add_co_u32_e64 v4, s[6:7], s12, v4
	v_addc_co_u32_e64 v5, s[6:7], v6, v5, s[6:7]
	global_store_dword v[4:5], v104, off
.LBB132_45:
	s_or_b64 exec, exec, s[8:9]
	v_add3_u32 v4, v1, s15, 40
	v_cmp_gt_u32_e64 s[6:7], s10, v4
	s_and_b64 exec, exec, s[6:7]
	s_cbranch_execz .LBB132_63
; %bb.46:
	v_mul_lo_u32 v4, v4, s14
	s_and_saveexec_b64 s[8:9], vcc
	s_cbranch_execnz .LBB132_76
; %bb.47:
	s_or_b64 exec, exec, s[8:9]
	s_and_saveexec_b64 s[8:9], s[0:1]
	s_cbranch_execnz .LBB132_77
.LBB132_48:
	s_or_b64 exec, exec, s[8:9]
	s_and_saveexec_b64 s[8:9], s[2:3]
	s_cbranch_execnz .LBB132_78
.LBB132_49:
	s_or_b64 exec, exec, s[8:9]
	s_and_saveexec_b64 s[8:9], s[4:5]
	s_cbranch_execz .LBB132_51
.LBB132_50:
	v_add_u32_e32 v4, v4, v3
	v_mov_b32_e32 v5, 0
	v_lshlrev_b64 v[4:5], 2, v[4:5]
	s_waitcnt lgkmcnt(0)
	v_mov_b32_e32 v6, s13
	v_add_co_u32_e64 v4, s[6:7], s12, v4
	v_addc_co_u32_e64 v5, s[6:7], v6, v5, s[6:7]
	global_store_dword v[4:5], v94, off
.LBB132_51:
	s_or_b64 exec, exec, s[8:9]
	v_add3_u32 v4, v1, s15, 48
	v_cmp_gt_u32_e64 s[6:7], s10, v4
	s_and_b64 exec, exec, s[6:7]
	s_cbranch_execz .LBB132_63
; %bb.52:
	v_mul_lo_u32 v4, v4, s14
	s_and_saveexec_b64 s[8:9], vcc
	s_cbranch_execnz .LBB132_79
; %bb.53:
	s_or_b64 exec, exec, s[8:9]
	s_and_saveexec_b64 s[8:9], s[0:1]
	s_cbranch_execnz .LBB132_80
.LBB132_54:
	s_or_b64 exec, exec, s[8:9]
	s_and_saveexec_b64 s[8:9], s[2:3]
	s_cbranch_execnz .LBB132_81
.LBB132_55:
	s_or_b64 exec, exec, s[8:9]
	s_and_saveexec_b64 s[8:9], s[4:5]
	s_cbranch_execz .LBB132_57
.LBB132_56:
	v_add_u32_e32 v4, v4, v3
	v_mov_b32_e32 v5, 0
	v_lshlrev_b64 v[4:5], 2, v[4:5]
	s_waitcnt lgkmcnt(0)
	v_mov_b32_e32 v6, s13
	v_add_co_u32_e64 v4, s[6:7], s12, v4
	v_addc_co_u32_e64 v5, s[6:7], v6, v5, s[6:7]
	global_store_dword v[4:5], v79, off
.LBB132_57:
	s_or_b64 exec, exec, s[8:9]
	v_add3_u32 v4, v1, s15, 56
	v_cmp_gt_u32_e64 s[6:7], s10, v4
	s_and_b64 exec, exec, s[6:7]
	s_cbranch_execz .LBB132_63
; %bb.58:
	v_mul_lo_u32 v4, v4, s14
	s_and_saveexec_b64 s[6:7], vcc
	s_cbranch_execnz .LBB132_82
; %bb.59:
	s_or_b64 exec, exec, s[6:7]
	s_and_saveexec_b64 s[6:7], s[0:1]
	s_cbranch_execnz .LBB132_83
.LBB132_60:
	s_or_b64 exec, exec, s[6:7]
	s_and_saveexec_b64 s[0:1], s[2:3]
	s_cbranch_execnz .LBB132_84
.LBB132_61:
	s_or_b64 exec, exec, s[0:1]
	s_and_b64 exec, exec, s[4:5]
	s_cbranch_execz .LBB132_63
.LBB132_62:
	v_add_u32_e32 v0, v4, v3
	v_mov_b32_e32 v1, 0
	v_lshlrev_b64 v[0:1], 2, v[0:1]
	s_waitcnt lgkmcnt(0)
	v_mov_b32_e32 v2, s13
	v_add_co_u32_e32 v0, vcc, s12, v0
	v_addc_co_u32_e32 v1, vcc, v2, v1, vcc
	global_store_dword v[0:1], v57, off
.LBB132_63:
	s_endpgm
.LBB132_64:
	v_add_u32_e32 v5, v4, v0
	v_mov_b32_e32 v6, 0
	v_lshlrev_b64 v[5:6], 2, v[5:6]
	s_waitcnt lgkmcnt(0)
	v_mov_b32_e32 v7, s13
	v_add_co_u32_e64 v5, s[6:7], s12, v5
	v_addc_co_u32_e64 v6, s[6:7], v7, v6, s[6:7]
	global_store_dword v[5:6], v20, off
	s_or_b64 exec, exec, s[8:9]
	s_and_saveexec_b64 s[8:9], s[0:1]
	s_cbranch_execz .LBB132_24
.LBB132_65:
	v_add_u32_e32 v5, v4, v8
	v_mov_b32_e32 v6, 0
	v_lshlrev_b64 v[5:6], 2, v[5:6]
	s_waitcnt lgkmcnt(0)
	v_mov_b32_e32 v7, s13
	v_add_co_u32_e64 v5, s[6:7], s12, v5
	v_addc_co_u32_e64 v6, s[6:7], v7, v6, s[6:7]
	global_store_dword v[5:6], v19, off
	s_or_b64 exec, exec, s[8:9]
	s_and_saveexec_b64 s[8:9], s[2:3]
	s_cbranch_execz .LBB132_25
.LBB132_66:
	v_add_u32_e32 v5, v4, v2
	v_mov_b32_e32 v6, 0
	v_lshlrev_b64 v[5:6], 2, v[5:6]
	s_waitcnt lgkmcnt(0)
	v_mov_b32_e32 v7, s13
	v_add_co_u32_e64 v5, s[6:7], s12, v5
	v_addc_co_u32_e64 v6, s[6:7], v7, v6, s[6:7]
	global_store_dword v[5:6], v18, off
	s_or_b64 exec, exec, s[8:9]
	s_and_saveexec_b64 s[8:9], s[4:5]
	s_cbranch_execnz .LBB132_26
	s_branch .LBB132_27
.LBB132_67:
	v_add_u32_e32 v5, v4, v0
	v_mov_b32_e32 v6, 0
	v_lshlrev_b64 v[5:6], 2, v[5:6]
	s_waitcnt lgkmcnt(0)
	v_mov_b32_e32 v7, s13
	v_add_co_u32_e64 v5, s[6:7], s12, v5
	v_addc_co_u32_e64 v6, s[6:7], v7, v6, s[6:7]
	global_store_dword v[5:6], v16, off
	s_or_b64 exec, exec, s[8:9]
	s_and_saveexec_b64 s[8:9], s[0:1]
	s_cbranch_execz .LBB132_30
.LBB132_68:
	v_add_u32_e32 v5, v4, v8
	v_mov_b32_e32 v6, 0
	v_lshlrev_b64 v[5:6], 2, v[5:6]
	s_waitcnt lgkmcnt(0)
	v_mov_b32_e32 v7, s13
	v_add_co_u32_e64 v5, s[6:7], s12, v5
	v_addc_co_u32_e64 v6, s[6:7], v7, v6, s[6:7]
	global_store_dword v[5:6], v15, off
	s_or_b64 exec, exec, s[8:9]
	s_and_saveexec_b64 s[8:9], s[2:3]
	s_cbranch_execz .LBB132_31
.LBB132_69:
	v_add_u32_e32 v5, v4, v2
	v_mov_b32_e32 v6, 0
	v_lshlrev_b64 v[5:6], 2, v[5:6]
	s_waitcnt lgkmcnt(0)
	v_mov_b32_e32 v7, s13
	v_add_co_u32_e64 v5, s[6:7], s12, v5
	v_addc_co_u32_e64 v6, s[6:7], v7, v6, s[6:7]
	global_store_dword v[5:6], v14, off
	s_or_b64 exec, exec, s[8:9]
	s_and_saveexec_b64 s[8:9], s[4:5]
	s_cbranch_execnz .LBB132_32
	s_branch .LBB132_33
.LBB132_70:
	v_add_u32_e32 v5, v4, v0
	v_mov_b32_e32 v6, 0
	v_lshlrev_b64 v[5:6], 2, v[5:6]
	s_waitcnt lgkmcnt(0)
	v_mov_b32_e32 v7, s13
	v_add_co_u32_e64 v5, s[6:7], s12, v5
	v_addc_co_u32_e64 v6, s[6:7], v7, v6, s[6:7]
	global_store_dword v[5:6], v12, off
	s_or_b64 exec, exec, s[8:9]
	s_and_saveexec_b64 s[8:9], s[0:1]
	s_cbranch_execz .LBB132_36
.LBB132_71:
	v_add_u32_e32 v5, v4, v8
	v_mov_b32_e32 v6, 0
	v_lshlrev_b64 v[5:6], 2, v[5:6]
	s_waitcnt lgkmcnt(0)
	v_mov_b32_e32 v7, s13
	v_add_co_u32_e64 v5, s[6:7], s12, v5
	v_addc_co_u32_e64 v6, s[6:7], v7, v6, s[6:7]
	global_store_dword v[5:6], v11, off
	s_or_b64 exec, exec, s[8:9]
	s_and_saveexec_b64 s[8:9], s[2:3]
	s_cbranch_execz .LBB132_37
.LBB132_72:
	v_add_u32_e32 v5, v4, v2
	v_mov_b32_e32 v6, 0
	v_lshlrev_b64 v[5:6], 2, v[5:6]
	s_waitcnt lgkmcnt(0)
	v_mov_b32_e32 v7, s13
	v_add_co_u32_e64 v5, s[6:7], s12, v5
	v_addc_co_u32_e64 v6, s[6:7], v7, v6, s[6:7]
	global_store_dword v[5:6], v10, off
	s_or_b64 exec, exec, s[8:9]
	s_and_saveexec_b64 s[8:9], s[4:5]
	s_cbranch_execnz .LBB132_38
	s_branch .LBB132_39
.LBB132_73:
	v_add_u32_e32 v5, v4, v0
	v_mov_b32_e32 v6, 0
	v_lshlrev_b64 v[5:6], 2, v[5:6]
	s_waitcnt lgkmcnt(0)
	v_mov_b32_e32 v7, s13
	v_add_co_u32_e64 v5, s[6:7], s12, v5
	v_addc_co_u32_e64 v6, s[6:7], v7, v6, s[6:7]
	global_store_dword v[5:6], v102, off
	s_or_b64 exec, exec, s[8:9]
	s_and_saveexec_b64 s[8:9], s[0:1]
	s_cbranch_execz .LBB132_42
.LBB132_74:
	v_add_u32_e32 v5, v4, v8
	v_mov_b32_e32 v6, 0
	v_lshlrev_b64 v[5:6], 2, v[5:6]
	s_waitcnt lgkmcnt(0)
	v_mov_b32_e32 v7, s13
	v_add_co_u32_e64 v5, s[6:7], s12, v5
	v_addc_co_u32_e64 v6, s[6:7], v7, v6, s[6:7]
	global_store_dword v[5:6], v108, off
	s_or_b64 exec, exec, s[8:9]
	s_and_saveexec_b64 s[8:9], s[2:3]
	s_cbranch_execz .LBB132_43
.LBB132_75:
	v_add_u32_e32 v5, v4, v2
	v_mov_b32_e32 v6, 0
	v_lshlrev_b64 v[5:6], 2, v[5:6]
	s_waitcnt lgkmcnt(0)
	v_mov_b32_e32 v7, s13
	v_add_co_u32_e64 v5, s[6:7], s12, v5
	v_addc_co_u32_e64 v6, s[6:7], v7, v6, s[6:7]
	global_store_dword v[5:6], v106, off
	s_or_b64 exec, exec, s[8:9]
	s_and_saveexec_b64 s[8:9], s[4:5]
	s_cbranch_execnz .LBB132_44
	s_branch .LBB132_45
.LBB132_76:
	v_add_u32_e32 v5, v4, v0
	v_mov_b32_e32 v6, 0
	v_lshlrev_b64 v[5:6], 2, v[5:6]
	s_waitcnt lgkmcnt(0)
	v_mov_b32_e32 v7, s13
	v_add_co_u32_e64 v5, s[6:7], s12, v5
	v_addc_co_u32_e64 v6, s[6:7], v7, v6, s[6:7]
	global_store_dword v[5:6], v98, off
	s_or_b64 exec, exec, s[8:9]
	s_and_saveexec_b64 s[8:9], s[0:1]
	s_cbranch_execz .LBB132_48
.LBB132_77:
	v_add_u32_e32 v5, v4, v8
	v_mov_b32_e32 v6, 0
	v_lshlrev_b64 v[5:6], 2, v[5:6]
	s_waitcnt lgkmcnt(0)
	v_mov_b32_e32 v7, s13
	v_add_co_u32_e64 v5, s[6:7], s12, v5
	v_addc_co_u32_e64 v6, s[6:7], v7, v6, s[6:7]
	global_store_dword v[5:6], v97, off
	s_or_b64 exec, exec, s[8:9]
	s_and_saveexec_b64 s[8:9], s[2:3]
	s_cbranch_execz .LBB132_49
.LBB132_78:
	v_add_u32_e32 v5, v4, v2
	v_mov_b32_e32 v6, 0
	v_lshlrev_b64 v[5:6], 2, v[5:6]
	s_waitcnt lgkmcnt(0)
	v_mov_b32_e32 v7, s13
	v_add_co_u32_e64 v5, s[6:7], s12, v5
	v_addc_co_u32_e64 v6, s[6:7], v7, v6, s[6:7]
	global_store_dword v[5:6], v96, off
	s_or_b64 exec, exec, s[8:9]
	s_and_saveexec_b64 s[8:9], s[4:5]
	s_cbranch_execnz .LBB132_50
	s_branch .LBB132_51
.LBB132_79:
	v_add_u32_e32 v5, v4, v0
	v_mov_b32_e32 v6, 0
	v_lshlrev_b64 v[5:6], 2, v[5:6]
	s_waitcnt lgkmcnt(0)
	v_mov_b32_e32 v7, s13
	v_add_co_u32_e64 v5, s[6:7], s12, v5
	v_addc_co_u32_e64 v6, s[6:7], v7, v6, s[6:7]
	global_store_dword v[5:6], v91, off
	s_or_b64 exec, exec, s[8:9]
	s_and_saveexec_b64 s[8:9], s[0:1]
	s_cbranch_execz .LBB132_54
.LBB132_80:
	v_add_u32_e32 v5, v4, v8
	v_mov_b32_e32 v6, 0
	v_lshlrev_b64 v[5:6], 2, v[5:6]
	s_waitcnt lgkmcnt(0)
	v_mov_b32_e32 v7, s13
	v_add_co_u32_e64 v5, s[6:7], s12, v5
	v_addc_co_u32_e64 v6, s[6:7], v7, v6, s[6:7]
	global_store_dword v[5:6], v87, off
	s_or_b64 exec, exec, s[8:9]
	s_and_saveexec_b64 s[8:9], s[2:3]
	s_cbranch_execz .LBB132_55
.LBB132_81:
	v_add_u32_e32 v5, v4, v2
	v_mov_b32_e32 v6, 0
	v_lshlrev_b64 v[5:6], 2, v[5:6]
	s_waitcnt lgkmcnt(0)
	v_mov_b32_e32 v7, s13
	v_add_co_u32_e64 v5, s[6:7], s12, v5
	v_addc_co_u32_e64 v6, s[6:7], v7, v6, s[6:7]
	global_store_dword v[5:6], v84, off
	s_or_b64 exec, exec, s[8:9]
	s_and_saveexec_b64 s[8:9], s[4:5]
	s_cbranch_execnz .LBB132_56
	s_branch .LBB132_57
.LBB132_82:
	v_add_u32_e32 v5, v4, v0
	v_mov_b32_e32 v6, 0
	v_lshlrev_b64 v[5:6], 2, v[5:6]
	s_waitcnt lgkmcnt(0)
	v_mov_b32_e32 v0, s13
	v_add_co_u32_e32 v5, vcc, s12, v5
	v_addc_co_u32_e32 v6, vcc, v0, v6, vcc
	global_store_dword v[5:6], v72, off
	s_or_b64 exec, exec, s[6:7]
	s_and_saveexec_b64 s[6:7], s[0:1]
	s_cbranch_execz .LBB132_60
.LBB132_83:
	v_add_u32_e32 v0, v4, v8
	v_mov_b32_e32 v1, 0
	v_lshlrev_b64 v[0:1], 2, v[0:1]
	s_waitcnt lgkmcnt(0)
	v_mov_b32_e32 v5, s13
	v_add_co_u32_e32 v0, vcc, s12, v0
	v_addc_co_u32_e32 v1, vcc, v5, v1, vcc
	global_store_dword v[0:1], v67, off
	s_or_b64 exec, exec, s[6:7]
	s_and_saveexec_b64 s[0:1], s[2:3]
	s_cbranch_execz .LBB132_61
.LBB132_84:
	v_add_u32_e32 v0, v4, v2
	v_mov_b32_e32 v1, 0
	v_lshlrev_b64 v[0:1], 2, v[0:1]
	s_waitcnt lgkmcnt(0)
	v_mov_b32_e32 v2, s13
	v_add_co_u32_e32 v0, vcc, s12, v0
	v_addc_co_u32_e32 v1, vcc, v2, v1, vcc
	global_store_dword v[0:1], v62, off
	s_or_b64 exec, exec, s[0:1]
	s_and_b64 exec, exec, s[4:5]
	s_cbranch_execnz .LBB132_62
	s_branch .LBB132_63
	.section	.rodata,"a",@progbits
	.p2align	6, 0x0
	.amdhsa_kernel _ZL12mul_mat_q4_KIfLb1EEvPKvS1_PT_iiiii
		.amdhsa_group_segment_fixed_size 28752
		.amdhsa_private_segment_fixed_size 564
		.amdhsa_kernarg_size 44
		.amdhsa_user_sgpr_count 6
		.amdhsa_user_sgpr_private_segment_buffer 1
		.amdhsa_user_sgpr_dispatch_ptr 0
		.amdhsa_user_sgpr_queue_ptr 0
		.amdhsa_user_sgpr_kernarg_segment_ptr 1
		.amdhsa_user_sgpr_dispatch_id 0
		.amdhsa_user_sgpr_flat_scratch_init 0
		.amdhsa_user_sgpr_private_segment_size 0
		.amdhsa_uses_dynamic_stack 0
		.amdhsa_system_sgpr_private_segment_wavefront_offset 1
		.amdhsa_system_sgpr_workgroup_id_x 1
		.amdhsa_system_sgpr_workgroup_id_y 1
		.amdhsa_system_sgpr_workgroup_id_z 0
		.amdhsa_system_sgpr_workgroup_info 0
		.amdhsa_system_vgpr_workitem_id 1
		.amdhsa_next_free_vgpr 128
		.amdhsa_next_free_sgpr 98
		.amdhsa_reserve_vcc 1
		.amdhsa_reserve_flat_scratch 0
		.amdhsa_float_round_mode_32 0
		.amdhsa_float_round_mode_16_64 0
		.amdhsa_float_denorm_mode_32 3
		.amdhsa_float_denorm_mode_16_64 3
		.amdhsa_dx10_clamp 1
		.amdhsa_ieee_mode 1
		.amdhsa_fp16_overflow 0
		.amdhsa_exception_fp_ieee_invalid_op 0
		.amdhsa_exception_fp_denorm_src 0
		.amdhsa_exception_fp_ieee_div_zero 0
		.amdhsa_exception_fp_ieee_overflow 0
		.amdhsa_exception_fp_ieee_underflow 0
		.amdhsa_exception_fp_ieee_inexact 0
		.amdhsa_exception_int_div_zero 0
	.end_amdhsa_kernel
	.section	.text._ZL12mul_mat_q4_KIfLb1EEvPKvS1_PT_iiiii,"axG",@progbits,_ZL12mul_mat_q4_KIfLb1EEvPKvS1_PT_iiiii,comdat
.Lfunc_end132:
	.size	_ZL12mul_mat_q4_KIfLb1EEvPKvS1_PT_iiiii, .Lfunc_end132-_ZL12mul_mat_q4_KIfLb1EEvPKvS1_PT_iiiii
                                        ; -- End function
	.set _ZL12mul_mat_q4_KIfLb1EEvPKvS1_PT_iiiii.num_vgpr, 128
	.set _ZL12mul_mat_q4_KIfLb1EEvPKvS1_PT_iiiii.num_agpr, 0
	.set _ZL12mul_mat_q4_KIfLb1EEvPKvS1_PT_iiiii.numbered_sgpr, 24
	.set _ZL12mul_mat_q4_KIfLb1EEvPKvS1_PT_iiiii.num_named_barrier, 0
	.set _ZL12mul_mat_q4_KIfLb1EEvPKvS1_PT_iiiii.private_seg_size, 564
	.set _ZL12mul_mat_q4_KIfLb1EEvPKvS1_PT_iiiii.uses_vcc, 1
	.set _ZL12mul_mat_q4_KIfLb1EEvPKvS1_PT_iiiii.uses_flat_scratch, 0
	.set _ZL12mul_mat_q4_KIfLb1EEvPKvS1_PT_iiiii.has_dyn_sized_stack, 0
	.set _ZL12mul_mat_q4_KIfLb1EEvPKvS1_PT_iiiii.has_recursion, 0
	.set _ZL12mul_mat_q4_KIfLb1EEvPKvS1_PT_iiiii.has_indirect_call, 0
	.section	.AMDGPU.csdata,"",@progbits
; Kernel info:
; codeLenInByte = 25576
; TotalNumSgprs: 28
; NumVgprs: 128
; ScratchSize: 564
; MemoryBound: 0
; FloatMode: 240
; IeeeMode: 1
; LDSByteSize: 28752 bytes/workgroup (compile time only)
; SGPRBlocks: 12
; VGPRBlocks: 31
; NumSGPRsForWavesPerEU: 102
; NumVGPRsForWavesPerEU: 128
; Occupancy: 2
; WaveLimiterHint : 0
; COMPUTE_PGM_RSRC2:SCRATCH_EN: 1
; COMPUTE_PGM_RSRC2:USER_SGPR: 6
; COMPUTE_PGM_RSRC2:TRAP_HANDLER: 0
; COMPUTE_PGM_RSRC2:TGID_X_EN: 1
; COMPUTE_PGM_RSRC2:TGID_Y_EN: 1
; COMPUTE_PGM_RSRC2:TGID_Z_EN: 0
; COMPUTE_PGM_RSRC2:TIDIG_COMP_CNT: 1
	.section	.text._ZL12mul_mat_q5_KIfLb0EEvPKvS1_PT_iiiii,"axG",@progbits,_ZL12mul_mat_q5_KIfLb0EEvPKvS1_PT_iiiii,comdat
	.globl	_ZL12mul_mat_q5_KIfLb0EEvPKvS1_PT_iiiii ; -- Begin function _ZL12mul_mat_q5_KIfLb0EEvPKvS1_PT_iiiii
	.p2align	8
	.type	_ZL12mul_mat_q5_KIfLb0EEvPKvS1_PT_iiiii,@function
_ZL12mul_mat_q5_KIfLb0EEvPKvS1_PT_iiiii: ; @_ZL12mul_mat_q5_KIfLb0EEvPKvS1_PT_iiiii
; %bb.0:
	s_load_dword s14, s[4:5], 0x18
	s_load_dwordx4 s[8:11], s[4:5], 0x20
	s_waitcnt lgkmcnt(0)
	s_lshl_b32 s11, s7, 6
	v_add_u32_e32 v88, s11, v1
	s_cmpk_gt_i32 s14, 0xff
	s_cbranch_scc1 .LBB133_2
; %bb.1:
	v_add_u32_e32 v2, s11, v1
	s_mov_b64 s[0:1], 0
	s_branch .LBB133_3
.LBB133_2:
	s_mov_b64 s[0:1], -1
                                        ; implicit-def: $vgpr2
.LBB133_3:
	s_load_dwordx2 s[12:13], s[4:5], 0x10
	s_lshl_b32 s6, s6, 7
	v_mov_b32_e32 v69, 0
	s_andn2_b64 vcc, exec, s[0:1]
	v_mov_b32_e32 v73, 0
	v_mov_b32_e32 v77, 0
	;; [unrolled: 1-line block ×31, first 2 shown]
	s_cbranch_vccnz .LBB133_11
; %bb.4:
	s_load_dwordx4 s[0:3], s[4:5], 0x0
	s_ashr_i32 s4, s14, 31
	s_lshr_b32 s4, s4, 24
	s_add_i32 s14, s14, s4
	s_ashr_i32 s5, s9, 31
	s_ashr_i32 s4, s14, 8
	s_lshr_b32 s5, s5, 27
	s_add_i32 s5, s9, s5
	s_mul_i32 s7, s4, s6
	s_ashr_i32 s15, s5, 5
	s_mul_hi_i32 s9, s7, 0xb0
	s_mulk_i32 s7, 0xb0
	v_and_b32_e32 v2, 7, v0
	s_waitcnt lgkmcnt(0)
	s_add_u32 s7, s0, s7
	v_lshlrev_b32_e32 v5, 3, v0
	v_lshlrev_b32_e32 v2, 2, v2
	s_movk_i32 s0, 0xc0
	s_addc_u32 s9, s1, s9
	v_mul_u32_u24_e32 v4, 0x41, v1
	v_and_or_b32 v2, v5, s0, v2
	s_lshl_b32 s0, s4, 3
	v_lshl_add_u32 v103, v4, 2, v2
	v_mov_b32_e32 v2, s0
	v_mad_i32_i24 v105, s4, v1, v2
	v_add_u32_e32 v106, s0, v105
	v_add_u32_e32 v107, s0, v106
	;; [unrolled: 1-line block ×4, first 2 shown]
	v_lshlrev_b32_e32 v121, 5, v1
	v_add_u32_e32 v110, s0, v109
	v_add_u32_e32 v2, v121, v0
	;; [unrolled: 1-line block ×3, first 2 shown]
	v_and_b32_e32 v4, 0x7f, v2
	v_lshrrev_b32_e32 v2, 3, v2
	v_add_u32_e32 v113, s0, v112
	v_mul_i32_i24_e32 v123, s4, v4
	v_and_b32_e32 v2, 12, v2
	v_lshlrev_b32_e32 v4, 2, v4
	s_mov_b32 s16, 0xae40
	v_add_u32_e32 v114, s0, v113
	v_add3_u32 v124, v4, v2, s16
	v_and_b32_e32 v2, 3, v0
	v_add_u32_e32 v115, s0, v114
	v_add_u32_e32 v5, 0xfe, v2
	v_add_u32_e32 v116, s0, v115
	v_and_b32_e32 v5, 0xff, v5
	v_cmp_gt_u32_e32 vcc, 2, v2
	v_lshrrev_b32_e32 v3, 2, v0
	v_add_u32_e32 v117, s0, v116
	v_lshlrev_b32_e32 v4, 3, v1
	v_cndmask_b32_e32 v5, v5, v2, vcc
	v_cmp_ne_u32_e32 vcc, 0, v2
	v_lshlrev_b32_e32 v97, 2, v0
	v_and_b32_e32 v100, 6, v3
	v_add_u32_e32 v118, s0, v117
	v_add_u32_e32 v8, v3, v4
	v_addc_co_u32_e32 v23, vcc, 0, v5, vcc
	v_add_u16_e32 v3, v3, v4
	v_add_u32_e32 v119, s0, v118
	v_and_b32_e32 v6, 4, v97
	v_cmp_lt_u32_e32 vcc, 1, v2
	v_lshlrev_b32_e32 v126, 1, v5
	v_and_b32_e32 v5, 0x7f, v8
	v_lshlrev_b32_e32 v12, 2, v2
	v_lshrrev_b16_e32 v3, 1, v3
	v_add_u32_e32 v120, s0, v119
	v_cndmask_b32_e32 v125, 0, v6, vcc
	v_lshl_or_b32 v6, v5, 4, v12
	v_and_b32_e32 v3, 60, v3
	s_mov_b32 s0, 0xa200
	v_add3_u32 v129, v6, v3, s0
	v_xor_b32_e32 v3, 64, v5
	v_mul_i32_i24_e32 v130, s4, v3
	v_lshl_or_b32 v4, v3, 4, v12
	v_lshrrev_b32_e32 v3, 1, v3
	v_and_b32_e32 v3, 60, v3
	v_add3_u32 v131, v4, v3, s0
	s_add_i32 s0, s8, -1
	v_mul_i32_i24_e32 v127, s4, v5
	v_cvt_f64_i32_e32 v[4:5], s0
	v_cvt_f64_u32_e32 v[6:7], v88
	v_and_b32_e32 v3, 31, v0
	v_mov_b32_e32 v9, 0x8200
	v_and_b32_e32 v13, 63, v8
	v_add_u32_e32 v8, 8, v88
	v_lshl_or_b32 v25, v3, 2, v9
	v_cvt_f64_u32_e32 v[8:9], v8
	v_add_u32_e32 v10, 16, v88
	v_min_f64 v[6:7], v[6:7], v[4:5]
	v_cvt_f64_u32_e32 v[10:11], v10
	v_min_f64 v[8:9], v[8:9], v[4:5]
	v_or_b32_e32 v3, s11, v13
	v_min_i32_e32 v3, s0, v3
	v_min_f64 v[10:11], v[10:11], v[4:5]
	v_mad_u64_u32 v[2:3], s[0:1], v3, s15, v[2:3]
	v_cvt_i32_f64_e32 v6, v[6:7]
	v_lshl_or_b32 v3, v13, 4, v12
	v_add_u32_e32 v134, 0xaa40, v3
	v_cvt_i32_f64_e32 v3, v[8:9]
	v_mul_lo_u32 v136, s15, v6
	v_cvt_i32_f64_e32 v6, v[10:11]
	v_lshrrev_b32_e32 v96, 5, v0
	v_mul_lo_u32 v137, s15, v3
	v_add_u32_e32 v3, 24, v88
	v_mul_lo_u32 v138, s15, v6
	v_cvt_f64_u32_e32 v[6:7], v3
	v_add_u32_e32 v3, 32, v88
	v_cvt_f64_u32_e32 v[8:9], v3
	v_add_u32_e32 v3, 40, v88
	v_min_f64 v[6:7], v[6:7], v[4:5]
	v_cvt_f64_u32_e32 v[10:11], v3
	v_add_u32_e32 v3, 48, v88
	v_cvt_f64_u32_e32 v[12:13], v3
	v_add_u32_e32 v3, 56, v88
	v_cvt_f64_u32_e32 v[14:15], v3
	v_min_f64 v[8:9], v[8:9], v[4:5]
	v_min_f64 v[10:11], v[10:11], v[4:5]
	v_cvt_i32_f64_e32 v29, v[6:7]
	v_min_f64 v[6:7], v[12:13], v[4:5]
	v_min_f64 v[3:4], v[14:15], v[4:5]
	s_movk_i32 s0, 0x104
	v_mul_lo_u32 v139, s15, v29
	v_and_b32_e32 v99, 28, v97
	v_cvt_i32_f64_e32 v8, v[8:9]
	v_cvt_i32_f64_e32 v9, v[10:11]
	v_add_u32_e32 v16, 8, v1
	v_cvt_i32_f64_e32 v6, v[6:7]
	v_cvt_i32_f64_e32 v3, v[3:4]
	v_mul_lo_u32 v140, s15, v8
	v_mul_lo_u32 v141, s15, v9
	;; [unrolled: 1-line block ×4, first 2 shown]
	v_lshlrev_b32_e32 v3, 2, v96
	v_add3_u32 v144, v97, v3, s16
	v_add_u32_e32 v3, 32, v0
	v_lshrrev_b32_e32 v145, 3, v3
	v_lshlrev_b32_e32 v10, 2, v3
	v_and_b32_e32 v3, 60, v145
	v_add3_u32 v146, v97, v3, s16
	v_add_u32_e32 v3, 64, v0
	v_lshrrev_b32_e32 v147, 3, v3
	v_lshlrev_b32_e32 v11, 2, v3
	v_and_b32_e32 v3, 60, v147
	;; [unrolled: 5-line block ×3, first 2 shown]
	v_add3_u32 v150, v97, v3, s16
	v_mov_b32_e32 v3, 0x2080
	v_mad_u32_u24 v159, v0, s0, v3
	v_mov_b32_e32 v3, 0x4100
	v_add_u32_e32 v17, 16, v1
	v_add_u32_e32 v18, 24, v1
	v_add_u32_e32 v19, 32, v1
	v_add_u32_e32 v20, 40, v1
	v_add_u32_e32 v21, 48, v1
	v_add_u32_e32 v22, 56, v1
	v_mad_u32_u24 v160, v0, s0, v3
	v_mov_b32_e32 v3, 0x6180
	v_cndmask_b32_e64 v24, 0, 1, vcc
	v_lshlrev_b32_e32 v26, 7, v1
	v_lshlrev_b32_e32 v27, 7, v16
	;; [unrolled: 1-line block ×8, first 2 shown]
	v_mad_u32_u24 v161, v0, s0, v3
	v_mov_b32_e32 v4, s3
	v_add_co_u32_e32 v3, vcc, s2, v99
	s_movk_i32 s5, 0xb0
	s_mov_b32 s14, 0
	v_mov_b32_e32 v90, 0
	v_and_b32_e32 v98, 0x7c, v97
	v_or_b32_e32 v101, 1, v100
	v_mul_i32_i24_e32 v102, s4, v1
	v_lshrrev_b32_e32 v135, 3, v0
	v_lshlrev_b32_e32 v151, 5, v16
	v_lshlrev_b32_e32 v152, 5, v17
	;; [unrolled: 1-line block ×7, first 2 shown]
	v_mul_u32_u24_e32 v158, 0x104, v0
	v_addc_co_u32_e32 v4, vcc, 0, v4, vcc
	s_mov_b32 s15, 0x10101010
	v_lshlrev_b32_e32 v162, 2, v23
	v_lshlrev_b32_e32 v163, 2, v24
	s_mov_b32 s16, 0x30303030
	v_add_u32_e32 v164, v25, v26
	v_add_u32_e32 v165, v25, v27
	;; [unrolled: 1-line block ×23, first 2 shown]
	v_lshlrev_b32_e32 v187, 2, v10
	v_lshlrev_b32_e32 v188, 2, v11
	v_lshlrev_b32_e32 v189, 2, v12
	v_mov_b32_e32 v122, 0
	v_mov_b32_e32 v94, 0
	;; [unrolled: 1-line block ×31, first 2 shown]
.LBB133_5:                              ; =>This Loop Header: Depth=1
                                        ;     Child Loop BB133_6 Depth 2
                                        ;     Child Loop BB133_8 Depth 2
	s_mul_i32 s0, s14, 0xb0
	s_mul_hi_u32 s1, s14, 0xb0
	s_add_u32 s0, s7, s0
	s_addc_u32 s1, s9, s1
	v_mov_b32_e32 v6, s1
	v_mov_b32_e32 v5, s0
	v_mad_u64_u32 v[7:8], s[0:1], v96, s5, v[5:6]
	s_lshl_b32 s17, s14, 3
	v_add_u32_e32 v195, s17, v2
	v_mad_u64_u32 v[9:10], s[0:1], v102, s5, v[7:8]
	v_mad_u64_u32 v[13:14], s[0:1], v105, s5, v[7:8]
	v_add_co_u32_e32 v11, vcc, v9, v98
	v_addc_co_u32_e32 v12, vcc, 0, v10, vcc
	v_add_co_u32_e32 v9, vcc, v9, v99
	v_addc_co_u32_e32 v10, vcc, 0, v10, vcc
	;; [unrolled: 2-line block ×3, first 2 shown]
	global_load_dword v19, v[11:12], off offset:48
	global_load_dword v20, v[9:10], off offset:16
	;; [unrolled: 1-line block ×3, first 2 shown]
	v_add_co_u32_e32 v9, vcc, v13, v99
	v_addc_co_u32_e32 v10, vcc, 0, v14, vcc
	global_load_dword v22, v[9:10], off offset:16
	v_mad_u64_u32 v[9:10], s[0:1], v106, s5, v[7:8]
	v_mad_u64_u32 v[11:12], s[0:1], v107, s5, v[7:8]
	v_add_co_u32_e32 v15, vcc, v9, v98
	v_addc_co_u32_e32 v16, vcc, 0, v10, vcc
	v_add_co_u32_e32 v9, vcc, v9, v99
	v_addc_co_u32_e32 v10, vcc, 0, v10, vcc
	global_load_dword v23, v[15:16], off offset:48
	global_load_dword v24, v[9:10], off offset:16
	v_add_co_u32_e32 v9, vcc, v11, v98
	v_addc_co_u32_e32 v10, vcc, 0, v12, vcc
	global_load_dword v25, v[9:10], off offset:48
	v_add_co_u32_e32 v9, vcc, v11, v99
	v_addc_co_u32_e32 v10, vcc, 0, v12, vcc
	global_load_dword v26, v[9:10], off offset:16
	v_mad_u64_u32 v[13:14], s[0:1], v108, s5, v[7:8]
	v_mad_u64_u32 v[9:10], s[0:1], v109, s5, v[7:8]
	v_add_co_u32_e32 v15, vcc, v13, v98
	v_addc_co_u32_e32 v16, vcc, 0, v14, vcc
	v_add_co_u32_e32 v13, vcc, v13, v99
	v_addc_co_u32_e32 v14, vcc, 0, v14, vcc
	v_mad_u64_u32 v[11:12], s[0:1], v110, s5, v[7:8]
	v_add_co_u32_e32 v17, vcc, v9, v98
	global_load_dword v15, v[15:16], off offset:48
	s_nop 0
	global_load_dword v13, v[13:14], off offset:16
	v_addc_co_u32_e32 v18, vcc, 0, v10, vcc
	v_add_co_u32_e32 v9, vcc, v9, v99
	v_addc_co_u32_e32 v10, vcc, 0, v10, vcc
	s_mov_b32 s18, 0
	s_waitcnt vmcnt(9)
	v_and_b32_e32 v14, 0xf0f0f0f, v19
	v_lshrrev_b32_e32 v16, 4, v19
	s_waitcnt vmcnt(8)
	v_ashrrev_i32_e32 v19, v100, v20
	v_ashrrev_i32_e32 v20, v101, v20
	v_and_b32_e32 v16, 0xf0f0f0f, v16
	v_lshlrev_b32_e32 v19, 4, v19
	v_lshlrev_b32_e32 v20, 4, v20
	v_and_or_b32 v14, v19, s15, v14
	v_and_or_b32 v16, v20, s15, v16
	ds_write2_b32 v103, v14, v16 offset1:8
	global_load_dword v14, v[17:18], off offset:48
	global_load_dword v16, v[9:10], off offset:16
	v_add_co_u32_e32 v9, vcc, v11, v98
	v_addc_co_u32_e32 v10, vcc, 0, v12, vcc
	v_add_co_u32_e32 v11, vcc, v11, v99
	v_addc_co_u32_e32 v12, vcc, 0, v12, vcc
	global_load_dword v17, v[9:10], off offset:48
	global_load_dword v18, v[11:12], off offset:16
	v_mad_u64_u32 v[9:10], s[0:1], v112, s5, v[7:8]
	s_waitcnt vmcnt(11)
	v_and_b32_e32 v27, 0xf0f0f0f, v21
	v_lshrrev_b32_e32 v21, 4, v21
	v_add_co_u32_e32 v11, vcc, v9, v98
	v_addc_co_u32_e32 v12, vcc, 0, v10, vcc
	s_waitcnt vmcnt(10)
	v_ashrrev_i32_e32 v28, v100, v22
	v_ashrrev_i32_e32 v22, v101, v22
	v_add_co_u32_e32 v9, vcc, v9, v99
	v_and_b32_e32 v21, 0xf0f0f0f, v21
	v_lshlrev_b32_e32 v28, 4, v28
	v_lshlrev_b32_e32 v22, 4, v22
	v_addc_co_u32_e32 v10, vcc, 0, v10, vcc
	v_and_or_b32 v19, v28, s15, v27
	global_load_dword v20, v[11:12], off offset:48
	global_load_dword v27, v[9:10], off offset:16
	v_and_or_b32 v9, v22, s15, v21
	s_waitcnt vmcnt(11)
	v_lshrrev_b32_e32 v10, 4, v23
	s_waitcnt vmcnt(10)
	v_ashrrev_i32_e32 v11, v100, v24
	v_ashrrev_i32_e32 v12, v101, v24
	ds_write2_b32 v172, v19, v9 offset0:8 offset1:16
	v_and_b32_e32 v9, 0xf0f0f0f, v23
	v_and_b32_e32 v10, 0xf0f0f0f, v10
	v_lshlrev_b32_e32 v11, 4, v11
	v_lshlrev_b32_e32 v12, 4, v12
	v_and_or_b32 v9, v11, s15, v9
	v_and_or_b32 v10, v12, s15, v10
	ds_write2_b32 v173, v9, v10 offset0:16 offset1:24
	s_waitcnt vmcnt(9)
	v_lshrrev_b32_e32 v9, 4, v25
	v_and_b32_e32 v19, 0xf0f0f0f, v9
	s_waitcnt vmcnt(8)
	v_ashrrev_i32_e32 v9, v100, v26
	v_lshlrev_b32_e32 v12, 4, v9
	v_mad_u64_u32 v[9:10], s[0:1], v113, s5, v[7:8]
	v_and_b32_e32 v11, 0xf0f0f0f, v25
	v_and_or_b32 v22, v12, s15, v11
	v_add_co_u32_e32 v11, vcc, v9, v98
	v_addc_co_u32_e32 v12, vcc, 0, v10, vcc
	v_add_co_u32_e32 v9, vcc, v9, v99
	v_addc_co_u32_e32 v10, vcc, 0, v10, vcc
	global_load_dword v23, v[11:12], off offset:48
	global_load_dword v24, v[9:10], off offset:16
	v_mad_u64_u32 v[11:12], s[0:1], v114, s5, v[7:8]
	v_ashrrev_i32_e32 v21, v101, v26
	v_lshlrev_b32_e32 v21, 4, v21
	v_add_co_u32_e32 v9, vcc, v11, v98
	v_addc_co_u32_e32 v10, vcc, 0, v12, vcc
	global_load_dword v25, v[9:10], off offset:48
	v_add_co_u32_e32 v9, vcc, v11, v99
	v_addc_co_u32_e32 v10, vcc, 0, v12, vcc
	global_load_dword v26, v[9:10], off offset:16
	v_and_or_b32 v9, v21, s15, v19
	s_waitcnt vmcnt(11)
	v_lshrrev_b32_e32 v10, 4, v15
	s_waitcnt vmcnt(10)
	v_ashrrev_i32_e32 v11, v100, v13
	v_ashrrev_i32_e32 v12, v101, v13
	ds_write2_b32 v174, v22, v9 offset0:24 offset1:32
	v_and_b32_e32 v9, 0xf0f0f0f, v15
	v_and_b32_e32 v10, 0xf0f0f0f, v10
	v_lshlrev_b32_e32 v11, 4, v11
	v_lshlrev_b32_e32 v12, 4, v12
	v_and_or_b32 v9, v11, s15, v9
	v_and_or_b32 v10, v12, s15, v10
	ds_write2_b32 v175, v9, v10 offset0:32 offset1:40
	s_waitcnt vmcnt(9)
	v_lshrrev_b32_e32 v10, 4, v14
	s_waitcnt vmcnt(8)
	v_ashrrev_i32_e32 v11, v100, v16
	v_ashrrev_i32_e32 v12, v101, v16
	v_and_b32_e32 v9, 0xf0f0f0f, v14
	v_and_b32_e32 v10, 0xf0f0f0f, v10
	v_lshlrev_b32_e32 v11, 4, v11
	v_lshlrev_b32_e32 v12, 4, v12
	v_and_or_b32 v9, v11, s15, v9
	v_and_or_b32 v10, v12, s15, v10
	ds_write2_b32 v176, v9, v10 offset0:40 offset1:48
	s_waitcnt vmcnt(7)
	v_lshrrev_b32_e32 v10, 4, v17
	s_waitcnt vmcnt(6)
	v_ashrrev_i32_e32 v11, v100, v18
	v_ashrrev_i32_e32 v12, v101, v18
	v_and_b32_e32 v9, 0xf0f0f0f, v17
	v_and_b32_e32 v10, 0xf0f0f0f, v10
	v_lshlrev_b32_e32 v11, 4, v11
	v_lshlrev_b32_e32 v12, 4, v12
	v_and_or_b32 v9, v11, s15, v9
	v_and_or_b32 v10, v12, s15, v10
	ds_write2_b32 v177, v9, v10 offset0:48 offset1:56
	v_mad_u64_u32 v[17:18], s[0:1], v119, s5, v[7:8]
	s_waitcnt vmcnt(5)
	v_lshrrev_b32_e32 v10, 4, v20
	v_and_b32_e32 v11, 0xf0f0f0f, v10
	s_waitcnt vmcnt(4)
	v_ashrrev_i32_e32 v10, v100, v27
	v_and_b32_e32 v9, 0xf0f0f0f, v20
	v_lshlrev_b32_e32 v10, 4, v10
	v_and_or_b32 v13, v10, s15, v9
	v_mad_u64_u32 v[9:10], s[0:1], v115, s5, v[7:8]
	v_ashrrev_i32_e32 v12, v101, v27
	v_lshlrev_b32_e32 v12, 4, v12
	v_and_or_b32 v11, v12, s15, v11
	ds_write2_b32 v178, v13, v11 offset0:56 offset1:64
	v_add_co_u32_e32 v11, vcc, v9, v98
	v_mad_u64_u32 v[13:14], s[0:1], v116, s5, v[7:8]
	v_addc_co_u32_e32 v12, vcc, 0, v10, vcc
	v_add_co_u32_e32 v9, vcc, v9, v99
	v_addc_co_u32_e32 v10, vcc, 0, v10, vcc
	v_add_co_u32_e32 v15, vcc, v13, v98
	;; [unrolled: 2-line block ×3, first 2 shown]
	v_addc_co_u32_e32 v14, vcc, 0, v14, vcc
	global_load_dword v27, v[11:12], off offset:48
	global_load_dword v28, v[9:10], off offset:16
	;; [unrolled: 1-line block ×4, first 2 shown]
	s_waitcnt vmcnt(7)
	v_lshrrev_b32_e32 v10, 4, v23
	s_waitcnt vmcnt(6)
	v_ashrrev_i32_e32 v11, v100, v24
	v_ashrrev_i32_e32 v12, v101, v24
	v_and_b32_e32 v9, 0xf0f0f0f, v23
	v_and_b32_e32 v10, 0xf0f0f0f, v10
	v_lshlrev_b32_e32 v11, 4, v11
	v_lshlrev_b32_e32 v12, 4, v12
	v_and_or_b32 v9, v11, s15, v9
	v_and_or_b32 v10, v12, s15, v10
	ds_write2_b32 v179, v9, v10 offset0:64 offset1:72
	s_waitcnt vmcnt(5)
	v_lshrrev_b32_e32 v10, 4, v25
	v_and_b32_e32 v11, 0xf0f0f0f, v10
	v_and_b32_e32 v9, 0xf0f0f0f, v25
	s_waitcnt vmcnt(4)
	v_ashrrev_i32_e32 v10, v100, v26
	v_lshlrev_b32_e32 v10, 4, v10
	v_and_or_b32 v13, v10, s15, v9
	v_mad_u64_u32 v[9:10], s[0:1], v117, s5, v[7:8]
	v_ashrrev_i32_e32 v12, v101, v26
	v_lshlrev_b32_e32 v12, 4, v12
	v_and_or_b32 v11, v12, s15, v11
	ds_write2_b32 v180, v13, v11 offset0:72 offset1:80
	v_add_co_u32_e32 v11, vcc, v9, v98
	v_mad_u64_u32 v[13:14], s[0:1], v118, s5, v[7:8]
	v_addc_co_u32_e32 v12, vcc, 0, v10, vcc
	v_add_co_u32_e32 v9, vcc, v9, v99
	v_addc_co_u32_e32 v10, vcc, 0, v10, vcc
	v_add_co_u32_e32 v15, vcc, v13, v98
	;; [unrolled: 2-line block ×4, first 2 shown]
	v_mad_u64_u32 v[7:8], s[0:1], v120, s5, v[7:8]
	v_addc_co_u32_e32 v20, vcc, 0, v18, vcc
	v_add_co_u32_e32 v17, vcc, v17, v99
	v_addc_co_u32_e32 v18, vcc, 0, v18, vcc
	v_add_co_u32_e32 v21, vcc, v7, v98
	;; [unrolled: 2-line block ×3, first 2 shown]
	v_addc_co_u32_e32 v8, vcc, 0, v8, vcc
	global_load_dword v23, v[11:12], off offset:48
	global_load_dword v24, v[9:10], off offset:16
	;; [unrolled: 1-line block ×8, first 2 shown]
	v_mad_u64_u32 v[7:8], s[0:1], v127, s5, v[5:6]
	v_mad_u64_u32 v[9:10], s[0:1], v123, s5, v[5:6]
	v_add_co_u32_e32 v11, vcc, v7, v162
	v_mad_u64_u32 v[5:6], s[0:1], v130, s5, v[5:6]
	v_addc_co_u32_e32 v12, vcc, 0, v8, vcc
	v_add_co_u32_e32 v7, vcc, v7, v163
	v_addc_co_u32_e32 v8, vcc, 0, v8, vcc
	v_add_co_u32_e32 v13, vcc, v5, v162
	;; [unrolled: 2-line block ×3, first 2 shown]
	v_add_u32_e32 v19, s17, v135
	v_addc_co_u32_e32 v6, vcc, 0, v6, vcc
	global_load_dword v35, v[9:10], off
	global_load_dword v36, v[11:12], off offset:4
	global_load_dword v37, v[7:8], off offset:4
	;; [unrolled: 1-line block ×4, first 2 shown]
	v_add_u32_e32 v5, v19, v136
	v_mad_i64_i32 v[5:6], s[0:1], v5, 36, v[3:4]
	v_add_u32_e32 v7, v19, v137
	v_mad_i64_i32 v[7:8], s[0:1], v7, 36, v[3:4]
	;; [unrolled: 2-line block ×3, first 2 shown]
	v_add_u32_e32 v11, v19, v139
	v_add_u32_e32 v13, v19, v140
	v_mad_i64_i32 v[11:12], s[0:1], v11, 36, v[3:4]
	v_mad_i64_i32 v[13:14], s[0:1], v13, 36, v[3:4]
	v_add_u32_e32 v15, v19, v141
	v_add_u32_e32 v17, v19, v142
	;; [unrolled: 1-line block ×3, first 2 shown]
	v_mad_i64_i32 v[15:16], s[0:1], v15, 36, v[3:4]
	v_mad_i64_i32 v[17:18], s[0:1], v17, 36, v[3:4]
	;; [unrolled: 1-line block ×3, first 2 shown]
	v_mad_u64_u32 v[21:22], s[0:1], v195, 36, s[2:3]
	global_load_dword v5, v[5:6], off offset:4
	s_nop 0
	global_load_dword v6, v[7:8], off offset:4
	s_nop 0
	global_load_dword v7, v[9:10], off offset:4
	global_load_dword v8, v[11:12], off offset:4
	s_nop 0
	global_load_dword v9, v[13:14], off offset:4
	global_load_dword v10, v[15:16], off offset:4
	;; [unrolled: 1-line block ×4, first 2 shown]
	s_nop 0
	global_load_dword v13, v[21:22], off
	s_waitcnt vmcnt(25)
	v_lshrrev_b32_e32 v15, 4, v27
	s_waitcnt vmcnt(24)
	v_ashrrev_i32_e32 v16, v100, v28
	v_ashrrev_i32_e32 v17, v101, v28
	v_and_b32_e32 v14, 0xf0f0f0f, v27
	v_and_b32_e32 v15, 0xf0f0f0f, v15
	v_lshlrev_b32_e32 v16, 4, v16
	v_lshlrev_b32_e32 v17, 4, v17
	v_and_or_b32 v14, v16, s15, v14
	v_and_or_b32 v15, v17, s15, v15
	ds_write2_b32 v181, v14, v15 offset0:80 offset1:88
	s_waitcnt vmcnt(23)
	v_lshrrev_b32_e32 v15, 4, v29
	s_waitcnt vmcnt(22)
	v_ashrrev_i32_e32 v16, v100, v30
	v_ashrrev_i32_e32 v17, v101, v30
	v_and_b32_e32 v14, 0xf0f0f0f, v29
	v_and_b32_e32 v15, 0xf0f0f0f, v15
	v_lshlrev_b32_e32 v16, 4, v16
	v_lshlrev_b32_e32 v17, 4, v17
	v_and_or_b32 v14, v16, s15, v14
	v_and_or_b32 v15, v17, s15, v15
	ds_write2_b32 v182, v14, v15 offset0:88 offset1:96
	s_mov_b64 s[0:1], -1
	s_waitcnt vmcnt(21)
	v_lshrrev_b32_e32 v15, 4, v23
	s_waitcnt vmcnt(20)
	v_ashrrev_i32_e32 v16, v100, v24
	v_ashrrev_i32_e32 v17, v101, v24
	v_and_b32_e32 v14, 0xf0f0f0f, v23
	v_and_b32_e32 v15, 0xf0f0f0f, v15
	v_lshlrev_b32_e32 v16, 4, v16
	v_lshlrev_b32_e32 v17, 4, v17
	v_and_or_b32 v14, v16, s15, v14
	v_and_or_b32 v15, v17, s15, v15
	ds_write2_b32 v183, v14, v15 offset0:96 offset1:104
	s_waitcnt vmcnt(19)
	v_lshrrev_b32_e32 v15, 4, v25
	s_waitcnt vmcnt(18)
	v_ashrrev_i32_e32 v16, v100, v26
	v_ashrrev_i32_e32 v17, v101, v26
	v_and_b32_e32 v14, 0xf0f0f0f, v25
	v_and_b32_e32 v15, 0xf0f0f0f, v15
	v_lshlrev_b32_e32 v16, 4, v16
	v_lshlrev_b32_e32 v17, 4, v17
	v_and_or_b32 v14, v16, s15, v14
	v_and_or_b32 v15, v17, s15, v15
	ds_write2_b32 v184, v14, v15 offset0:104 offset1:112
	;; [unrolled: 12-line block ×4, first 2 shown]
	s_waitcnt vmcnt(13)
	ds_write_b32 v124, v35
	s_waitcnt vmcnt(12)
	v_ashrrev_i32_e32 v14, v125, v36
	v_and_b32_e32 v14, 0xf0f0f0f, v14
	s_waitcnt vmcnt(11)
	v_ashrrev_i32_e32 v15, v126, v37
	v_and_or_b32 v14, v15, s16, v14
	ds_write_b32 v129, v14
	s_waitcnt vmcnt(10)
	v_ashrrev_i32_e32 v14, v125, v38
	v_and_b32_e32 v14, 0xf0f0f0f, v14
	s_waitcnt vmcnt(9)
	v_ashrrev_i32_e32 v15, v126, v39
	v_and_or_b32 v14, v15, s16, v14
	ds_write_b32 v131, v14
	s_waitcnt vmcnt(8)
	ds_write_b32 v164, v5
	s_waitcnt vmcnt(7)
	;; [unrolled: 2-line block ×9, first 2 shown]
	ds_write_b32 v134, v13
	s_waitcnt lgkmcnt(0)
	s_barrier
	ds_read_b32 v5, v144
	ds_read_b32 v6, v146 offset:128
	ds_read_b32 v7, v148 offset:256
	;; [unrolled: 1-line block ×3, first 2 shown]
	s_waitcnt lgkmcnt(3)
	v_cvt_f32_f16_e32 v196, v5
	v_cvt_f32_f16_sdwa v197, v5 dst_sel:DWORD dst_unused:UNUSED_PAD src0_sel:WORD_1
	s_waitcnt lgkmcnt(2)
	v_cvt_f32_f16_sdwa v198, v6 dst_sel:DWORD dst_unused:UNUSED_PAD src0_sel:WORD_1
	v_cvt_f32_f16_e32 v199, v6
	s_waitcnt lgkmcnt(1)
	v_cvt_f32_f16_sdwa v200, v7 dst_sel:DWORD dst_unused:UNUSED_PAD src0_sel:WORD_1
	v_cvt_f32_f16_e32 v201, v7
	;; [unrolled: 3-line block ×3, first 2 shown]
.LBB133_6:                              ;   Parent Loop BB133_5 Depth=1
                                        ; =>  This Inner Loop Header: Depth=2
	s_lshl_b32 s19, s18, 1
	s_lshr_b32 s20, s18, 2
	v_or_b32_e32 v5, s19, v121
	s_lshl_b32 s18, s18, 3
	v_lshlrev_b32_e32 v6, 2, v5
	v_add_u32_e32 v19, s18, v158
	v_lshrrev_b32_e32 v21, 1, v5
	ds_read_b128 v[55:58], v6 offset:33280
	ds_read_b128 v[59:62], v6 offset:33296
	;; [unrolled: 1-line block ×4, first 2 shown]
	ds_read2_b32 v[5:6], v19 offset1:1
	s_add_i32 s20, s20, 0xa200
	v_lshlrev_b32_e32 v190, 2, v135
	v_lshlrev_b32_e32 v191, 2, v97
	v_add3_u32 v13, s20, v190, v191
	s_waitcnt lgkmcnt(0)
	v_dot4_i32_i8 v7, v5, v55, 0
	v_dot4_i32_i8 v9, v6, v56, v7
	ds_read2_b32 v[7:8], v19 offset0:2 offset1:3
	v_add_u32_e32 v35, s18, v159
	v_lshlrev_b32_e32 v192, 2, v145
	v_add3_u32 v29, s20, v192, v187
	v_add_u32_e32 v51, s18, v160
	s_waitcnt lgkmcnt(0)
	v_dot4_i32_i8 v9, v7, v57, v9
	v_dot4_i32_i8 v11, v8, v58, v9
	ds_read2_b32 v[9:10], v19 offset0:4 offset1:5
	v_lshlrev_b32_e32 v193, 2, v147
	v_add3_u32 v45, s20, v193, v188
	v_lshlrev_b32_e32 v194, 2, v149
	s_and_b64 vcc, exec, s[0:1]
	s_waitcnt lgkmcnt(0)
	v_dot4_i32_i8 v11, v9, v59, v11
	v_dot4_i32_i8 v14, v10, v60, v11
	ds_read2_b32 v[11:12], v19 offset0:6 offset1:7
	s_mov_b64 s[0:1], 0
	s_waitcnt lgkmcnt(0)
	v_dot4_i32_i8 v14, v11, v61, v14
	v_dot4_i32_i8 v22, v12, v62, v14
	ds_read_u16 v23, v13
	ds_read_u8 v14, v13 offset:8
	ds_read_u8 v24, v13 offset:9
	ds_read_b64 v[222:223], v21 offset:43584
	s_waitcnt lgkmcnt(3)
	v_and_b32_e32 v207, 0xff, v23
	s_waitcnt lgkmcnt(2)
	v_cvt_f32_ubyte0_e32 v204, v14
	ds_read2_b32 v[13:14], v19 offset0:8 offset1:9
	v_lshrrev_b16_e32 v205, 8, v23
	v_mul_lo_u32 v21, v22, v207
	s_waitcnt lgkmcnt(1)
	v_fma_mix_f32 v23, v222, v204, 0 op_sel:[1,0,0] op_sel_hi:[1,0,0]
	v_cvt_f32_ubyte0_e32 v206, v24
	s_waitcnt lgkmcnt(0)
	v_dot4_i32_i8 v15, v13, v63, 0
	v_dot4_i32_i8 v17, v14, v64, v15
	ds_read2_b32 v[15:16], v19 offset0:10 offset1:11
	v_cvt_f32_i32_e32 v21, v21
	s_waitcnt lgkmcnt(0)
	v_dot4_i32_i8 v17, v15, v65, v17
	v_dot4_i32_i8 v20, v16, v66, v17
	ds_read2_b32 v[17:18], v19 offset0:12 offset1:13
	v_fma_mix_f32 v21, v222, v21, 0 op_sel_hi:[1,0,0]
	s_waitcnt lgkmcnt(0)
	v_dot4_i32_i8 v20, v17, v218, v20
	v_dot4_i32_i8 v25, v18, v219, v20
	ds_read2_b32 v[19:20], v19 offset0:14 offset1:15
	s_waitcnt lgkmcnt(0)
	v_dot4_i32_i8 v25, v19, v220, v25
	v_dot4_i32_i8 v25, v20, v221, v25
	v_mul_lo_u32 v22, v25, v205
	v_cvt_f32_i32_e32 v22, v22
	v_fma_mix_f32 v21, v223, v22, v21 op_sel_hi:[1,0,0]
	v_fma_mix_f32 v22, v223, v206, v23 op_sel:[1,0,0] op_sel_hi:[1,0,0]
	v_mul_f32_e32 v22, v22, v197
	v_fma_f32 v21, v21, v196, -v22
	v_add_f32_e32 v90, v90, v21
	ds_read2_b32 v[21:22], v35 offset1:1
	s_waitcnt lgkmcnt(0)
	v_dot4_i32_i8 v23, v21, v55, 0
	v_dot4_i32_i8 v25, v22, v56, v23
	ds_read2_b32 v[23:24], v35 offset0:2 offset1:3
	s_waitcnt lgkmcnt(0)
	v_dot4_i32_i8 v25, v23, v57, v25
	v_dot4_i32_i8 v27, v24, v58, v25
	ds_read2_b32 v[25:26], v35 offset0:4 offset1:5
	;; [unrolled: 4-line block ×3, first 2 shown]
	ds_read_u16 v37, v29
	ds_read_u16 v38, v29 offset:8
	s_waitcnt lgkmcnt(2)
	v_dot4_i32_i8 v30, v27, v61, v30
	v_dot4_i32_i8 v30, v28, v62, v30
	s_waitcnt lgkmcnt(1)
	v_and_b32_e32 v208, 0xff, v37
	v_mul_lo_u32 v29, v30, v208
	v_lshrrev_b16_e32 v210, 8, v37
	s_waitcnt lgkmcnt(0)
	v_cvt_f32_ubyte0_e32 v209, v38
	v_cvt_f32_ubyte1_e32 v211, v38
	v_cvt_f32_i32_e32 v39, v29
	ds_read2_b32 v[29:30], v35 offset0:8 offset1:9
	v_fma_mix_f32 v38, v222, v209, 0 op_sel:[1,0,0] op_sel_hi:[1,0,0]
	v_fma_mix_f32 v38, v223, v211, v38 op_sel:[1,0,0] op_sel_hi:[1,0,0]
	v_fma_mix_f32 v39, v222, v39, 0 op_sel_hi:[1,0,0]
	v_mul_f32_e32 v38, v38, v198
	s_waitcnt lgkmcnt(0)
	v_dot4_i32_i8 v31, v29, v63, 0
	v_dot4_i32_i8 v33, v30, v64, v31
	ds_read2_b32 v[31:32], v35 offset0:10 offset1:11
	s_waitcnt lgkmcnt(0)
	v_dot4_i32_i8 v33, v31, v65, v33
	v_dot4_i32_i8 v36, v32, v66, v33
	ds_read2_b32 v[33:34], v35 offset0:12 offset1:13
	;; [unrolled: 4-line block ×3, first 2 shown]
	s_waitcnt lgkmcnt(0)
	v_dot4_i32_i8 v40, v35, v220, v40
	v_dot4_i32_i8 v40, v36, v221, v40
	v_mul_lo_u32 v37, v40, v210
	v_cvt_f32_i32_e32 v37, v37
	v_fma_mix_f32 v37, v223, v37, v39 op_sel_hi:[1,0,0]
	v_fma_f32 v37, v37, v199, -v38
	v_add_f32_e32 v133, v133, v37
	ds_read2_b32 v[37:38], v51 offset1:1
	s_waitcnt lgkmcnt(0)
	v_dot4_i32_i8 v39, v37, v55, 0
	v_dot4_i32_i8 v41, v38, v56, v39
	ds_read2_b32 v[39:40], v51 offset0:2 offset1:3
	s_waitcnt lgkmcnt(0)
	v_dot4_i32_i8 v41, v39, v57, v41
	v_dot4_i32_i8 v43, v40, v58, v41
	ds_read2_b32 v[41:42], v51 offset0:4 offset1:5
	s_waitcnt lgkmcnt(0)
	v_dot4_i32_i8 v43, v41, v59, v43
	v_dot4_i32_i8 v46, v42, v60, v43
	ds_read2_b32 v[43:44], v51 offset0:6 offset1:7
	ds_read_u16 v53, v45
	ds_read_u16 v54, v45 offset:8
	s_waitcnt lgkmcnt(2)
	v_dot4_i32_i8 v46, v43, v61, v46
	v_dot4_i32_i8 v46, v44, v62, v46
	s_waitcnt lgkmcnt(1)
	v_and_b32_e32 v212, 0xff, v53
	v_mul_lo_u32 v45, v46, v212
	v_lshrrev_b16_e32 v214, 8, v53
	s_waitcnt lgkmcnt(0)
	v_cvt_f32_ubyte0_e32 v213, v54
	v_cvt_f32_ubyte1_e32 v215, v54
	v_cvt_f32_i32_e32 v67, v45
	ds_read2_b32 v[45:46], v51 offset0:8 offset1:9
	v_fma_mix_f32 v54, v222, v213, 0 op_sel:[1,0,0] op_sel_hi:[1,0,0]
	v_fma_mix_f32 v54, v223, v215, v54 op_sel:[1,0,0] op_sel_hi:[1,0,0]
	v_fma_mix_f32 v67, v222, v67, 0 op_sel_hi:[1,0,0]
	v_mul_f32_e32 v54, v54, v200
	s_waitcnt lgkmcnt(0)
	v_dot4_i32_i8 v47, v45, v63, 0
	v_dot4_i32_i8 v49, v46, v64, v47
	ds_read2_b32 v[47:48], v51 offset0:10 offset1:11
	s_waitcnt lgkmcnt(0)
	v_dot4_i32_i8 v49, v47, v65, v49
	v_dot4_i32_i8 v52, v48, v66, v49
	ds_read2_b32 v[49:50], v51 offset0:12 offset1:13
	s_waitcnt lgkmcnt(0)
	v_dot4_i32_i8 v52, v49, v218, v52
	v_dot4_i32_i8 v68, v50, v219, v52
	ds_read2_b32 v[51:52], v51 offset0:14 offset1:15
	s_waitcnt lgkmcnt(0)
	v_dot4_i32_i8 v68, v51, v220, v68
	v_dot4_i32_i8 v68, v52, v221, v68
	v_mul_lo_u32 v53, v68, v214
	v_add_u32_e32 v68, s18, v161
	s_mov_b32 s18, 8
	v_cvt_f32_i32_e32 v53, v53
	v_fma_mix_f32 v53, v223, v53, v67 op_sel_hi:[1,0,0]
	v_fma_f32 v53, v53, v201, -v54
	v_add_f32_e32 v132, v132, v53
	ds_read2_b32 v[53:54], v68 offset1:1
	v_add3_u32 v67, s20, v194, v189
	s_waitcnt lgkmcnt(0)
	v_dot4_i32_i8 v55, v53, v55, 0
	v_dot4_i32_i8 v216, v54, v56, v55
	ds_read2_b32 v[55:56], v68 offset0:2 offset1:3
	s_waitcnt lgkmcnt(0)
	v_dot4_i32_i8 v57, v55, v57, v216
	v_dot4_i32_i8 v216, v56, v58, v57
	ds_read2_b32 v[57:58], v68 offset0:4 offset1:5
	;; [unrolled: 4-line block ×3, first 2 shown]
	ds_read_u16 v224, v67
	ds_read_u16 v225, v67 offset:8
	s_waitcnt lgkmcnt(2)
	v_dot4_i32_i8 v61, v59, v61, v216
	v_dot4_i32_i8 v61, v60, v62, v61
	s_waitcnt lgkmcnt(1)
	v_and_b32_e32 v216, 0xff, v224
	v_mul_lo_u32 v61, v61, v216
	s_waitcnt lgkmcnt(0)
	v_cvt_f32_ubyte0_e32 v217, v225
	v_cvt_f32_i32_e32 v226, v61
	ds_read2_b32 v[61:62], v68 offset0:8 offset1:9
	s_waitcnt lgkmcnt(0)
	v_dot4_i32_i8 v63, v61, v63, 0
	v_dot4_i32_i8 v67, v62, v64, v63
	ds_read2_b32 v[63:64], v68 offset0:10 offset1:11
	s_waitcnt lgkmcnt(0)
	v_dot4_i32_i8 v65, v63, v65, v67
	v_dot4_i32_i8 v67, v64, v66, v65
	;; [unrolled: 4-line block ×4, first 2 shown]
	v_lshrrev_b16_e32 v218, 8, v224
	v_mul_lo_u32 v219, v219, v218
	v_fma_mix_f32 v221, v222, v217, 0 op_sel:[1,0,0] op_sel_hi:[1,0,0]
	v_fma_mix_f32 v222, v222, v226, 0 op_sel_hi:[1,0,0]
	v_cvt_f32_i32_e32 v220, v219
	v_cvt_f32_ubyte1_e32 v219, v225
	v_fma_mix_f32 v221, v223, v219, v221 op_sel:[1,0,0] op_sel_hi:[1,0,0]
	v_mul_f32_e32 v221, v221, v202
	v_fma_mix_f32 v220, v223, v220, v222 op_sel_hi:[1,0,0]
	v_fma_f32 v220, v220, v203, -v221
	v_add_f32_e32 v128, v128, v220
	v_or_b32_e32 v220, s19, v151
	v_lshlrev_b32_e32 v232, 2, v220
	v_lshrrev_b32_e32 v236, 1, v220
	ds_read_b128 v[220:223], v232 offset:33280
	ds_read_b128 v[224:227], v232 offset:33296
	;; [unrolled: 1-line block ×4, first 2 shown]
	ds_read_b64 v[236:237], v236 offset:43584
	s_waitcnt lgkmcnt(4)
	v_dot4_i32_i8 v238, v5, v220, 0
	v_dot4_i32_i8 v238, v6, v221, v238
	s_waitcnt lgkmcnt(2)
	v_dot4_i32_i8 v240, v13, v228, 0
	v_dot4_i32_i8 v238, v7, v222, v238
	;; [unrolled: 1-line block ×8, first 2 shown]
	s_waitcnt lgkmcnt(1)
	v_dot4_i32_i8 v240, v17, v232, v240
	v_dot4_i32_i8 v238, v11, v226, v238
	;; [unrolled: 1-line block ×5, first 2 shown]
	v_mul_lo_u32 v238, v238, v207
	v_dot4_i32_i8 v240, v20, v235, v240
	v_mul_lo_u32 v240, v240, v205
	s_waitcnt lgkmcnt(0)
	v_fma_mix_f32 v239, v204, v236, 0 op_sel:[0,1,0] op_sel_hi:[0,1,0]
	v_cvt_f32_i32_e32 v238, v238
	v_fma_mix_f32 v239, v206, v237, v239 op_sel:[0,1,0] op_sel_hi:[0,1,0]
	v_cvt_f32_i32_e32 v240, v240
	v_mul_f32_e32 v239, v239, v197
	v_fma_mix_f32 v238, v238, v236, 0 op_sel_hi:[0,1,0]
	v_fma_mix_f32 v238, v240, v237, v238 op_sel_hi:[0,1,0]
	v_fma_f32 v238, v238, v196, -v239
	v_add_f32_e32 v122, v122, v238
	v_dot4_i32_i8 v238, v21, v220, 0
	v_dot4_i32_i8 v238, v22, v221, v238
	;; [unrolled: 1-line block ×15, first 2 shown]
	v_mul_lo_u32 v238, v238, v208
	v_dot4_i32_i8 v240, v36, v235, v240
	v_mul_lo_u32 v240, v240, v210
	v_fma_mix_f32 v239, v209, v236, 0 op_sel:[0,1,0] op_sel_hi:[0,1,0]
	v_cvt_f32_i32_e32 v238, v238
	v_fma_mix_f32 v239, v211, v237, v239 op_sel:[0,1,0] op_sel_hi:[0,1,0]
	v_cvt_f32_i32_e32 v240, v240
	v_mul_f32_e32 v239, v239, v198
	v_fma_mix_f32 v238, v238, v236, 0 op_sel_hi:[0,1,0]
	v_fma_mix_f32 v238, v240, v237, v238 op_sel_hi:[0,1,0]
	v_fma_f32 v238, v238, v199, -v239
	v_add_f32_e32 v111, v111, v238
	v_dot4_i32_i8 v238, v37, v220, 0
	v_dot4_i32_i8 v220, v53, v220, 0
	;; [unrolled: 1-line block ×24, first 2 shown]
	v_mul_lo_u32 v220, v220, v216
	v_dot4_i32_i8 v222, v68, v235, v222
	v_dot4_i32_i8 v238, v42, v225, v238
	;; [unrolled: 1-line block ×3, first 2 shown]
	v_mul_lo_u32 v222, v222, v218
	v_dot4_i32_i8 v238, v43, v226, v238
	v_dot4_i32_i8 v240, v50, v233, v240
	;; [unrolled: 1-line block ×4, first 2 shown]
	v_mul_lo_u32 v238, v238, v212
	v_dot4_i32_i8 v240, v52, v235, v240
	v_cvt_f32_i32_e32 v220, v220
	v_mul_lo_u32 v240, v240, v214
	v_cvt_f32_i32_e32 v222, v222
	v_fma_mix_f32 v221, v217, v236, 0 op_sel:[0,1,0] op_sel_hi:[0,1,0]
	v_cvt_f32_i32_e32 v238, v238
	v_fma_mix_f32 v220, v220, v236, 0 op_sel_hi:[0,1,0]
	v_fma_mix_f32 v221, v219, v237, v221 op_sel:[0,1,0] op_sel_hi:[0,1,0]
	v_cvt_f32_i32_e32 v240, v240
	v_fma_mix_f32 v220, v222, v237, v220 op_sel_hi:[0,1,0]
	v_mul_f32_e32 v221, v221, v202
	v_fma_f32 v220, v220, v203, -v221
	v_fma_mix_f32 v239, v213, v236, 0 op_sel:[0,1,0] op_sel_hi:[0,1,0]
	v_add_f32_e32 v95, v95, v220
	v_or_b32_e32 v220, s19, v152
	v_fma_mix_f32 v238, v238, v236, 0 op_sel_hi:[0,1,0]
	v_fma_mix_f32 v239, v215, v237, v239 op_sel:[0,1,0] op_sel_hi:[0,1,0]
	v_lshlrev_b32_e32 v232, 2, v220
	v_lshrrev_b32_e32 v236, 1, v220
	v_fma_mix_f32 v238, v240, v237, v238 op_sel_hi:[0,1,0]
	v_mul_f32_e32 v239, v239, v200
	ds_read_b128 v[220:223], v232 offset:33280
	ds_read_b128 v[224:227], v232 offset:33296
	;; [unrolled: 1-line block ×4, first 2 shown]
	ds_read_b64 v[236:237], v236 offset:43584
	v_fma_f32 v238, v238, v201, -v239
	v_add_f32_e32 v104, v104, v238
	s_waitcnt lgkmcnt(4)
	v_dot4_i32_i8 v238, v5, v220, 0
	v_dot4_i32_i8 v238, v6, v221, v238
	s_waitcnt lgkmcnt(2)
	v_dot4_i32_i8 v240, v13, v228, 0
	v_dot4_i32_i8 v238, v7, v222, v238
	;; [unrolled: 1-line block ×8, first 2 shown]
	s_waitcnt lgkmcnt(1)
	v_dot4_i32_i8 v240, v17, v232, v240
	v_dot4_i32_i8 v238, v11, v226, v238
	;; [unrolled: 1-line block ×5, first 2 shown]
	v_mul_lo_u32 v238, v238, v207
	v_dot4_i32_i8 v240, v20, v235, v240
	v_mul_lo_u32 v240, v240, v205
	s_waitcnt lgkmcnt(0)
	v_fma_mix_f32 v239, v204, v236, 0 op_sel:[0,1,0] op_sel_hi:[0,1,0]
	v_cvt_f32_i32_e32 v238, v238
	v_fma_mix_f32 v239, v206, v237, v239 op_sel:[0,1,0] op_sel_hi:[0,1,0]
	v_cvt_f32_i32_e32 v240, v240
	v_mul_f32_e32 v239, v239, v197
	v_fma_mix_f32 v238, v238, v236, 0 op_sel_hi:[0,1,0]
	v_fma_mix_f32 v238, v240, v237, v238 op_sel_hi:[0,1,0]
	v_fma_f32 v238, v238, v196, -v239
	v_add_f32_e32 v94, v94, v238
	v_dot4_i32_i8 v238, v21, v220, 0
	v_dot4_i32_i8 v238, v22, v221, v238
	;; [unrolled: 1-line block ×15, first 2 shown]
	v_mul_lo_u32 v238, v238, v208
	v_dot4_i32_i8 v240, v36, v235, v240
	v_mul_lo_u32 v240, v240, v210
	v_fma_mix_f32 v239, v209, v236, 0 op_sel:[0,1,0] op_sel_hi:[0,1,0]
	v_cvt_f32_i32_e32 v238, v238
	v_fma_mix_f32 v239, v211, v237, v239 op_sel:[0,1,0] op_sel_hi:[0,1,0]
	v_cvt_f32_i32_e32 v240, v240
	v_mul_f32_e32 v239, v239, v198
	v_fma_mix_f32 v238, v238, v236, 0 op_sel_hi:[0,1,0]
	v_fma_mix_f32 v238, v240, v237, v238 op_sel_hi:[0,1,0]
	v_fma_f32 v238, v238, v199, -v239
	v_add_f32_e32 v93, v93, v238
	v_dot4_i32_i8 v238, v37, v220, 0
	v_dot4_i32_i8 v220, v53, v220, 0
	;; [unrolled: 1-line block ×24, first 2 shown]
	v_mul_lo_u32 v220, v220, v216
	v_dot4_i32_i8 v222, v68, v235, v222
	v_dot4_i32_i8 v238, v42, v225, v238
	;; [unrolled: 1-line block ×3, first 2 shown]
	v_mul_lo_u32 v222, v222, v218
	v_dot4_i32_i8 v238, v43, v226, v238
	v_dot4_i32_i8 v240, v50, v233, v240
	;; [unrolled: 1-line block ×4, first 2 shown]
	v_mul_lo_u32 v238, v238, v212
	v_dot4_i32_i8 v240, v52, v235, v240
	v_cvt_f32_i32_e32 v220, v220
	v_mul_lo_u32 v240, v240, v214
	v_cvt_f32_i32_e32 v222, v222
	v_fma_mix_f32 v221, v217, v236, 0 op_sel:[0,1,0] op_sel_hi:[0,1,0]
	v_cvt_f32_i32_e32 v238, v238
	v_fma_mix_f32 v220, v220, v236, 0 op_sel_hi:[0,1,0]
	v_fma_mix_f32 v221, v219, v237, v221 op_sel:[0,1,0] op_sel_hi:[0,1,0]
	v_cvt_f32_i32_e32 v240, v240
	v_fma_mix_f32 v220, v222, v237, v220 op_sel_hi:[0,1,0]
	v_mul_f32_e32 v221, v221, v202
	v_fma_f32 v220, v220, v203, -v221
	v_fma_mix_f32 v239, v213, v236, 0 op_sel:[0,1,0] op_sel_hi:[0,1,0]
	v_add_f32_e32 v91, v91, v220
	v_or_b32_e32 v220, s19, v153
	v_fma_mix_f32 v238, v238, v236, 0 op_sel_hi:[0,1,0]
	v_fma_mix_f32 v239, v215, v237, v239 op_sel:[0,1,0] op_sel_hi:[0,1,0]
	v_lshlrev_b32_e32 v232, 2, v220
	v_lshrrev_b32_e32 v236, 1, v220
	v_fma_mix_f32 v238, v240, v237, v238 op_sel_hi:[0,1,0]
	v_mul_f32_e32 v239, v239, v200
	ds_read_b128 v[220:223], v232 offset:33280
	ds_read_b128 v[224:227], v232 offset:33296
	;; [unrolled: 1-line block ×4, first 2 shown]
	ds_read_b64 v[236:237], v236 offset:43584
	v_fma_f32 v238, v238, v201, -v239
	v_add_f32_e32 v92, v92, v238
	s_waitcnt lgkmcnt(4)
	v_dot4_i32_i8 v238, v5, v220, 0
	v_dot4_i32_i8 v238, v6, v221, v238
	s_waitcnt lgkmcnt(2)
	v_dot4_i32_i8 v240, v13, v228, 0
	v_dot4_i32_i8 v238, v7, v222, v238
	;; [unrolled: 1-line block ×8, first 2 shown]
	s_waitcnt lgkmcnt(1)
	v_dot4_i32_i8 v240, v17, v232, v240
	v_dot4_i32_i8 v238, v11, v226, v238
	;; [unrolled: 1-line block ×5, first 2 shown]
	v_mul_lo_u32 v238, v238, v207
	v_dot4_i32_i8 v240, v20, v235, v240
	v_mul_lo_u32 v240, v240, v205
	s_waitcnt lgkmcnt(0)
	v_fma_mix_f32 v239, v204, v236, 0 op_sel:[0,1,0] op_sel_hi:[0,1,0]
	v_cvt_f32_i32_e32 v238, v238
	v_fma_mix_f32 v239, v206, v237, v239 op_sel:[0,1,0] op_sel_hi:[0,1,0]
	v_cvt_f32_i32_e32 v240, v240
	v_mul_f32_e32 v239, v239, v197
	v_fma_mix_f32 v238, v238, v236, 0 op_sel_hi:[0,1,0]
	v_fma_mix_f32 v238, v240, v237, v238 op_sel_hi:[0,1,0]
	v_fma_f32 v238, v238, v196, -v239
	v_add_f32_e32 v89, v89, v238
	v_dot4_i32_i8 v238, v21, v220, 0
	v_dot4_i32_i8 v238, v22, v221, v238
	;; [unrolled: 1-line block ×15, first 2 shown]
	v_mul_lo_u32 v238, v238, v208
	v_dot4_i32_i8 v240, v36, v235, v240
	v_mul_lo_u32 v240, v240, v210
	v_fma_mix_f32 v239, v209, v236, 0 op_sel:[0,1,0] op_sel_hi:[0,1,0]
	v_cvt_f32_i32_e32 v238, v238
	v_fma_mix_f32 v239, v211, v237, v239 op_sel:[0,1,0] op_sel_hi:[0,1,0]
	v_cvt_f32_i32_e32 v240, v240
	v_mul_f32_e32 v239, v239, v198
	v_fma_mix_f32 v238, v238, v236, 0 op_sel_hi:[0,1,0]
	v_fma_mix_f32 v238, v240, v237, v238 op_sel_hi:[0,1,0]
	v_fma_f32 v238, v238, v199, -v239
	v_add_f32_e32 v87, v87, v238
	v_dot4_i32_i8 v238, v37, v220, 0
	v_dot4_i32_i8 v220, v53, v220, 0
	;; [unrolled: 1-line block ×24, first 2 shown]
	v_mul_lo_u32 v220, v220, v216
	v_dot4_i32_i8 v222, v68, v235, v222
	v_dot4_i32_i8 v238, v42, v225, v238
	;; [unrolled: 1-line block ×3, first 2 shown]
	v_mul_lo_u32 v222, v222, v218
	v_dot4_i32_i8 v238, v43, v226, v238
	v_dot4_i32_i8 v240, v50, v233, v240
	;; [unrolled: 1-line block ×4, first 2 shown]
	v_mul_lo_u32 v238, v238, v212
	v_dot4_i32_i8 v240, v52, v235, v240
	v_cvt_f32_i32_e32 v220, v220
	v_mul_lo_u32 v240, v240, v214
	v_cvt_f32_i32_e32 v222, v222
	v_fma_mix_f32 v221, v217, v236, 0 op_sel:[0,1,0] op_sel_hi:[0,1,0]
	v_cvt_f32_i32_e32 v238, v238
	v_fma_mix_f32 v220, v220, v236, 0 op_sel_hi:[0,1,0]
	v_fma_mix_f32 v221, v219, v237, v221 op_sel:[0,1,0] op_sel_hi:[0,1,0]
	v_cvt_f32_i32_e32 v240, v240
	v_fma_mix_f32 v220, v222, v237, v220 op_sel_hi:[0,1,0]
	v_mul_f32_e32 v221, v221, v202
	v_fma_f32 v220, v220, v203, -v221
	v_fma_mix_f32 v239, v213, v236, 0 op_sel:[0,1,0] op_sel_hi:[0,1,0]
	v_add_f32_e32 v85, v85, v220
	v_or_b32_e32 v220, s19, v154
	v_fma_mix_f32 v238, v238, v236, 0 op_sel_hi:[0,1,0]
	v_fma_mix_f32 v239, v215, v237, v239 op_sel:[0,1,0] op_sel_hi:[0,1,0]
	v_lshlrev_b32_e32 v232, 2, v220
	v_lshrrev_b32_e32 v236, 1, v220
	v_fma_mix_f32 v238, v240, v237, v238 op_sel_hi:[0,1,0]
	v_mul_f32_e32 v239, v239, v200
	ds_read_b128 v[220:223], v232 offset:33280
	ds_read_b128 v[224:227], v232 offset:33296
	;; [unrolled: 1-line block ×4, first 2 shown]
	ds_read_b64 v[236:237], v236 offset:43584
	v_fma_f32 v238, v238, v201, -v239
	v_add_f32_e32 v86, v86, v238
	s_waitcnt lgkmcnt(4)
	v_dot4_i32_i8 v238, v5, v220, 0
	v_dot4_i32_i8 v238, v6, v221, v238
	s_waitcnt lgkmcnt(2)
	v_dot4_i32_i8 v240, v13, v228, 0
	v_dot4_i32_i8 v238, v7, v222, v238
	;; [unrolled: 1-line block ×8, first 2 shown]
	s_waitcnt lgkmcnt(1)
	v_dot4_i32_i8 v240, v17, v232, v240
	v_dot4_i32_i8 v238, v11, v226, v238
	;; [unrolled: 1-line block ×5, first 2 shown]
	v_mul_lo_u32 v238, v238, v207
	v_dot4_i32_i8 v240, v20, v235, v240
	v_mul_lo_u32 v240, v240, v205
	s_waitcnt lgkmcnt(0)
	v_fma_mix_f32 v239, v204, v236, 0 op_sel:[0,1,0] op_sel_hi:[0,1,0]
	v_cvt_f32_i32_e32 v238, v238
	v_fma_mix_f32 v239, v206, v237, v239 op_sel:[0,1,0] op_sel_hi:[0,1,0]
	v_cvt_f32_i32_e32 v240, v240
	v_mul_f32_e32 v239, v239, v197
	v_fma_mix_f32 v238, v238, v236, 0 op_sel_hi:[0,1,0]
	v_fma_mix_f32 v238, v240, v237, v238 op_sel_hi:[0,1,0]
	v_fma_f32 v238, v238, v196, -v239
	v_add_f32_e32 v84, v84, v238
	v_dot4_i32_i8 v238, v21, v220, 0
	v_dot4_i32_i8 v238, v22, v221, v238
	;; [unrolled: 1-line block ×15, first 2 shown]
	v_mul_lo_u32 v238, v238, v208
	v_dot4_i32_i8 v240, v36, v235, v240
	v_mul_lo_u32 v240, v240, v210
	v_fma_mix_f32 v239, v209, v236, 0 op_sel:[0,1,0] op_sel_hi:[0,1,0]
	v_cvt_f32_i32_e32 v238, v238
	v_fma_mix_f32 v239, v211, v237, v239 op_sel:[0,1,0] op_sel_hi:[0,1,0]
	v_cvt_f32_i32_e32 v240, v240
	v_mul_f32_e32 v239, v239, v198
	v_fma_mix_f32 v238, v238, v236, 0 op_sel_hi:[0,1,0]
	v_fma_mix_f32 v238, v240, v237, v238 op_sel_hi:[0,1,0]
	v_fma_f32 v238, v238, v199, -v239
	v_add_f32_e32 v83, v83, v238
	v_dot4_i32_i8 v238, v37, v220, 0
	v_dot4_i32_i8 v220, v53, v220, 0
	;; [unrolled: 1-line block ×24, first 2 shown]
	v_mul_lo_u32 v220, v220, v216
	v_dot4_i32_i8 v222, v68, v235, v222
	v_dot4_i32_i8 v238, v42, v225, v238
	;; [unrolled: 1-line block ×3, first 2 shown]
	v_mul_lo_u32 v222, v222, v218
	v_dot4_i32_i8 v238, v43, v226, v238
	v_dot4_i32_i8 v240, v50, v233, v240
	;; [unrolled: 1-line block ×4, first 2 shown]
	v_mul_lo_u32 v238, v238, v212
	v_dot4_i32_i8 v240, v52, v235, v240
	v_cvt_f32_i32_e32 v220, v220
	v_mul_lo_u32 v240, v240, v214
	v_cvt_f32_i32_e32 v222, v222
	v_fma_mix_f32 v221, v217, v236, 0 op_sel:[0,1,0] op_sel_hi:[0,1,0]
	v_cvt_f32_i32_e32 v238, v238
	v_fma_mix_f32 v220, v220, v236, 0 op_sel_hi:[0,1,0]
	v_fma_mix_f32 v221, v219, v237, v221 op_sel:[0,1,0] op_sel_hi:[0,1,0]
	v_cvt_f32_i32_e32 v240, v240
	v_fma_mix_f32 v220, v222, v237, v220 op_sel_hi:[0,1,0]
	v_mul_f32_e32 v221, v221, v202
	v_fma_f32 v220, v220, v203, -v221
	v_fma_mix_f32 v239, v213, v236, 0 op_sel:[0,1,0] op_sel_hi:[0,1,0]
	v_add_f32_e32 v81, v81, v220
	v_or_b32_e32 v220, s19, v155
	v_fma_mix_f32 v238, v238, v236, 0 op_sel_hi:[0,1,0]
	v_fma_mix_f32 v239, v215, v237, v239 op_sel:[0,1,0] op_sel_hi:[0,1,0]
	v_lshlrev_b32_e32 v232, 2, v220
	v_lshrrev_b32_e32 v236, 1, v220
	v_fma_mix_f32 v238, v240, v237, v238 op_sel_hi:[0,1,0]
	v_mul_f32_e32 v239, v239, v200
	ds_read_b128 v[220:223], v232 offset:33280
	ds_read_b128 v[224:227], v232 offset:33296
	;; [unrolled: 1-line block ×4, first 2 shown]
	ds_read_b64 v[236:237], v236 offset:43584
	v_fma_f32 v238, v238, v201, -v239
	v_add_f32_e32 v82, v82, v238
	s_waitcnt lgkmcnt(4)
	v_dot4_i32_i8 v238, v5, v220, 0
	v_dot4_i32_i8 v238, v6, v221, v238
	s_waitcnt lgkmcnt(2)
	v_dot4_i32_i8 v240, v13, v228, 0
	v_dot4_i32_i8 v238, v7, v222, v238
	;; [unrolled: 1-line block ×8, first 2 shown]
	s_waitcnt lgkmcnt(1)
	v_dot4_i32_i8 v240, v17, v232, v240
	v_dot4_i32_i8 v238, v11, v226, v238
	;; [unrolled: 1-line block ×5, first 2 shown]
	v_mul_lo_u32 v238, v238, v207
	v_dot4_i32_i8 v240, v20, v235, v240
	v_mul_lo_u32 v240, v240, v205
	s_waitcnt lgkmcnt(0)
	v_fma_mix_f32 v239, v204, v236, 0 op_sel:[0,1,0] op_sel_hi:[0,1,0]
	v_cvt_f32_i32_e32 v238, v238
	v_fma_mix_f32 v239, v206, v237, v239 op_sel:[0,1,0] op_sel_hi:[0,1,0]
	v_cvt_f32_i32_e32 v240, v240
	v_mul_f32_e32 v239, v239, v197
	v_fma_mix_f32 v238, v238, v236, 0 op_sel_hi:[0,1,0]
	v_fma_mix_f32 v238, v240, v237, v238 op_sel_hi:[0,1,0]
	v_fma_f32 v238, v238, v196, -v239
	v_add_f32_e32 v80, v80, v238
	v_dot4_i32_i8 v238, v21, v220, 0
	v_dot4_i32_i8 v238, v22, v221, v238
	;; [unrolled: 1-line block ×15, first 2 shown]
	v_mul_lo_u32 v238, v238, v208
	v_dot4_i32_i8 v240, v36, v235, v240
	v_mul_lo_u32 v240, v240, v210
	v_fma_mix_f32 v239, v209, v236, 0 op_sel:[0,1,0] op_sel_hi:[0,1,0]
	v_cvt_f32_i32_e32 v238, v238
	v_fma_mix_f32 v239, v211, v237, v239 op_sel:[0,1,0] op_sel_hi:[0,1,0]
	v_cvt_f32_i32_e32 v240, v240
	v_mul_f32_e32 v239, v239, v198
	v_fma_mix_f32 v238, v238, v236, 0 op_sel_hi:[0,1,0]
	v_fma_mix_f32 v238, v240, v237, v238 op_sel_hi:[0,1,0]
	v_fma_f32 v238, v238, v199, -v239
	v_add_f32_e32 v79, v79, v238
	v_dot4_i32_i8 v238, v37, v220, 0
	v_dot4_i32_i8 v220, v53, v220, 0
	;; [unrolled: 1-line block ×24, first 2 shown]
	v_mul_lo_u32 v220, v220, v216
	v_dot4_i32_i8 v222, v68, v235, v222
	v_dot4_i32_i8 v238, v42, v225, v238
	v_dot4_i32_i8 v240, v49, v232, v240
	v_mul_lo_u32 v222, v222, v218
	v_dot4_i32_i8 v238, v43, v226, v238
	v_dot4_i32_i8 v240, v50, v233, v240
	;; [unrolled: 1-line block ×4, first 2 shown]
	v_mul_lo_u32 v238, v238, v212
	v_dot4_i32_i8 v240, v52, v235, v240
	v_cvt_f32_i32_e32 v220, v220
	v_mul_lo_u32 v240, v240, v214
	v_cvt_f32_i32_e32 v222, v222
	v_fma_mix_f32 v221, v217, v236, 0 op_sel:[0,1,0] op_sel_hi:[0,1,0]
	v_cvt_f32_i32_e32 v238, v238
	v_fma_mix_f32 v220, v220, v236, 0 op_sel_hi:[0,1,0]
	v_fma_mix_f32 v221, v219, v237, v221 op_sel:[0,1,0] op_sel_hi:[0,1,0]
	v_cvt_f32_i32_e32 v240, v240
	v_fma_mix_f32 v220, v222, v237, v220 op_sel_hi:[0,1,0]
	v_mul_f32_e32 v221, v221, v202
	v_fma_f32 v220, v220, v203, -v221
	v_fma_mix_f32 v239, v213, v236, 0 op_sel:[0,1,0] op_sel_hi:[0,1,0]
	v_add_f32_e32 v77, v77, v220
	v_or_b32_e32 v220, s19, v156
	v_fma_mix_f32 v238, v238, v236, 0 op_sel_hi:[0,1,0]
	v_fma_mix_f32 v239, v215, v237, v239 op_sel:[0,1,0] op_sel_hi:[0,1,0]
	v_lshlrev_b32_e32 v232, 2, v220
	v_lshrrev_b32_e32 v236, 1, v220
	v_fma_mix_f32 v238, v240, v237, v238 op_sel_hi:[0,1,0]
	v_mul_f32_e32 v239, v239, v200
	ds_read_b128 v[220:223], v232 offset:33280
	ds_read_b128 v[224:227], v232 offset:33296
	;; [unrolled: 1-line block ×4, first 2 shown]
	ds_read_b64 v[236:237], v236 offset:43584
	v_fma_f32 v238, v238, v201, -v239
	v_add_f32_e32 v78, v78, v238
	s_waitcnt lgkmcnt(4)
	v_dot4_i32_i8 v238, v5, v220, 0
	v_dot4_i32_i8 v238, v6, v221, v238
	s_waitcnt lgkmcnt(2)
	v_dot4_i32_i8 v240, v13, v228, 0
	v_dot4_i32_i8 v238, v7, v222, v238
	;; [unrolled: 1-line block ×8, first 2 shown]
	s_waitcnt lgkmcnt(1)
	v_dot4_i32_i8 v240, v17, v232, v240
	v_dot4_i32_i8 v238, v11, v226, v238
	;; [unrolled: 1-line block ×5, first 2 shown]
	v_mul_lo_u32 v238, v238, v207
	v_dot4_i32_i8 v240, v20, v235, v240
	v_mul_lo_u32 v240, v240, v205
	s_waitcnt lgkmcnt(0)
	v_fma_mix_f32 v239, v204, v236, 0 op_sel:[0,1,0] op_sel_hi:[0,1,0]
	v_cvt_f32_i32_e32 v238, v238
	v_fma_mix_f32 v239, v206, v237, v239 op_sel:[0,1,0] op_sel_hi:[0,1,0]
	v_cvt_f32_i32_e32 v240, v240
	v_mul_f32_e32 v239, v239, v197
	v_fma_mix_f32 v238, v238, v236, 0 op_sel_hi:[0,1,0]
	v_fma_mix_f32 v238, v240, v237, v238 op_sel_hi:[0,1,0]
	v_fma_f32 v238, v238, v196, -v239
	v_add_f32_e32 v76, v76, v238
	v_dot4_i32_i8 v238, v21, v220, 0
	v_dot4_i32_i8 v238, v22, v221, v238
	v_dot4_i32_i8 v240, v29, v228, 0
	v_dot4_i32_i8 v238, v23, v222, v238
	v_dot4_i32_i8 v240, v30, v229, v240
	v_dot4_i32_i8 v238, v24, v223, v238
	v_dot4_i32_i8 v240, v31, v230, v240
	v_dot4_i32_i8 v238, v25, v224, v238
	v_dot4_i32_i8 v240, v32, v231, v240
	v_dot4_i32_i8 v238, v26, v225, v238
	v_dot4_i32_i8 v240, v33, v232, v240
	v_dot4_i32_i8 v238, v27, v226, v238
	v_dot4_i32_i8 v240, v34, v233, v240
	v_dot4_i32_i8 v238, v28, v227, v238
	v_dot4_i32_i8 v240, v35, v234, v240
	v_mul_lo_u32 v238, v238, v208
	v_dot4_i32_i8 v240, v36, v235, v240
	v_mul_lo_u32 v240, v240, v210
	v_fma_mix_f32 v239, v209, v236, 0 op_sel:[0,1,0] op_sel_hi:[0,1,0]
	v_cvt_f32_i32_e32 v238, v238
	v_fma_mix_f32 v239, v211, v237, v239 op_sel:[0,1,0] op_sel_hi:[0,1,0]
	v_cvt_f32_i32_e32 v240, v240
	v_mul_f32_e32 v239, v239, v198
	v_fma_mix_f32 v238, v238, v236, 0 op_sel_hi:[0,1,0]
	v_fma_mix_f32 v238, v240, v237, v238 op_sel_hi:[0,1,0]
	v_fma_f32 v238, v238, v199, -v239
	v_add_f32_e32 v75, v75, v238
	v_dot4_i32_i8 v238, v37, v220, 0
	v_dot4_i32_i8 v220, v53, v220, 0
	;; [unrolled: 1-line block ×24, first 2 shown]
	v_mul_lo_u32 v220, v220, v216
	v_dot4_i32_i8 v222, v68, v235, v222
	v_dot4_i32_i8 v238, v42, v225, v238
	;; [unrolled: 1-line block ×3, first 2 shown]
	v_mul_lo_u32 v222, v222, v218
	v_dot4_i32_i8 v238, v43, v226, v238
	v_dot4_i32_i8 v240, v50, v233, v240
	;; [unrolled: 1-line block ×4, first 2 shown]
	v_mul_lo_u32 v238, v238, v212
	v_dot4_i32_i8 v240, v52, v235, v240
	v_cvt_f32_i32_e32 v220, v220
	v_mul_lo_u32 v240, v240, v214
	v_cvt_f32_i32_e32 v222, v222
	v_fma_mix_f32 v221, v217, v236, 0 op_sel:[0,1,0] op_sel_hi:[0,1,0]
	v_cvt_f32_i32_e32 v238, v238
	v_fma_mix_f32 v220, v220, v236, 0 op_sel_hi:[0,1,0]
	v_fma_mix_f32 v221, v219, v237, v221 op_sel:[0,1,0] op_sel_hi:[0,1,0]
	v_cvt_f32_i32_e32 v240, v240
	v_fma_mix_f32 v220, v222, v237, v220 op_sel_hi:[0,1,0]
	v_mul_f32_e32 v221, v221, v202
	v_fma_f32 v220, v220, v203, -v221
	v_add_f32_e32 v73, v73, v220
	v_or_b32_e32 v220, s19, v157
	v_fma_mix_f32 v238, v238, v236, 0 op_sel_hi:[0,1,0]
	v_fma_mix_f32 v239, v213, v236, 0 op_sel:[0,1,0] op_sel_hi:[0,1,0]
	v_lshlrev_b32_e32 v232, 2, v220
	v_lshrrev_b32_e32 v236, 1, v220
	v_fma_mix_f32 v238, v240, v237, v238 op_sel_hi:[0,1,0]
	v_fma_mix_f32 v239, v215, v237, v239 op_sel:[0,1,0] op_sel_hi:[0,1,0]
	ds_read_b128 v[220:223], v232 offset:33280
	ds_read_b128 v[224:227], v232 offset:33296
	;; [unrolled: 1-line block ×4, first 2 shown]
	ds_read_b64 v[236:237], v236 offset:43584
	s_waitcnt lgkmcnt(4)
	v_dot4_i32_i8 v5, v5, v220, 0
	v_dot4_i32_i8 v5, v6, v221, v5
	;; [unrolled: 1-line block ×3, first 2 shown]
	s_waitcnt lgkmcnt(2)
	v_dot4_i32_i8 v7, v13, v228, 0
	v_dot4_i32_i8 v7, v14, v229, v7
	;; [unrolled: 1-line block ×7, first 2 shown]
	s_waitcnt lgkmcnt(1)
	v_dot4_i32_i8 v7, v17, v232, v7
	v_dot4_i32_i8 v5, v11, v226, v5
	;; [unrolled: 1-line block ×5, first 2 shown]
	v_mul_lo_u32 v5, v5, v207
	v_dot4_i32_i8 v7, v20, v235, v7
	v_mul_lo_u32 v7, v7, v205
	s_waitcnt lgkmcnt(0)
	v_fma_mix_f32 v6, v204, v236, 0 op_sel:[0,1,0] op_sel_hi:[0,1,0]
	v_cvt_f32_i32_e32 v5, v5
	v_fma_mix_f32 v6, v206, v237, v6 op_sel:[0,1,0] op_sel_hi:[0,1,0]
	v_cvt_f32_i32_e32 v7, v7
	v_mul_f32_e32 v6, v6, v197
	v_fma_mix_f32 v5, v5, v236, 0 op_sel_hi:[0,1,0]
	v_mul_f32_e32 v239, v239, v200
	v_fma_mix_f32 v5, v7, v237, v5 op_sel_hi:[0,1,0]
	v_fma_f32 v5, v5, v196, -v6
	v_add_f32_e32 v72, v72, v5
	v_dot4_i32_i8 v5, v21, v220, 0
	v_dot4_i32_i8 v5, v22, v221, v5
	;; [unrolled: 1-line block ×15, first 2 shown]
	v_mul_lo_u32 v5, v5, v208
	v_dot4_i32_i8 v7, v36, v235, v7
	v_mul_lo_u32 v7, v7, v210
	v_fma_mix_f32 v6, v209, v236, 0 op_sel:[0,1,0] op_sel_hi:[0,1,0]
	v_cvt_f32_i32_e32 v5, v5
	v_fma_mix_f32 v6, v211, v237, v6 op_sel:[0,1,0] op_sel_hi:[0,1,0]
	v_cvt_f32_i32_e32 v7, v7
	v_mul_f32_e32 v6, v6, v198
	v_fma_mix_f32 v5, v5, v236, 0 op_sel_hi:[0,1,0]
	v_fma_f32 v238, v238, v201, -v239
	v_fma_mix_f32 v5, v7, v237, v5 op_sel_hi:[0,1,0]
	v_fma_f32 v5, v5, v199, -v6
	v_add_f32_e32 v71, v71, v5
	v_dot4_i32_i8 v5, v37, v220, 0
	v_dot4_i32_i8 v5, v38, v221, v5
	v_dot4_i32_i8 v7, v45, v228, 0
	v_dot4_i32_i8 v5, v39, v222, v5
	v_dot4_i32_i8 v7, v46, v229, v7
	v_dot4_i32_i8 v5, v40, v223, v5
	v_dot4_i32_i8 v7, v47, v230, v7
	v_dot4_i32_i8 v5, v41, v224, v5
	v_dot4_i32_i8 v7, v48, v231, v7
	v_dot4_i32_i8 v5, v42, v225, v5
	v_dot4_i32_i8 v7, v49, v232, v7
	v_dot4_i32_i8 v5, v43, v226, v5
	v_dot4_i32_i8 v7, v50, v233, v7
	v_dot4_i32_i8 v5, v44, v227, v5
	v_dot4_i32_i8 v7, v51, v234, v7
	v_mul_lo_u32 v5, v5, v212
	v_dot4_i32_i8 v7, v52, v235, v7
	v_mul_lo_u32 v7, v7, v214
	v_fma_mix_f32 v6, v213, v236, 0 op_sel:[0,1,0] op_sel_hi:[0,1,0]
	v_cvt_f32_i32_e32 v5, v5
	v_fma_mix_f32 v6, v215, v237, v6 op_sel:[0,1,0] op_sel_hi:[0,1,0]
	v_cvt_f32_i32_e32 v7, v7
	v_mul_f32_e32 v6, v6, v200
	v_fma_mix_f32 v5, v5, v236, 0 op_sel_hi:[0,1,0]
	v_add_f32_e32 v74, v74, v238
	v_fma_mix_f32 v5, v7, v237, v5 op_sel_hi:[0,1,0]
	v_fma_f32 v5, v5, v201, -v6
	v_add_f32_e32 v70, v70, v5
	v_dot4_i32_i8 v5, v53, v220, 0
	v_dot4_i32_i8 v5, v54, v221, v5
	;; [unrolled: 1-line block ×15, first 2 shown]
	v_mul_lo_u32 v5, v5, v216
	v_dot4_i32_i8 v7, v68, v235, v7
	v_mul_lo_u32 v7, v7, v218
	v_fma_mix_f32 v6, v217, v236, 0 op_sel:[0,1,0] op_sel_hi:[0,1,0]
	v_cvt_f32_i32_e32 v5, v5
	v_fma_mix_f32 v6, v219, v237, v6 op_sel:[0,1,0] op_sel_hi:[0,1,0]
	v_cvt_f32_i32_e32 v7, v7
	v_mul_f32_e32 v6, v6, v202
	v_fma_mix_f32 v5, v5, v236, 0 op_sel_hi:[0,1,0]
	v_fma_mix_f32 v5, v7, v237, v5 op_sel_hi:[0,1,0]
	v_fma_f32 v5, v5, v203, -v6
	v_add_f32_e32 v69, v69, v5
	s_cbranch_vccnz .LBB133_6
; %bb.7:                                ;   in Loop: Header=BB133_5 Depth=1
	v_add_u32_e32 v21, s17, v145
	v_add_u32_e32 v19, 4, v195
	;; [unrolled: 1-line block ×3, first 2 shown]
	v_mad_u64_u32 v[19:20], s[0:1], v19, 36, s[2:3]
	v_mad_i64_i32 v[5:6], s[0:1], v5, 36, v[3:4]
	v_add_u32_e32 v7, v21, v137
	v_mad_i64_i32 v[7:8], s[0:1], v7, 36, v[3:4]
	v_add_u32_e32 v9, v21, v138
	v_add_u32_e32 v11, v21, v139
	v_mad_i64_i32 v[9:10], s[0:1], v9, 36, v[3:4]
	v_mad_i64_i32 v[11:12], s[0:1], v11, 36, v[3:4]
	v_add_u32_e32 v13, v21, v140
	v_add_u32_e32 v15, v21, v141
	;; [unrolled: 1-line block ×4, first 2 shown]
	s_barrier
	v_mad_i64_i32 v[13:14], s[0:1], v13, 36, v[3:4]
	v_mad_i64_i32 v[15:16], s[0:1], v15, 36, v[3:4]
	;; [unrolled: 1-line block ×4, first 2 shown]
	global_load_dword v19, v[19:20], off
	s_nop 0
	global_load_dword v5, v[5:6], off offset:4
	s_nop 0
	global_load_dword v6, v[7:8], off offset:4
	;; [unrolled: 2-line block ×3, first 2 shown]
	global_load_dword v8, v[11:12], off offset:4
	s_nop 0
	global_load_dword v9, v[13:14], off offset:4
	global_load_dword v10, v[15:16], off offset:4
	;; [unrolled: 1-line block ×4, first 2 shown]
	s_mov_b32 s0, 16
	s_waitcnt vmcnt(8)
	ds_write_b32 v134, v19
	s_waitcnt vmcnt(7)
	ds_write_b32 v164, v5
	;; [unrolled: 2-line block ×9, first 2 shown]
	s_waitcnt lgkmcnt(0)
	s_barrier
	ds_read_b32 v5, v144
	ds_read_b32 v6, v146 offset:128
	ds_read_b32 v7, v148 offset:256
	;; [unrolled: 1-line block ×3, first 2 shown]
	s_waitcnt lgkmcnt(3)
	v_cvt_f32_f16_e32 v195, v5
	v_cvt_f32_f16_sdwa v196, v5 dst_sel:DWORD dst_unused:UNUSED_PAD src0_sel:WORD_1
	s_waitcnt lgkmcnt(2)
	v_cvt_f32_f16_sdwa v197, v6 dst_sel:DWORD dst_unused:UNUSED_PAD src0_sel:WORD_1
	v_cvt_f32_f16_e32 v198, v6
	s_waitcnt lgkmcnt(1)
	v_cvt_f32_f16_sdwa v199, v7 dst_sel:DWORD dst_unused:UNUSED_PAD src0_sel:WORD_1
	v_cvt_f32_f16_e32 v200, v7
	;; [unrolled: 3-line block ×3, first 2 shown]
.LBB133_8:                              ;   Parent Loop BB133_5 Depth=1
                                        ; =>  This Inner Loop Header: Depth=2
	s_lshr_b32 s1, s0, 2
	s_and_b32 s17, s1, 0x3ffffffe
	s_lshl_b32 s1, s0, 1
	s_and_b32 s1, s1, 16
	v_or_b32_e32 v5, s1, v121
	s_lshl_b32 s18, s0, 3
	v_lshlrev_b32_e32 v6, 2, v5
	v_add_u32_e32 v19, s18, v158
	v_lshrrev_b32_e32 v21, 1, v5
	ds_read_b128 v[55:58], v6 offset:33280
	ds_read_b128 v[59:62], v6 offset:33296
	;; [unrolled: 1-line block ×4, first 2 shown]
	ds_read2_b32 v[5:6], v19 offset1:1
	s_add_i32 s17, s17, 0xa200
	v_add3_u32 v13, s17, v190, v191
	v_add_u32_e32 v35, s18, v159
	v_add3_u32 v29, s17, v192, v187
	s_waitcnt lgkmcnt(0)
	v_dot4_i32_i8 v7, v5, v55, 0
	v_dot4_i32_i8 v9, v6, v56, v7
	ds_read2_b32 v[7:8], v19 offset0:2 offset1:3
	v_add_u32_e32 v51, s18, v160
	v_add3_u32 v45, s17, v193, v188
	s_waitcnt lgkmcnt(0)
	v_dot4_i32_i8 v9, v7, v57, v9
	v_dot4_i32_i8 v11, v8, v58, v9
	ds_read2_b32 v[9:10], v19 offset0:4 offset1:5
	s_waitcnt lgkmcnt(0)
	v_dot4_i32_i8 v11, v9, v59, v11
	v_dot4_i32_i8 v14, v10, v60, v11
	ds_read2_b32 v[11:12], v19 offset0:6 offset1:7
	ds_read_u16 v23, v13
	ds_read_u16 v24, v13 offset:8
	ds_read_b64 v[221:222], v21 offset:43584
	s_waitcnt lgkmcnt(3)
	v_dot4_i32_i8 v14, v11, v61, v14
	v_dot4_i32_i8 v22, v12, v62, v14
	ds_read2_b32 v[13:14], v19 offset0:8 offset1:9
	s_waitcnt lgkmcnt(3)
	v_and_b32_e32 v206, 0xff, v23
	v_lshrrev_b16_e32 v204, 8, v23
	v_mul_lo_u32 v21, v22, v206
	s_waitcnt lgkmcnt(2)
	v_cvt_f32_ubyte0_e32 v203, v24
	s_waitcnt lgkmcnt(0)
	v_dot4_i32_i8 v15, v13, v63, 0
	v_dot4_i32_i8 v17, v14, v64, v15
	ds_read2_b32 v[15:16], v19 offset0:10 offset1:11
	v_cvt_f32_i32_e32 v21, v21
	v_fma_mix_f32 v23, v221, v203, 0 op_sel:[1,0,0] op_sel_hi:[1,0,0]
	v_cvt_f32_ubyte1_e32 v205, v24
	s_waitcnt lgkmcnt(0)
	v_dot4_i32_i8 v17, v15, v65, v17
	v_dot4_i32_i8 v20, v16, v66, v17
	ds_read2_b32 v[17:18], v19 offset0:12 offset1:13
	v_fma_mix_f32 v21, v221, v21, 0 op_sel_hi:[1,0,0]
	s_waitcnt lgkmcnt(0)
	v_dot4_i32_i8 v20, v17, v217, v20
	v_dot4_i32_i8 v25, v18, v218, v20
	ds_read2_b32 v[19:20], v19 offset0:14 offset1:15
	s_waitcnt lgkmcnt(0)
	v_dot4_i32_i8 v25, v19, v219, v25
	v_dot4_i32_i8 v25, v20, v220, v25
	v_mul_lo_u32 v22, v25, v204
	v_cvt_f32_i32_e32 v22, v22
	v_fma_mix_f32 v21, v222, v22, v21 op_sel_hi:[1,0,0]
	v_fma_mix_f32 v22, v222, v205, v23 op_sel:[1,0,0] op_sel_hi:[1,0,0]
	v_mul_f32_e32 v22, v22, v196
	v_fma_f32 v21, v21, v195, -v22
	v_add_f32_e32 v90, v90, v21
	ds_read2_b32 v[21:22], v35 offset1:1
	s_waitcnt lgkmcnt(0)
	v_dot4_i32_i8 v23, v21, v55, 0
	v_dot4_i32_i8 v25, v22, v56, v23
	ds_read2_b32 v[23:24], v35 offset0:2 offset1:3
	s_waitcnt lgkmcnt(0)
	v_dot4_i32_i8 v25, v23, v57, v25
	v_dot4_i32_i8 v27, v24, v58, v25
	ds_read2_b32 v[25:26], v35 offset0:4 offset1:5
	s_waitcnt lgkmcnt(0)
	v_dot4_i32_i8 v27, v25, v59, v27
	v_dot4_i32_i8 v30, v26, v60, v27
	ds_read2_b32 v[27:28], v35 offset0:6 offset1:7
	ds_read_u16 v37, v29
	ds_read_u16 v38, v29 offset:8
	s_waitcnt lgkmcnt(2)
	v_dot4_i32_i8 v30, v27, v61, v30
	v_dot4_i32_i8 v30, v28, v62, v30
	s_waitcnt lgkmcnt(1)
	v_and_b32_e32 v207, 0xff, v37
	v_mul_lo_u32 v29, v30, v207
	v_lshrrev_b16_e32 v209, 8, v37
	s_waitcnt lgkmcnt(0)
	v_cvt_f32_ubyte0_e32 v208, v38
	v_cvt_f32_ubyte1_e32 v210, v38
	v_cvt_f32_i32_e32 v39, v29
	ds_read2_b32 v[29:30], v35 offset0:8 offset1:9
	v_fma_mix_f32 v38, v221, v208, 0 op_sel:[1,0,0] op_sel_hi:[1,0,0]
	v_fma_mix_f32 v38, v222, v210, v38 op_sel:[1,0,0] op_sel_hi:[1,0,0]
	v_fma_mix_f32 v39, v221, v39, 0 op_sel_hi:[1,0,0]
	v_mul_f32_e32 v38, v38, v197
	s_waitcnt lgkmcnt(0)
	v_dot4_i32_i8 v31, v29, v63, 0
	v_dot4_i32_i8 v33, v30, v64, v31
	ds_read2_b32 v[31:32], v35 offset0:10 offset1:11
	s_waitcnt lgkmcnt(0)
	v_dot4_i32_i8 v33, v31, v65, v33
	v_dot4_i32_i8 v36, v32, v66, v33
	ds_read2_b32 v[33:34], v35 offset0:12 offset1:13
	;; [unrolled: 4-line block ×3, first 2 shown]
	s_waitcnt lgkmcnt(0)
	v_dot4_i32_i8 v40, v35, v219, v40
	v_dot4_i32_i8 v40, v36, v220, v40
	v_mul_lo_u32 v37, v40, v209
	v_cvt_f32_i32_e32 v37, v37
	v_fma_mix_f32 v37, v222, v37, v39 op_sel_hi:[1,0,0]
	v_fma_f32 v37, v37, v198, -v38
	v_add_f32_e32 v133, v133, v37
	ds_read2_b32 v[37:38], v51 offset1:1
	s_waitcnt lgkmcnt(0)
	v_dot4_i32_i8 v39, v37, v55, 0
	v_dot4_i32_i8 v41, v38, v56, v39
	ds_read2_b32 v[39:40], v51 offset0:2 offset1:3
	s_waitcnt lgkmcnt(0)
	v_dot4_i32_i8 v41, v39, v57, v41
	v_dot4_i32_i8 v43, v40, v58, v41
	ds_read2_b32 v[41:42], v51 offset0:4 offset1:5
	;; [unrolled: 4-line block ×3, first 2 shown]
	ds_read_u16 v53, v45
	ds_read_u16 v54, v45 offset:8
	s_waitcnt lgkmcnt(2)
	v_dot4_i32_i8 v46, v43, v61, v46
	v_dot4_i32_i8 v46, v44, v62, v46
	s_waitcnt lgkmcnt(1)
	v_and_b32_e32 v211, 0xff, v53
	v_mul_lo_u32 v45, v46, v211
	v_lshrrev_b16_e32 v213, 8, v53
	s_waitcnt lgkmcnt(0)
	v_cvt_f32_ubyte0_e32 v212, v54
	v_cvt_f32_ubyte1_e32 v214, v54
	v_cvt_f32_i32_e32 v67, v45
	ds_read2_b32 v[45:46], v51 offset0:8 offset1:9
	v_fma_mix_f32 v54, v221, v212, 0 op_sel:[1,0,0] op_sel_hi:[1,0,0]
	v_fma_mix_f32 v54, v222, v214, v54 op_sel:[1,0,0] op_sel_hi:[1,0,0]
	v_fma_mix_f32 v67, v221, v67, 0 op_sel_hi:[1,0,0]
	v_mul_f32_e32 v54, v54, v199
	s_waitcnt lgkmcnt(0)
	v_dot4_i32_i8 v47, v45, v63, 0
	v_dot4_i32_i8 v49, v46, v64, v47
	ds_read2_b32 v[47:48], v51 offset0:10 offset1:11
	s_waitcnt lgkmcnt(0)
	v_dot4_i32_i8 v49, v47, v65, v49
	v_dot4_i32_i8 v52, v48, v66, v49
	ds_read2_b32 v[49:50], v51 offset0:12 offset1:13
	;; [unrolled: 4-line block ×3, first 2 shown]
	s_waitcnt lgkmcnt(0)
	v_dot4_i32_i8 v68, v51, v219, v68
	v_dot4_i32_i8 v68, v52, v220, v68
	v_mul_lo_u32 v53, v68, v213
	v_add_u32_e32 v68, s18, v161
	v_cvt_f32_i32_e32 v53, v53
	v_fma_mix_f32 v53, v222, v53, v67 op_sel_hi:[1,0,0]
	v_fma_f32 v53, v53, v200, -v54
	v_add_f32_e32 v132, v132, v53
	ds_read2_b32 v[53:54], v68 offset1:1
	v_add3_u32 v67, s17, v194, v189
	s_waitcnt lgkmcnt(0)
	v_dot4_i32_i8 v55, v53, v55, 0
	v_dot4_i32_i8 v215, v54, v56, v55
	ds_read2_b32 v[55:56], v68 offset0:2 offset1:3
	s_waitcnt lgkmcnt(0)
	v_dot4_i32_i8 v57, v55, v57, v215
	v_dot4_i32_i8 v215, v56, v58, v57
	ds_read2_b32 v[57:58], v68 offset0:4 offset1:5
	;; [unrolled: 4-line block ×3, first 2 shown]
	ds_read_u16 v223, v67
	ds_read_u16 v224, v67 offset:8
	s_waitcnt lgkmcnt(2)
	v_dot4_i32_i8 v61, v59, v61, v215
	v_dot4_i32_i8 v61, v60, v62, v61
	s_waitcnt lgkmcnt(1)
	v_and_b32_e32 v215, 0xff, v223
	v_mul_lo_u32 v61, v61, v215
	s_waitcnt lgkmcnt(0)
	v_cvt_f32_ubyte0_e32 v216, v224
	v_cvt_f32_i32_e32 v225, v61
	ds_read2_b32 v[61:62], v68 offset0:8 offset1:9
	s_waitcnt lgkmcnt(0)
	v_dot4_i32_i8 v63, v61, v63, 0
	v_dot4_i32_i8 v67, v62, v64, v63
	ds_read2_b32 v[63:64], v68 offset0:10 offset1:11
	s_waitcnt lgkmcnt(0)
	v_dot4_i32_i8 v65, v63, v65, v67
	v_dot4_i32_i8 v67, v64, v66, v65
	;; [unrolled: 4-line block ×4, first 2 shown]
	v_lshrrev_b16_e32 v217, 8, v223
	v_mul_lo_u32 v218, v218, v217
	v_fma_mix_f32 v220, v221, v216, 0 op_sel:[1,0,0] op_sel_hi:[1,0,0]
	v_fma_mix_f32 v221, v221, v225, 0 op_sel_hi:[1,0,0]
	v_cvt_f32_i32_e32 v219, v218
	v_cvt_f32_ubyte1_e32 v218, v224
	v_fma_mix_f32 v220, v222, v218, v220 op_sel:[1,0,0] op_sel_hi:[1,0,0]
	v_mul_f32_e32 v220, v220, v201
	v_fma_mix_f32 v219, v222, v219, v221 op_sel_hi:[1,0,0]
	v_fma_f32 v219, v219, v202, -v220
	v_add_f32_e32 v128, v128, v219
	v_or_b32_e32 v219, s1, v151
	v_lshlrev_b32_e32 v231, 2, v219
	v_lshrrev_b32_e32 v235, 1, v219
	ds_read_b128 v[219:222], v231 offset:33280
	ds_read_b128 v[223:226], v231 offset:33296
	;; [unrolled: 1-line block ×4, first 2 shown]
	ds_read_b64 v[235:236], v235 offset:43584
	s_waitcnt lgkmcnt(4)
	v_dot4_i32_i8 v237, v5, v219, 0
	v_dot4_i32_i8 v237, v6, v220, v237
	s_waitcnt lgkmcnt(2)
	v_dot4_i32_i8 v239, v13, v227, 0
	v_dot4_i32_i8 v237, v7, v221, v237
	;; [unrolled: 1-line block ×8, first 2 shown]
	s_waitcnt lgkmcnt(1)
	v_dot4_i32_i8 v239, v17, v231, v239
	v_dot4_i32_i8 v237, v11, v225, v237
	;; [unrolled: 1-line block ×5, first 2 shown]
	v_mul_lo_u32 v237, v237, v206
	v_dot4_i32_i8 v239, v20, v234, v239
	v_mul_lo_u32 v239, v239, v204
	s_waitcnt lgkmcnt(0)
	v_fma_mix_f32 v238, v203, v235, 0 op_sel:[0,1,0] op_sel_hi:[0,1,0]
	v_cvt_f32_i32_e32 v237, v237
	v_fma_mix_f32 v238, v205, v236, v238 op_sel:[0,1,0] op_sel_hi:[0,1,0]
	v_cvt_f32_i32_e32 v239, v239
	v_mul_f32_e32 v238, v238, v196
	v_fma_mix_f32 v237, v237, v235, 0 op_sel_hi:[0,1,0]
	v_fma_mix_f32 v237, v239, v236, v237 op_sel_hi:[0,1,0]
	v_fma_f32 v237, v237, v195, -v238
	v_add_f32_e32 v122, v122, v237
	v_dot4_i32_i8 v237, v21, v219, 0
	v_dot4_i32_i8 v237, v22, v220, v237
	v_dot4_i32_i8 v239, v29, v227, 0
	v_dot4_i32_i8 v237, v23, v221, v237
	v_dot4_i32_i8 v239, v30, v228, v239
	v_dot4_i32_i8 v237, v24, v222, v237
	v_dot4_i32_i8 v239, v31, v229, v239
	v_dot4_i32_i8 v237, v25, v223, v237
	v_dot4_i32_i8 v239, v32, v230, v239
	v_dot4_i32_i8 v237, v26, v224, v237
	v_dot4_i32_i8 v239, v33, v231, v239
	v_dot4_i32_i8 v237, v27, v225, v237
	v_dot4_i32_i8 v239, v34, v232, v239
	v_dot4_i32_i8 v237, v28, v226, v237
	v_dot4_i32_i8 v239, v35, v233, v239
	v_mul_lo_u32 v237, v237, v207
	v_dot4_i32_i8 v239, v36, v234, v239
	v_mul_lo_u32 v239, v239, v209
	v_fma_mix_f32 v238, v208, v235, 0 op_sel:[0,1,0] op_sel_hi:[0,1,0]
	v_cvt_f32_i32_e32 v237, v237
	v_fma_mix_f32 v238, v210, v236, v238 op_sel:[0,1,0] op_sel_hi:[0,1,0]
	v_cvt_f32_i32_e32 v239, v239
	v_mul_f32_e32 v238, v238, v197
	v_fma_mix_f32 v237, v237, v235, 0 op_sel_hi:[0,1,0]
	v_fma_mix_f32 v237, v239, v236, v237 op_sel_hi:[0,1,0]
	v_fma_f32 v237, v237, v198, -v238
	v_add_f32_e32 v111, v111, v237
	v_dot4_i32_i8 v237, v37, v219, 0
	v_dot4_i32_i8 v219, v53, v219, 0
	;; [unrolled: 1-line block ×24, first 2 shown]
	v_mul_lo_u32 v219, v219, v215
	v_dot4_i32_i8 v221, v68, v234, v221
	v_dot4_i32_i8 v237, v42, v224, v237
	;; [unrolled: 1-line block ×3, first 2 shown]
	v_mul_lo_u32 v221, v221, v217
	v_dot4_i32_i8 v237, v43, v225, v237
	v_dot4_i32_i8 v239, v50, v232, v239
	;; [unrolled: 1-line block ×4, first 2 shown]
	v_mul_lo_u32 v237, v237, v211
	v_dot4_i32_i8 v239, v52, v234, v239
	v_cvt_f32_i32_e32 v219, v219
	v_mul_lo_u32 v239, v239, v213
	v_cvt_f32_i32_e32 v221, v221
	v_fma_mix_f32 v220, v216, v235, 0 op_sel:[0,1,0] op_sel_hi:[0,1,0]
	v_cvt_f32_i32_e32 v237, v237
	v_fma_mix_f32 v219, v219, v235, 0 op_sel_hi:[0,1,0]
	v_fma_mix_f32 v220, v218, v236, v220 op_sel:[0,1,0] op_sel_hi:[0,1,0]
	v_cvt_f32_i32_e32 v239, v239
	v_fma_mix_f32 v219, v221, v236, v219 op_sel_hi:[0,1,0]
	v_mul_f32_e32 v220, v220, v201
	v_fma_f32 v219, v219, v202, -v220
	v_fma_mix_f32 v238, v212, v235, 0 op_sel:[0,1,0] op_sel_hi:[0,1,0]
	v_add_f32_e32 v95, v95, v219
	v_or_b32_e32 v219, s1, v152
	v_fma_mix_f32 v237, v237, v235, 0 op_sel_hi:[0,1,0]
	v_fma_mix_f32 v238, v214, v236, v238 op_sel:[0,1,0] op_sel_hi:[0,1,0]
	v_lshlrev_b32_e32 v231, 2, v219
	v_lshrrev_b32_e32 v235, 1, v219
	v_fma_mix_f32 v237, v239, v236, v237 op_sel_hi:[0,1,0]
	v_mul_f32_e32 v238, v238, v199
	ds_read_b128 v[219:222], v231 offset:33280
	ds_read_b128 v[223:226], v231 offset:33296
	;; [unrolled: 1-line block ×4, first 2 shown]
	ds_read_b64 v[235:236], v235 offset:43584
	v_fma_f32 v237, v237, v200, -v238
	v_add_f32_e32 v104, v104, v237
	s_waitcnt lgkmcnt(4)
	v_dot4_i32_i8 v237, v5, v219, 0
	v_dot4_i32_i8 v237, v6, v220, v237
	s_waitcnt lgkmcnt(2)
	v_dot4_i32_i8 v239, v13, v227, 0
	v_dot4_i32_i8 v237, v7, v221, v237
	;; [unrolled: 1-line block ×8, first 2 shown]
	s_waitcnt lgkmcnt(1)
	v_dot4_i32_i8 v239, v17, v231, v239
	v_dot4_i32_i8 v237, v11, v225, v237
	;; [unrolled: 1-line block ×5, first 2 shown]
	v_mul_lo_u32 v237, v237, v206
	v_dot4_i32_i8 v239, v20, v234, v239
	v_mul_lo_u32 v239, v239, v204
	s_waitcnt lgkmcnt(0)
	v_fma_mix_f32 v238, v203, v235, 0 op_sel:[0,1,0] op_sel_hi:[0,1,0]
	v_cvt_f32_i32_e32 v237, v237
	v_fma_mix_f32 v238, v205, v236, v238 op_sel:[0,1,0] op_sel_hi:[0,1,0]
	v_cvt_f32_i32_e32 v239, v239
	v_mul_f32_e32 v238, v238, v196
	v_fma_mix_f32 v237, v237, v235, 0 op_sel_hi:[0,1,0]
	v_fma_mix_f32 v237, v239, v236, v237 op_sel_hi:[0,1,0]
	v_fma_f32 v237, v237, v195, -v238
	v_add_f32_e32 v94, v94, v237
	v_dot4_i32_i8 v237, v21, v219, 0
	v_dot4_i32_i8 v237, v22, v220, v237
	;; [unrolled: 1-line block ×15, first 2 shown]
	v_mul_lo_u32 v237, v237, v207
	v_dot4_i32_i8 v239, v36, v234, v239
	v_mul_lo_u32 v239, v239, v209
	v_fma_mix_f32 v238, v208, v235, 0 op_sel:[0,1,0] op_sel_hi:[0,1,0]
	v_cvt_f32_i32_e32 v237, v237
	v_fma_mix_f32 v238, v210, v236, v238 op_sel:[0,1,0] op_sel_hi:[0,1,0]
	v_cvt_f32_i32_e32 v239, v239
	v_mul_f32_e32 v238, v238, v197
	v_fma_mix_f32 v237, v237, v235, 0 op_sel_hi:[0,1,0]
	v_fma_mix_f32 v237, v239, v236, v237 op_sel_hi:[0,1,0]
	v_fma_f32 v237, v237, v198, -v238
	v_add_f32_e32 v93, v93, v237
	v_dot4_i32_i8 v237, v37, v219, 0
	v_dot4_i32_i8 v219, v53, v219, 0
	;; [unrolled: 1-line block ×24, first 2 shown]
	v_mul_lo_u32 v219, v219, v215
	v_dot4_i32_i8 v221, v68, v234, v221
	v_dot4_i32_i8 v237, v42, v224, v237
	;; [unrolled: 1-line block ×3, first 2 shown]
	v_mul_lo_u32 v221, v221, v217
	v_dot4_i32_i8 v237, v43, v225, v237
	v_dot4_i32_i8 v239, v50, v232, v239
	;; [unrolled: 1-line block ×4, first 2 shown]
	v_mul_lo_u32 v237, v237, v211
	v_dot4_i32_i8 v239, v52, v234, v239
	v_cvt_f32_i32_e32 v219, v219
	v_mul_lo_u32 v239, v239, v213
	v_cvt_f32_i32_e32 v221, v221
	v_fma_mix_f32 v220, v216, v235, 0 op_sel:[0,1,0] op_sel_hi:[0,1,0]
	v_cvt_f32_i32_e32 v237, v237
	v_fma_mix_f32 v219, v219, v235, 0 op_sel_hi:[0,1,0]
	v_fma_mix_f32 v220, v218, v236, v220 op_sel:[0,1,0] op_sel_hi:[0,1,0]
	v_cvt_f32_i32_e32 v239, v239
	v_fma_mix_f32 v219, v221, v236, v219 op_sel_hi:[0,1,0]
	v_mul_f32_e32 v220, v220, v201
	v_fma_f32 v219, v219, v202, -v220
	v_fma_mix_f32 v238, v212, v235, 0 op_sel:[0,1,0] op_sel_hi:[0,1,0]
	v_add_f32_e32 v91, v91, v219
	v_or_b32_e32 v219, s1, v153
	v_fma_mix_f32 v237, v237, v235, 0 op_sel_hi:[0,1,0]
	v_fma_mix_f32 v238, v214, v236, v238 op_sel:[0,1,0] op_sel_hi:[0,1,0]
	v_lshlrev_b32_e32 v231, 2, v219
	v_lshrrev_b32_e32 v235, 1, v219
	v_fma_mix_f32 v237, v239, v236, v237 op_sel_hi:[0,1,0]
	v_mul_f32_e32 v238, v238, v199
	ds_read_b128 v[219:222], v231 offset:33280
	ds_read_b128 v[223:226], v231 offset:33296
	;; [unrolled: 1-line block ×4, first 2 shown]
	ds_read_b64 v[235:236], v235 offset:43584
	v_fma_f32 v237, v237, v200, -v238
	v_add_f32_e32 v92, v92, v237
	s_waitcnt lgkmcnt(4)
	v_dot4_i32_i8 v237, v5, v219, 0
	v_dot4_i32_i8 v237, v6, v220, v237
	s_waitcnt lgkmcnt(2)
	v_dot4_i32_i8 v239, v13, v227, 0
	v_dot4_i32_i8 v237, v7, v221, v237
	;; [unrolled: 1-line block ×8, first 2 shown]
	s_waitcnt lgkmcnt(1)
	v_dot4_i32_i8 v239, v17, v231, v239
	v_dot4_i32_i8 v237, v11, v225, v237
	v_dot4_i32_i8 v239, v18, v232, v239
	v_dot4_i32_i8 v237, v12, v226, v237
	v_dot4_i32_i8 v239, v19, v233, v239
	v_mul_lo_u32 v237, v237, v206
	v_dot4_i32_i8 v239, v20, v234, v239
	v_mul_lo_u32 v239, v239, v204
	s_waitcnt lgkmcnt(0)
	v_fma_mix_f32 v238, v203, v235, 0 op_sel:[0,1,0] op_sel_hi:[0,1,0]
	v_cvt_f32_i32_e32 v237, v237
	v_fma_mix_f32 v238, v205, v236, v238 op_sel:[0,1,0] op_sel_hi:[0,1,0]
	v_cvt_f32_i32_e32 v239, v239
	v_mul_f32_e32 v238, v238, v196
	v_fma_mix_f32 v237, v237, v235, 0 op_sel_hi:[0,1,0]
	v_fma_mix_f32 v237, v239, v236, v237 op_sel_hi:[0,1,0]
	v_fma_f32 v237, v237, v195, -v238
	v_add_f32_e32 v89, v89, v237
	v_dot4_i32_i8 v237, v21, v219, 0
	v_dot4_i32_i8 v237, v22, v220, v237
	v_dot4_i32_i8 v239, v29, v227, 0
	v_dot4_i32_i8 v237, v23, v221, v237
	v_dot4_i32_i8 v239, v30, v228, v239
	v_dot4_i32_i8 v237, v24, v222, v237
	v_dot4_i32_i8 v239, v31, v229, v239
	v_dot4_i32_i8 v237, v25, v223, v237
	v_dot4_i32_i8 v239, v32, v230, v239
	v_dot4_i32_i8 v237, v26, v224, v237
	v_dot4_i32_i8 v239, v33, v231, v239
	v_dot4_i32_i8 v237, v27, v225, v237
	v_dot4_i32_i8 v239, v34, v232, v239
	v_dot4_i32_i8 v237, v28, v226, v237
	v_dot4_i32_i8 v239, v35, v233, v239
	v_mul_lo_u32 v237, v237, v207
	v_dot4_i32_i8 v239, v36, v234, v239
	v_mul_lo_u32 v239, v239, v209
	v_fma_mix_f32 v238, v208, v235, 0 op_sel:[0,1,0] op_sel_hi:[0,1,0]
	v_cvt_f32_i32_e32 v237, v237
	v_fma_mix_f32 v238, v210, v236, v238 op_sel:[0,1,0] op_sel_hi:[0,1,0]
	v_cvt_f32_i32_e32 v239, v239
	v_mul_f32_e32 v238, v238, v197
	v_fma_mix_f32 v237, v237, v235, 0 op_sel_hi:[0,1,0]
	v_fma_mix_f32 v237, v239, v236, v237 op_sel_hi:[0,1,0]
	v_fma_f32 v237, v237, v198, -v238
	v_add_f32_e32 v87, v87, v237
	v_dot4_i32_i8 v237, v37, v219, 0
	v_dot4_i32_i8 v219, v53, v219, 0
	;; [unrolled: 1-line block ×24, first 2 shown]
	v_mul_lo_u32 v219, v219, v215
	v_dot4_i32_i8 v221, v68, v234, v221
	v_dot4_i32_i8 v237, v42, v224, v237
	;; [unrolled: 1-line block ×3, first 2 shown]
	v_mul_lo_u32 v221, v221, v217
	v_dot4_i32_i8 v237, v43, v225, v237
	v_dot4_i32_i8 v239, v50, v232, v239
	;; [unrolled: 1-line block ×4, first 2 shown]
	v_mul_lo_u32 v237, v237, v211
	v_dot4_i32_i8 v239, v52, v234, v239
	v_cvt_f32_i32_e32 v219, v219
	v_mul_lo_u32 v239, v239, v213
	v_cvt_f32_i32_e32 v221, v221
	v_fma_mix_f32 v220, v216, v235, 0 op_sel:[0,1,0] op_sel_hi:[0,1,0]
	v_cvt_f32_i32_e32 v237, v237
	v_fma_mix_f32 v219, v219, v235, 0 op_sel_hi:[0,1,0]
	v_fma_mix_f32 v220, v218, v236, v220 op_sel:[0,1,0] op_sel_hi:[0,1,0]
	v_cvt_f32_i32_e32 v239, v239
	v_fma_mix_f32 v219, v221, v236, v219 op_sel_hi:[0,1,0]
	v_mul_f32_e32 v220, v220, v201
	v_fma_f32 v219, v219, v202, -v220
	v_fma_mix_f32 v238, v212, v235, 0 op_sel:[0,1,0] op_sel_hi:[0,1,0]
	v_add_f32_e32 v85, v85, v219
	v_or_b32_e32 v219, s1, v154
	v_fma_mix_f32 v237, v237, v235, 0 op_sel_hi:[0,1,0]
	v_fma_mix_f32 v238, v214, v236, v238 op_sel:[0,1,0] op_sel_hi:[0,1,0]
	v_lshlrev_b32_e32 v231, 2, v219
	v_lshrrev_b32_e32 v235, 1, v219
	v_fma_mix_f32 v237, v239, v236, v237 op_sel_hi:[0,1,0]
	v_mul_f32_e32 v238, v238, v199
	ds_read_b128 v[219:222], v231 offset:33280
	ds_read_b128 v[223:226], v231 offset:33296
	;; [unrolled: 1-line block ×4, first 2 shown]
	ds_read_b64 v[235:236], v235 offset:43584
	v_fma_f32 v237, v237, v200, -v238
	v_add_f32_e32 v86, v86, v237
	s_waitcnt lgkmcnt(4)
	v_dot4_i32_i8 v237, v5, v219, 0
	v_dot4_i32_i8 v237, v6, v220, v237
	s_waitcnt lgkmcnt(2)
	v_dot4_i32_i8 v239, v13, v227, 0
	v_dot4_i32_i8 v237, v7, v221, v237
	;; [unrolled: 1-line block ×8, first 2 shown]
	s_waitcnt lgkmcnt(1)
	v_dot4_i32_i8 v239, v17, v231, v239
	v_dot4_i32_i8 v237, v11, v225, v237
	;; [unrolled: 1-line block ×5, first 2 shown]
	v_mul_lo_u32 v237, v237, v206
	v_dot4_i32_i8 v239, v20, v234, v239
	v_mul_lo_u32 v239, v239, v204
	s_waitcnt lgkmcnt(0)
	v_fma_mix_f32 v238, v203, v235, 0 op_sel:[0,1,0] op_sel_hi:[0,1,0]
	v_cvt_f32_i32_e32 v237, v237
	v_fma_mix_f32 v238, v205, v236, v238 op_sel:[0,1,0] op_sel_hi:[0,1,0]
	v_cvt_f32_i32_e32 v239, v239
	v_mul_f32_e32 v238, v238, v196
	v_fma_mix_f32 v237, v237, v235, 0 op_sel_hi:[0,1,0]
	v_fma_mix_f32 v237, v239, v236, v237 op_sel_hi:[0,1,0]
	v_fma_f32 v237, v237, v195, -v238
	v_add_f32_e32 v84, v84, v237
	v_dot4_i32_i8 v237, v21, v219, 0
	v_dot4_i32_i8 v237, v22, v220, v237
	;; [unrolled: 1-line block ×15, first 2 shown]
	v_mul_lo_u32 v237, v237, v207
	v_dot4_i32_i8 v239, v36, v234, v239
	v_mul_lo_u32 v239, v239, v209
	v_fma_mix_f32 v238, v208, v235, 0 op_sel:[0,1,0] op_sel_hi:[0,1,0]
	v_cvt_f32_i32_e32 v237, v237
	v_fma_mix_f32 v238, v210, v236, v238 op_sel:[0,1,0] op_sel_hi:[0,1,0]
	v_cvt_f32_i32_e32 v239, v239
	v_mul_f32_e32 v238, v238, v197
	v_fma_mix_f32 v237, v237, v235, 0 op_sel_hi:[0,1,0]
	v_fma_mix_f32 v237, v239, v236, v237 op_sel_hi:[0,1,0]
	v_fma_f32 v237, v237, v198, -v238
	v_add_f32_e32 v83, v83, v237
	v_dot4_i32_i8 v237, v37, v219, 0
	v_dot4_i32_i8 v219, v53, v219, 0
	;; [unrolled: 1-line block ×24, first 2 shown]
	v_mul_lo_u32 v219, v219, v215
	v_dot4_i32_i8 v221, v68, v234, v221
	v_dot4_i32_i8 v237, v42, v224, v237
	;; [unrolled: 1-line block ×3, first 2 shown]
	v_mul_lo_u32 v221, v221, v217
	v_dot4_i32_i8 v237, v43, v225, v237
	v_dot4_i32_i8 v239, v50, v232, v239
	;; [unrolled: 1-line block ×4, first 2 shown]
	v_mul_lo_u32 v237, v237, v211
	v_dot4_i32_i8 v239, v52, v234, v239
	v_cvt_f32_i32_e32 v219, v219
	v_mul_lo_u32 v239, v239, v213
	v_cvt_f32_i32_e32 v221, v221
	v_fma_mix_f32 v220, v216, v235, 0 op_sel:[0,1,0] op_sel_hi:[0,1,0]
	v_cvt_f32_i32_e32 v237, v237
	v_fma_mix_f32 v219, v219, v235, 0 op_sel_hi:[0,1,0]
	v_fma_mix_f32 v220, v218, v236, v220 op_sel:[0,1,0] op_sel_hi:[0,1,0]
	v_cvt_f32_i32_e32 v239, v239
	v_fma_mix_f32 v219, v221, v236, v219 op_sel_hi:[0,1,0]
	v_mul_f32_e32 v220, v220, v201
	v_fma_f32 v219, v219, v202, -v220
	v_fma_mix_f32 v238, v212, v235, 0 op_sel:[0,1,0] op_sel_hi:[0,1,0]
	v_add_f32_e32 v81, v81, v219
	v_or_b32_e32 v219, s1, v155
	v_fma_mix_f32 v237, v237, v235, 0 op_sel_hi:[0,1,0]
	v_fma_mix_f32 v238, v214, v236, v238 op_sel:[0,1,0] op_sel_hi:[0,1,0]
	v_lshlrev_b32_e32 v231, 2, v219
	v_lshrrev_b32_e32 v235, 1, v219
	v_fma_mix_f32 v237, v239, v236, v237 op_sel_hi:[0,1,0]
	v_mul_f32_e32 v238, v238, v199
	ds_read_b128 v[219:222], v231 offset:33280
	ds_read_b128 v[223:226], v231 offset:33296
	;; [unrolled: 1-line block ×4, first 2 shown]
	ds_read_b64 v[235:236], v235 offset:43584
	v_fma_f32 v237, v237, v200, -v238
	v_add_f32_e32 v82, v82, v237
	s_waitcnt lgkmcnt(4)
	v_dot4_i32_i8 v237, v5, v219, 0
	v_dot4_i32_i8 v237, v6, v220, v237
	s_waitcnt lgkmcnt(2)
	v_dot4_i32_i8 v239, v13, v227, 0
	v_dot4_i32_i8 v237, v7, v221, v237
	;; [unrolled: 1-line block ×8, first 2 shown]
	s_waitcnt lgkmcnt(1)
	v_dot4_i32_i8 v239, v17, v231, v239
	v_dot4_i32_i8 v237, v11, v225, v237
	;; [unrolled: 1-line block ×5, first 2 shown]
	v_mul_lo_u32 v237, v237, v206
	v_dot4_i32_i8 v239, v20, v234, v239
	v_mul_lo_u32 v239, v239, v204
	s_waitcnt lgkmcnt(0)
	v_fma_mix_f32 v238, v203, v235, 0 op_sel:[0,1,0] op_sel_hi:[0,1,0]
	v_cvt_f32_i32_e32 v237, v237
	v_fma_mix_f32 v238, v205, v236, v238 op_sel:[0,1,0] op_sel_hi:[0,1,0]
	v_cvt_f32_i32_e32 v239, v239
	v_mul_f32_e32 v238, v238, v196
	v_fma_mix_f32 v237, v237, v235, 0 op_sel_hi:[0,1,0]
	v_fma_mix_f32 v237, v239, v236, v237 op_sel_hi:[0,1,0]
	v_fma_f32 v237, v237, v195, -v238
	v_add_f32_e32 v80, v80, v237
	v_dot4_i32_i8 v237, v21, v219, 0
	v_dot4_i32_i8 v237, v22, v220, v237
	v_dot4_i32_i8 v239, v29, v227, 0
	v_dot4_i32_i8 v237, v23, v221, v237
	v_dot4_i32_i8 v239, v30, v228, v239
	v_dot4_i32_i8 v237, v24, v222, v237
	v_dot4_i32_i8 v239, v31, v229, v239
	v_dot4_i32_i8 v237, v25, v223, v237
	v_dot4_i32_i8 v239, v32, v230, v239
	v_dot4_i32_i8 v237, v26, v224, v237
	v_dot4_i32_i8 v239, v33, v231, v239
	v_dot4_i32_i8 v237, v27, v225, v237
	v_dot4_i32_i8 v239, v34, v232, v239
	v_dot4_i32_i8 v237, v28, v226, v237
	v_dot4_i32_i8 v239, v35, v233, v239
	v_mul_lo_u32 v237, v237, v207
	v_dot4_i32_i8 v239, v36, v234, v239
	v_mul_lo_u32 v239, v239, v209
	v_fma_mix_f32 v238, v208, v235, 0 op_sel:[0,1,0] op_sel_hi:[0,1,0]
	v_cvt_f32_i32_e32 v237, v237
	v_fma_mix_f32 v238, v210, v236, v238 op_sel:[0,1,0] op_sel_hi:[0,1,0]
	v_cvt_f32_i32_e32 v239, v239
	v_mul_f32_e32 v238, v238, v197
	v_fma_mix_f32 v237, v237, v235, 0 op_sel_hi:[0,1,0]
	v_fma_mix_f32 v237, v239, v236, v237 op_sel_hi:[0,1,0]
	v_fma_f32 v237, v237, v198, -v238
	v_add_f32_e32 v79, v79, v237
	v_dot4_i32_i8 v237, v37, v219, 0
	v_dot4_i32_i8 v219, v53, v219, 0
	;; [unrolled: 1-line block ×24, first 2 shown]
	v_mul_lo_u32 v219, v219, v215
	v_dot4_i32_i8 v221, v68, v234, v221
	v_dot4_i32_i8 v237, v42, v224, v237
	;; [unrolled: 1-line block ×3, first 2 shown]
	v_mul_lo_u32 v221, v221, v217
	v_dot4_i32_i8 v237, v43, v225, v237
	v_dot4_i32_i8 v239, v50, v232, v239
	v_dot4_i32_i8 v237, v44, v226, v237
	v_dot4_i32_i8 v239, v51, v233, v239
	v_mul_lo_u32 v237, v237, v211
	v_dot4_i32_i8 v239, v52, v234, v239
	v_cvt_f32_i32_e32 v219, v219
	v_mul_lo_u32 v239, v239, v213
	v_cvt_f32_i32_e32 v221, v221
	v_fma_mix_f32 v220, v216, v235, 0 op_sel:[0,1,0] op_sel_hi:[0,1,0]
	v_cvt_f32_i32_e32 v237, v237
	v_fma_mix_f32 v219, v219, v235, 0 op_sel_hi:[0,1,0]
	v_fma_mix_f32 v220, v218, v236, v220 op_sel:[0,1,0] op_sel_hi:[0,1,0]
	v_cvt_f32_i32_e32 v239, v239
	v_fma_mix_f32 v219, v221, v236, v219 op_sel_hi:[0,1,0]
	v_mul_f32_e32 v220, v220, v201
	v_fma_f32 v219, v219, v202, -v220
	v_fma_mix_f32 v238, v212, v235, 0 op_sel:[0,1,0] op_sel_hi:[0,1,0]
	v_add_f32_e32 v77, v77, v219
	v_or_b32_e32 v219, s1, v156
	v_fma_mix_f32 v237, v237, v235, 0 op_sel_hi:[0,1,0]
	v_fma_mix_f32 v238, v214, v236, v238 op_sel:[0,1,0] op_sel_hi:[0,1,0]
	v_lshlrev_b32_e32 v231, 2, v219
	v_lshrrev_b32_e32 v235, 1, v219
	v_fma_mix_f32 v237, v239, v236, v237 op_sel_hi:[0,1,0]
	v_mul_f32_e32 v238, v238, v199
	ds_read_b128 v[219:222], v231 offset:33280
	ds_read_b128 v[223:226], v231 offset:33296
	ds_read_b128 v[227:230], v231 offset:33312
	ds_read_b128 v[231:234], v231 offset:33328
	ds_read_b64 v[235:236], v235 offset:43584
	v_fma_f32 v237, v237, v200, -v238
	v_add_f32_e32 v78, v78, v237
	s_waitcnt lgkmcnt(4)
	v_dot4_i32_i8 v237, v5, v219, 0
	v_dot4_i32_i8 v237, v6, v220, v237
	s_waitcnt lgkmcnt(2)
	v_dot4_i32_i8 v239, v13, v227, 0
	v_dot4_i32_i8 v237, v7, v221, v237
	;; [unrolled: 1-line block ×8, first 2 shown]
	s_waitcnt lgkmcnt(1)
	v_dot4_i32_i8 v239, v17, v231, v239
	v_dot4_i32_i8 v237, v11, v225, v237
	v_dot4_i32_i8 v239, v18, v232, v239
	v_dot4_i32_i8 v237, v12, v226, v237
	v_dot4_i32_i8 v239, v19, v233, v239
	v_mul_lo_u32 v237, v237, v206
	v_dot4_i32_i8 v239, v20, v234, v239
	v_mul_lo_u32 v239, v239, v204
	s_waitcnt lgkmcnt(0)
	v_fma_mix_f32 v238, v203, v235, 0 op_sel:[0,1,0] op_sel_hi:[0,1,0]
	v_cvt_f32_i32_e32 v237, v237
	v_fma_mix_f32 v238, v205, v236, v238 op_sel:[0,1,0] op_sel_hi:[0,1,0]
	v_cvt_f32_i32_e32 v239, v239
	v_mul_f32_e32 v238, v238, v196
	v_fma_mix_f32 v237, v237, v235, 0 op_sel_hi:[0,1,0]
	v_fma_mix_f32 v237, v239, v236, v237 op_sel_hi:[0,1,0]
	v_fma_f32 v237, v237, v195, -v238
	v_add_f32_e32 v76, v76, v237
	v_dot4_i32_i8 v237, v21, v219, 0
	v_dot4_i32_i8 v237, v22, v220, v237
	;; [unrolled: 1-line block ×15, first 2 shown]
	v_mul_lo_u32 v237, v237, v207
	v_dot4_i32_i8 v239, v36, v234, v239
	v_mul_lo_u32 v239, v239, v209
	v_fma_mix_f32 v238, v208, v235, 0 op_sel:[0,1,0] op_sel_hi:[0,1,0]
	v_cvt_f32_i32_e32 v237, v237
	v_fma_mix_f32 v238, v210, v236, v238 op_sel:[0,1,0] op_sel_hi:[0,1,0]
	v_cvt_f32_i32_e32 v239, v239
	v_mul_f32_e32 v238, v238, v197
	v_fma_mix_f32 v237, v237, v235, 0 op_sel_hi:[0,1,0]
	v_fma_mix_f32 v237, v239, v236, v237 op_sel_hi:[0,1,0]
	v_fma_f32 v237, v237, v198, -v238
	v_add_f32_e32 v75, v75, v237
	v_dot4_i32_i8 v237, v37, v219, 0
	v_dot4_i32_i8 v219, v53, v219, 0
	;; [unrolled: 1-line block ×24, first 2 shown]
	v_mul_lo_u32 v219, v219, v215
	v_dot4_i32_i8 v221, v68, v234, v221
	v_dot4_i32_i8 v237, v42, v224, v237
	;; [unrolled: 1-line block ×3, first 2 shown]
	v_mul_lo_u32 v221, v221, v217
	v_dot4_i32_i8 v237, v43, v225, v237
	v_dot4_i32_i8 v239, v50, v232, v239
	;; [unrolled: 1-line block ×4, first 2 shown]
	v_mul_lo_u32 v237, v237, v211
	v_dot4_i32_i8 v239, v52, v234, v239
	v_cvt_f32_i32_e32 v219, v219
	v_mul_lo_u32 v239, v239, v213
	v_cvt_f32_i32_e32 v221, v221
	v_fma_mix_f32 v220, v216, v235, 0 op_sel:[0,1,0] op_sel_hi:[0,1,0]
	v_cvt_f32_i32_e32 v237, v237
	v_fma_mix_f32 v219, v219, v235, 0 op_sel_hi:[0,1,0]
	v_fma_mix_f32 v220, v218, v236, v220 op_sel:[0,1,0] op_sel_hi:[0,1,0]
	v_cvt_f32_i32_e32 v239, v239
	v_fma_mix_f32 v219, v221, v236, v219 op_sel_hi:[0,1,0]
	v_mul_f32_e32 v220, v220, v201
	v_fma_f32 v219, v219, v202, -v220
	v_add_f32_e32 v73, v73, v219
	v_or_b32_e32 v219, s1, v157
	v_fma_mix_f32 v237, v237, v235, 0 op_sel_hi:[0,1,0]
	v_fma_mix_f32 v238, v212, v235, 0 op_sel:[0,1,0] op_sel_hi:[0,1,0]
	v_lshlrev_b32_e32 v231, 2, v219
	v_lshrrev_b32_e32 v235, 1, v219
	v_fma_mix_f32 v237, v239, v236, v237 op_sel_hi:[0,1,0]
	v_fma_mix_f32 v238, v214, v236, v238 op_sel:[0,1,0] op_sel_hi:[0,1,0]
	ds_read_b128 v[219:222], v231 offset:33280
	ds_read_b128 v[223:226], v231 offset:33296
	;; [unrolled: 1-line block ×4, first 2 shown]
	ds_read_b64 v[235:236], v235 offset:43584
	s_waitcnt lgkmcnt(4)
	v_dot4_i32_i8 v5, v5, v219, 0
	v_dot4_i32_i8 v5, v6, v220, v5
	;; [unrolled: 1-line block ×3, first 2 shown]
	s_waitcnt lgkmcnt(2)
	v_dot4_i32_i8 v7, v13, v227, 0
	v_dot4_i32_i8 v7, v14, v228, v7
	;; [unrolled: 1-line block ×7, first 2 shown]
	s_waitcnt lgkmcnt(1)
	v_dot4_i32_i8 v7, v17, v231, v7
	v_dot4_i32_i8 v5, v11, v225, v5
	;; [unrolled: 1-line block ×5, first 2 shown]
	v_mul_lo_u32 v5, v5, v206
	v_dot4_i32_i8 v7, v20, v234, v7
	v_mul_lo_u32 v7, v7, v204
	s_waitcnt lgkmcnt(0)
	v_fma_mix_f32 v6, v203, v235, 0 op_sel:[0,1,0] op_sel_hi:[0,1,0]
	v_cvt_f32_i32_e32 v5, v5
	v_fma_mix_f32 v6, v205, v236, v6 op_sel:[0,1,0] op_sel_hi:[0,1,0]
	v_cvt_f32_i32_e32 v7, v7
	v_mul_f32_e32 v6, v6, v196
	v_fma_mix_f32 v5, v5, v235, 0 op_sel_hi:[0,1,0]
	v_mul_f32_e32 v238, v238, v199
	v_fma_mix_f32 v5, v7, v236, v5 op_sel_hi:[0,1,0]
	v_fma_f32 v5, v5, v195, -v6
	v_add_f32_e32 v72, v72, v5
	v_dot4_i32_i8 v5, v21, v219, 0
	v_dot4_i32_i8 v5, v22, v220, v5
	;; [unrolled: 1-line block ×15, first 2 shown]
	v_mul_lo_u32 v5, v5, v207
	v_dot4_i32_i8 v7, v36, v234, v7
	v_mul_lo_u32 v7, v7, v209
	v_fma_mix_f32 v6, v208, v235, 0 op_sel:[0,1,0] op_sel_hi:[0,1,0]
	v_cvt_f32_i32_e32 v5, v5
	v_fma_mix_f32 v6, v210, v236, v6 op_sel:[0,1,0] op_sel_hi:[0,1,0]
	v_cvt_f32_i32_e32 v7, v7
	v_mul_f32_e32 v6, v6, v197
	v_fma_mix_f32 v5, v5, v235, 0 op_sel_hi:[0,1,0]
	v_fma_f32 v237, v237, v200, -v238
	v_fma_mix_f32 v5, v7, v236, v5 op_sel_hi:[0,1,0]
	v_fma_f32 v5, v5, v198, -v6
	v_add_f32_e32 v71, v71, v5
	v_dot4_i32_i8 v5, v37, v219, 0
	v_dot4_i32_i8 v5, v38, v220, v5
	v_dot4_i32_i8 v7, v45, v227, 0
	v_dot4_i32_i8 v5, v39, v221, v5
	v_dot4_i32_i8 v7, v46, v228, v7
	v_dot4_i32_i8 v5, v40, v222, v5
	v_dot4_i32_i8 v7, v47, v229, v7
	v_dot4_i32_i8 v5, v41, v223, v5
	v_dot4_i32_i8 v7, v48, v230, v7
	v_dot4_i32_i8 v5, v42, v224, v5
	v_dot4_i32_i8 v7, v49, v231, v7
	v_dot4_i32_i8 v5, v43, v225, v5
	v_dot4_i32_i8 v7, v50, v232, v7
	v_dot4_i32_i8 v5, v44, v226, v5
	v_dot4_i32_i8 v7, v51, v233, v7
	v_mul_lo_u32 v5, v5, v211
	v_dot4_i32_i8 v7, v52, v234, v7
	v_mul_lo_u32 v7, v7, v213
	v_fma_mix_f32 v6, v212, v235, 0 op_sel:[0,1,0] op_sel_hi:[0,1,0]
	v_cvt_f32_i32_e32 v5, v5
	v_fma_mix_f32 v6, v214, v236, v6 op_sel:[0,1,0] op_sel_hi:[0,1,0]
	v_cvt_f32_i32_e32 v7, v7
	v_mul_f32_e32 v6, v6, v199
	v_fma_mix_f32 v5, v5, v235, 0 op_sel_hi:[0,1,0]
	s_add_i32 s1, s0, 8
	v_fma_mix_f32 v5, v7, v236, v5 op_sel_hi:[0,1,0]
	v_fma_f32 v5, v5, v200, -v6
	v_add_f32_e32 v70, v70, v5
	v_dot4_i32_i8 v5, v53, v219, 0
	v_dot4_i32_i8 v5, v54, v220, v5
	v_dot4_i32_i8 v7, v61, v227, 0
	v_dot4_i32_i8 v5, v55, v221, v5
	v_dot4_i32_i8 v7, v62, v228, v7
	v_dot4_i32_i8 v5, v56, v222, v5
	v_dot4_i32_i8 v7, v63, v229, v7
	v_dot4_i32_i8 v5, v57, v223, v5
	v_dot4_i32_i8 v7, v64, v230, v7
	v_dot4_i32_i8 v5, v58, v224, v5
	v_dot4_i32_i8 v7, v65, v231, v7
	v_dot4_i32_i8 v5, v59, v225, v5
	v_dot4_i32_i8 v7, v66, v232, v7
	v_dot4_i32_i8 v5, v60, v226, v5
	v_dot4_i32_i8 v7, v67, v233, v7
	v_mul_lo_u32 v5, v5, v215
	v_dot4_i32_i8 v7, v68, v234, v7
	v_mul_lo_u32 v7, v7, v217
	v_fma_mix_f32 v6, v216, v235, 0 op_sel:[0,1,0] op_sel_hi:[0,1,0]
	v_cvt_f32_i32_e32 v5, v5
	v_fma_mix_f32 v6, v218, v236, v6 op_sel:[0,1,0] op_sel_hi:[0,1,0]
	v_cvt_f32_i32_e32 v7, v7
	v_mul_f32_e32 v6, v6, v201
	v_fma_mix_f32 v5, v5, v235, 0 op_sel_hi:[0,1,0]
	v_add_f32_e32 v74, v74, v237
	v_fma_mix_f32 v5, v7, v236, v5 op_sel_hi:[0,1,0]
	v_fma_f32 v5, v5, v202, -v6
	v_add_f32_e32 v69, v69, v5
	s_cmp_lt_u32 s0, 24
	s_mov_b32 s0, s1
	s_cbranch_scc1 .LBB133_8
; %bb.9:                                ;   in Loop: Header=BB133_5 Depth=1
	s_add_i32 s14, s14, 1
	s_cmp_eq_u32 s14, s4
	s_barrier
	s_cbranch_scc0 .LBB133_5
; %bb.10:
	v_mov_b32_e32 v2, v88
.LBB133_11:
	v_cmp_gt_u32_e32 vcc, s8, v2
	s_and_saveexec_b64 s[0:1], vcc
	s_cbranch_execz .LBB133_62
; %bb.12:
	v_mul_lo_u32 v5, v2, s10
	v_add_u32_e32 v0, s6, v0
	v_cmp_gt_u32_e32 vcc, s10, v0
	s_and_saveexec_b64 s[2:3], vcc
	s_cbranch_execz .LBB133_14
; %bb.13:
	v_add_u32_e32 v2, v0, v5
	v_mov_b32_e32 v3, 0
	v_lshlrev_b64 v[2:3], 2, v[2:3]
	s_waitcnt lgkmcnt(0)
	v_mov_b32_e32 v4, s13
	v_add_co_u32_e64 v2, s[0:1], s12, v2
	v_addc_co_u32_e64 v3, s[0:1], v4, v3, s[0:1]
	global_store_dword v[2:3], v90, off
.LBB133_14:
	s_or_b64 exec, exec, s[2:3]
	v_add_u32_e32 v2, 32, v0
	v_cmp_gt_u32_e64 s[0:1], s10, v2
	s_and_saveexec_b64 s[4:5], s[0:1]
	s_cbranch_execz .LBB133_16
; %bb.15:
	v_add_u32_e32 v3, v2, v5
	v_mov_b32_e32 v4, 0
	v_lshlrev_b64 v[3:4], 2, v[3:4]
	s_waitcnt lgkmcnt(0)
	v_mov_b32_e32 v6, s13
	v_add_co_u32_e64 v3, s[2:3], s12, v3
	v_addc_co_u32_e64 v4, s[2:3], v6, v4, s[2:3]
	global_store_dword v[3:4], v133, off
.LBB133_16:
	s_or_b64 exec, exec, s[4:5]
	v_add_u32_e32 v3, 64, v0
	v_cmp_gt_u32_e64 s[2:3], s10, v3
	s_and_saveexec_b64 s[6:7], s[2:3]
	;; [unrolled: 15-line block ×3, first 2 shown]
	s_cbranch_execz .LBB133_20
; %bb.19:
	v_add_u32_e32 v5, v4, v5
	v_mov_b32_e32 v6, 0
	v_lshlrev_b64 v[5:6], 2, v[5:6]
	s_waitcnt lgkmcnt(0)
	v_mov_b32_e32 v7, s13
	v_add_co_u32_e64 v5, s[6:7], s12, v5
	v_addc_co_u32_e64 v6, s[6:7], v7, v6, s[6:7]
	global_store_dword v[5:6], v128, off
.LBB133_20:
	s_or_b64 exec, exec, s[14:15]
	v_add3_u32 v5, v1, s11, 8
	v_cmp_gt_u32_e64 s[6:7], s8, v5
	s_and_b64 exec, exec, s[6:7]
	s_cbranch_execz .LBB133_62
; %bb.21:
	v_mul_lo_u32 v5, v5, s10
	s_and_saveexec_b64 s[14:15], vcc
	s_cbranch_execnz .LBB133_63
; %bb.22:
	s_or_b64 exec, exec, s[14:15]
	s_and_saveexec_b64 s[14:15], s[0:1]
	s_cbranch_execnz .LBB133_64
.LBB133_23:
	s_or_b64 exec, exec, s[14:15]
	s_and_saveexec_b64 s[14:15], s[2:3]
	s_cbranch_execnz .LBB133_65
.LBB133_24:
	s_or_b64 exec, exec, s[14:15]
	s_and_saveexec_b64 s[14:15], s[4:5]
	s_cbranch_execz .LBB133_26
.LBB133_25:
	v_add_u32_e32 v5, v5, v4
	v_mov_b32_e32 v6, 0
	v_lshlrev_b64 v[5:6], 2, v[5:6]
	s_waitcnt lgkmcnt(0)
	v_mov_b32_e32 v7, s13
	v_add_co_u32_e64 v5, s[6:7], s12, v5
	v_addc_co_u32_e64 v6, s[6:7], v7, v6, s[6:7]
	global_store_dword v[5:6], v95, off
.LBB133_26:
	s_or_b64 exec, exec, s[14:15]
	v_add3_u32 v5, v1, s11, 16
	v_cmp_gt_u32_e64 s[6:7], s8, v5
	s_and_b64 exec, exec, s[6:7]
	s_cbranch_execz .LBB133_62
; %bb.27:
	v_mul_lo_u32 v5, v5, s10
	s_and_saveexec_b64 s[14:15], vcc
	s_cbranch_execnz .LBB133_66
; %bb.28:
	s_or_b64 exec, exec, s[14:15]
	s_and_saveexec_b64 s[14:15], s[0:1]
	s_cbranch_execnz .LBB133_67
.LBB133_29:
	s_or_b64 exec, exec, s[14:15]
	s_and_saveexec_b64 s[14:15], s[2:3]
	s_cbranch_execnz .LBB133_68
.LBB133_30:
	s_or_b64 exec, exec, s[14:15]
	s_and_saveexec_b64 s[14:15], s[4:5]
	s_cbranch_execz .LBB133_32
.LBB133_31:
	v_add_u32_e32 v5, v5, v4
	v_mov_b32_e32 v6, 0
	v_lshlrev_b64 v[5:6], 2, v[5:6]
	s_waitcnt lgkmcnt(0)
	v_mov_b32_e32 v7, s13
	v_add_co_u32_e64 v5, s[6:7], s12, v5
	v_addc_co_u32_e64 v6, s[6:7], v7, v6, s[6:7]
	global_store_dword v[5:6], v91, off
.LBB133_32:
	s_or_b64 exec, exec, s[14:15]
	v_add3_u32 v5, v1, s11, 24
	v_cmp_gt_u32_e64 s[6:7], s8, v5
	s_and_b64 exec, exec, s[6:7]
	s_cbranch_execz .LBB133_62
; %bb.33:
	v_mul_lo_u32 v5, v5, s10
	s_and_saveexec_b64 s[14:15], vcc
	s_cbranch_execnz .LBB133_69
; %bb.34:
	s_or_b64 exec, exec, s[14:15]
	s_and_saveexec_b64 s[14:15], s[0:1]
	s_cbranch_execnz .LBB133_70
.LBB133_35:
	s_or_b64 exec, exec, s[14:15]
	s_and_saveexec_b64 s[14:15], s[2:3]
	s_cbranch_execnz .LBB133_71
.LBB133_36:
	s_or_b64 exec, exec, s[14:15]
	s_and_saveexec_b64 s[14:15], s[4:5]
	s_cbranch_execz .LBB133_38
.LBB133_37:
	v_add_u32_e32 v5, v5, v4
	v_mov_b32_e32 v6, 0
	v_lshlrev_b64 v[5:6], 2, v[5:6]
	s_waitcnt lgkmcnt(0)
	v_mov_b32_e32 v7, s13
	v_add_co_u32_e64 v5, s[6:7], s12, v5
	v_addc_co_u32_e64 v6, s[6:7], v7, v6, s[6:7]
	global_store_dword v[5:6], v85, off
.LBB133_38:
	s_or_b64 exec, exec, s[14:15]
	v_add3_u32 v5, v1, s11, 32
	v_cmp_gt_u32_e64 s[6:7], s8, v5
	s_and_b64 exec, exec, s[6:7]
	s_cbranch_execz .LBB133_62
; %bb.39:
	v_mul_lo_u32 v5, v5, s10
	s_and_saveexec_b64 s[14:15], vcc
	s_cbranch_execnz .LBB133_72
; %bb.40:
	s_or_b64 exec, exec, s[14:15]
	s_and_saveexec_b64 s[14:15], s[0:1]
	s_cbranch_execnz .LBB133_73
.LBB133_41:
	s_or_b64 exec, exec, s[14:15]
	s_and_saveexec_b64 s[14:15], s[2:3]
	s_cbranch_execnz .LBB133_74
.LBB133_42:
	s_or_b64 exec, exec, s[14:15]
	s_and_saveexec_b64 s[14:15], s[4:5]
	s_cbranch_execz .LBB133_44
.LBB133_43:
	v_add_u32_e32 v5, v5, v4
	v_mov_b32_e32 v6, 0
	v_lshlrev_b64 v[5:6], 2, v[5:6]
	s_waitcnt lgkmcnt(0)
	v_mov_b32_e32 v7, s13
	v_add_co_u32_e64 v5, s[6:7], s12, v5
	v_addc_co_u32_e64 v6, s[6:7], v7, v6, s[6:7]
	global_store_dword v[5:6], v81, off
.LBB133_44:
	s_or_b64 exec, exec, s[14:15]
	v_add3_u32 v5, v1, s11, 40
	v_cmp_gt_u32_e64 s[6:7], s8, v5
	s_and_b64 exec, exec, s[6:7]
	s_cbranch_execz .LBB133_62
; %bb.45:
	v_mul_lo_u32 v5, v5, s10
	s_and_saveexec_b64 s[14:15], vcc
	s_cbranch_execnz .LBB133_75
; %bb.46:
	s_or_b64 exec, exec, s[14:15]
	s_and_saveexec_b64 s[14:15], s[0:1]
	s_cbranch_execnz .LBB133_76
.LBB133_47:
	s_or_b64 exec, exec, s[14:15]
	s_and_saveexec_b64 s[14:15], s[2:3]
	s_cbranch_execnz .LBB133_77
.LBB133_48:
	s_or_b64 exec, exec, s[14:15]
	s_and_saveexec_b64 s[14:15], s[4:5]
	s_cbranch_execz .LBB133_50
.LBB133_49:
	v_add_u32_e32 v5, v5, v4
	v_mov_b32_e32 v6, 0
	v_lshlrev_b64 v[5:6], 2, v[5:6]
	s_waitcnt lgkmcnt(0)
	v_mov_b32_e32 v7, s13
	v_add_co_u32_e64 v5, s[6:7], s12, v5
	v_addc_co_u32_e64 v6, s[6:7], v7, v6, s[6:7]
	global_store_dword v[5:6], v77, off
.LBB133_50:
	s_or_b64 exec, exec, s[14:15]
	v_add3_u32 v5, v1, s11, 48
	v_cmp_gt_u32_e64 s[6:7], s8, v5
	s_and_b64 exec, exec, s[6:7]
	s_cbranch_execz .LBB133_62
; %bb.51:
	v_mul_lo_u32 v5, v5, s10
	s_and_saveexec_b64 s[14:15], vcc
	s_cbranch_execnz .LBB133_78
; %bb.52:
	s_or_b64 exec, exec, s[14:15]
	s_and_saveexec_b64 s[14:15], s[0:1]
	s_cbranch_execnz .LBB133_79
.LBB133_53:
	s_or_b64 exec, exec, s[14:15]
	s_and_saveexec_b64 s[14:15], s[2:3]
	s_cbranch_execnz .LBB133_80
.LBB133_54:
	s_or_b64 exec, exec, s[14:15]
	s_and_saveexec_b64 s[14:15], s[4:5]
	s_cbranch_execz .LBB133_56
.LBB133_55:
	v_add_u32_e32 v5, v5, v4
	v_mov_b32_e32 v6, 0
	v_lshlrev_b64 v[5:6], 2, v[5:6]
	s_waitcnt lgkmcnt(0)
	v_mov_b32_e32 v7, s13
	v_add_co_u32_e64 v5, s[6:7], s12, v5
	v_addc_co_u32_e64 v6, s[6:7], v7, v6, s[6:7]
	global_store_dword v[5:6], v73, off
.LBB133_56:
	s_or_b64 exec, exec, s[14:15]
	v_add3_u32 v1, v1, s11, 56
	v_cmp_gt_u32_e64 s[6:7], s8, v1
	s_and_b64 exec, exec, s[6:7]
	s_cbranch_execz .LBB133_62
; %bb.57:
	v_mul_lo_u32 v1, v1, s10
	s_and_saveexec_b64 s[6:7], vcc
	s_cbranch_execnz .LBB133_81
; %bb.58:
	s_or_b64 exec, exec, s[6:7]
	s_and_saveexec_b64 s[6:7], s[0:1]
	s_cbranch_execnz .LBB133_82
.LBB133_59:
	s_or_b64 exec, exec, s[6:7]
	s_and_saveexec_b64 s[0:1], s[2:3]
	s_cbranch_execnz .LBB133_83
.LBB133_60:
	s_or_b64 exec, exec, s[0:1]
	s_and_b64 exec, exec, s[4:5]
	s_cbranch_execz .LBB133_62
.LBB133_61:
	v_add_u32_e32 v0, v1, v4
	v_mov_b32_e32 v1, 0
	v_lshlrev_b64 v[0:1], 2, v[0:1]
	s_waitcnt lgkmcnt(0)
	v_mov_b32_e32 v2, s13
	v_add_co_u32_e32 v0, vcc, s12, v0
	v_addc_co_u32_e32 v1, vcc, v2, v1, vcc
	global_store_dword v[0:1], v69, off
.LBB133_62:
	s_endpgm
.LBB133_63:
	v_add_u32_e32 v6, v5, v0
	v_mov_b32_e32 v7, 0
	v_lshlrev_b64 v[6:7], 2, v[6:7]
	s_waitcnt lgkmcnt(0)
	v_mov_b32_e32 v8, s13
	v_add_co_u32_e64 v6, s[6:7], s12, v6
	v_addc_co_u32_e64 v7, s[6:7], v8, v7, s[6:7]
	global_store_dword v[6:7], v122, off
	s_or_b64 exec, exec, s[14:15]
	s_and_saveexec_b64 s[14:15], s[0:1]
	s_cbranch_execz .LBB133_23
.LBB133_64:
	v_add_u32_e32 v6, v5, v2
	v_mov_b32_e32 v7, 0
	v_lshlrev_b64 v[6:7], 2, v[6:7]
	s_waitcnt lgkmcnt(0)
	v_mov_b32_e32 v8, s13
	v_add_co_u32_e64 v6, s[6:7], s12, v6
	v_addc_co_u32_e64 v7, s[6:7], v8, v7, s[6:7]
	global_store_dword v[6:7], v111, off
	s_or_b64 exec, exec, s[14:15]
	s_and_saveexec_b64 s[14:15], s[2:3]
	s_cbranch_execz .LBB133_24
.LBB133_65:
	v_add_u32_e32 v6, v5, v3
	v_mov_b32_e32 v7, 0
	v_lshlrev_b64 v[6:7], 2, v[6:7]
	s_waitcnt lgkmcnt(0)
	v_mov_b32_e32 v8, s13
	v_add_co_u32_e64 v6, s[6:7], s12, v6
	v_addc_co_u32_e64 v7, s[6:7], v8, v7, s[6:7]
	global_store_dword v[6:7], v104, off
	s_or_b64 exec, exec, s[14:15]
	s_and_saveexec_b64 s[14:15], s[4:5]
	s_cbranch_execnz .LBB133_25
	s_branch .LBB133_26
.LBB133_66:
	v_add_u32_e32 v6, v5, v0
	v_mov_b32_e32 v7, 0
	v_lshlrev_b64 v[6:7], 2, v[6:7]
	s_waitcnt lgkmcnt(0)
	v_mov_b32_e32 v8, s13
	v_add_co_u32_e64 v6, s[6:7], s12, v6
	v_addc_co_u32_e64 v7, s[6:7], v8, v7, s[6:7]
	global_store_dword v[6:7], v94, off
	s_or_b64 exec, exec, s[14:15]
	s_and_saveexec_b64 s[14:15], s[0:1]
	s_cbranch_execz .LBB133_29
.LBB133_67:
	v_add_u32_e32 v6, v5, v2
	v_mov_b32_e32 v7, 0
	v_lshlrev_b64 v[6:7], 2, v[6:7]
	s_waitcnt lgkmcnt(0)
	v_mov_b32_e32 v8, s13
	v_add_co_u32_e64 v6, s[6:7], s12, v6
	v_addc_co_u32_e64 v7, s[6:7], v8, v7, s[6:7]
	global_store_dword v[6:7], v93, off
	s_or_b64 exec, exec, s[14:15]
	s_and_saveexec_b64 s[14:15], s[2:3]
	s_cbranch_execz .LBB133_30
.LBB133_68:
	v_add_u32_e32 v6, v5, v3
	v_mov_b32_e32 v7, 0
	v_lshlrev_b64 v[6:7], 2, v[6:7]
	s_waitcnt lgkmcnt(0)
	v_mov_b32_e32 v8, s13
	v_add_co_u32_e64 v6, s[6:7], s12, v6
	v_addc_co_u32_e64 v7, s[6:7], v8, v7, s[6:7]
	global_store_dword v[6:7], v92, off
	s_or_b64 exec, exec, s[14:15]
	s_and_saveexec_b64 s[14:15], s[4:5]
	s_cbranch_execnz .LBB133_31
	s_branch .LBB133_32
.LBB133_69:
	v_add_u32_e32 v6, v5, v0
	v_mov_b32_e32 v7, 0
	v_lshlrev_b64 v[6:7], 2, v[6:7]
	s_waitcnt lgkmcnt(0)
	v_mov_b32_e32 v8, s13
	v_add_co_u32_e64 v6, s[6:7], s12, v6
	v_addc_co_u32_e64 v7, s[6:7], v8, v7, s[6:7]
	global_store_dword v[6:7], v89, off
	s_or_b64 exec, exec, s[14:15]
	s_and_saveexec_b64 s[14:15], s[0:1]
	s_cbranch_execz .LBB133_35
.LBB133_70:
	v_add_u32_e32 v6, v5, v2
	v_mov_b32_e32 v7, 0
	v_lshlrev_b64 v[6:7], 2, v[6:7]
	s_waitcnt lgkmcnt(0)
	v_mov_b32_e32 v8, s13
	v_add_co_u32_e64 v6, s[6:7], s12, v6
	v_addc_co_u32_e64 v7, s[6:7], v8, v7, s[6:7]
	global_store_dword v[6:7], v87, off
	s_or_b64 exec, exec, s[14:15]
	s_and_saveexec_b64 s[14:15], s[2:3]
	s_cbranch_execz .LBB133_36
.LBB133_71:
	v_add_u32_e32 v6, v5, v3
	v_mov_b32_e32 v7, 0
	v_lshlrev_b64 v[6:7], 2, v[6:7]
	s_waitcnt lgkmcnt(0)
	v_mov_b32_e32 v8, s13
	v_add_co_u32_e64 v6, s[6:7], s12, v6
	v_addc_co_u32_e64 v7, s[6:7], v8, v7, s[6:7]
	global_store_dword v[6:7], v86, off
	s_or_b64 exec, exec, s[14:15]
	s_and_saveexec_b64 s[14:15], s[4:5]
	s_cbranch_execnz .LBB133_37
	s_branch .LBB133_38
.LBB133_72:
	v_add_u32_e32 v6, v5, v0
	v_mov_b32_e32 v7, 0
	v_lshlrev_b64 v[6:7], 2, v[6:7]
	s_waitcnt lgkmcnt(0)
	v_mov_b32_e32 v8, s13
	v_add_co_u32_e64 v6, s[6:7], s12, v6
	v_addc_co_u32_e64 v7, s[6:7], v8, v7, s[6:7]
	global_store_dword v[6:7], v84, off
	s_or_b64 exec, exec, s[14:15]
	s_and_saveexec_b64 s[14:15], s[0:1]
	s_cbranch_execz .LBB133_41
.LBB133_73:
	v_add_u32_e32 v6, v5, v2
	v_mov_b32_e32 v7, 0
	v_lshlrev_b64 v[6:7], 2, v[6:7]
	s_waitcnt lgkmcnt(0)
	v_mov_b32_e32 v8, s13
	v_add_co_u32_e64 v6, s[6:7], s12, v6
	v_addc_co_u32_e64 v7, s[6:7], v8, v7, s[6:7]
	global_store_dword v[6:7], v83, off
	s_or_b64 exec, exec, s[14:15]
	s_and_saveexec_b64 s[14:15], s[2:3]
	s_cbranch_execz .LBB133_42
.LBB133_74:
	v_add_u32_e32 v6, v5, v3
	v_mov_b32_e32 v7, 0
	v_lshlrev_b64 v[6:7], 2, v[6:7]
	s_waitcnt lgkmcnt(0)
	v_mov_b32_e32 v8, s13
	v_add_co_u32_e64 v6, s[6:7], s12, v6
	v_addc_co_u32_e64 v7, s[6:7], v8, v7, s[6:7]
	global_store_dword v[6:7], v82, off
	s_or_b64 exec, exec, s[14:15]
	s_and_saveexec_b64 s[14:15], s[4:5]
	s_cbranch_execnz .LBB133_43
	s_branch .LBB133_44
.LBB133_75:
	v_add_u32_e32 v6, v5, v0
	v_mov_b32_e32 v7, 0
	v_lshlrev_b64 v[6:7], 2, v[6:7]
	s_waitcnt lgkmcnt(0)
	v_mov_b32_e32 v8, s13
	v_add_co_u32_e64 v6, s[6:7], s12, v6
	v_addc_co_u32_e64 v7, s[6:7], v8, v7, s[6:7]
	global_store_dword v[6:7], v80, off
	s_or_b64 exec, exec, s[14:15]
	s_and_saveexec_b64 s[14:15], s[0:1]
	s_cbranch_execz .LBB133_47
.LBB133_76:
	v_add_u32_e32 v6, v5, v2
	v_mov_b32_e32 v7, 0
	v_lshlrev_b64 v[6:7], 2, v[6:7]
	s_waitcnt lgkmcnt(0)
	v_mov_b32_e32 v8, s13
	v_add_co_u32_e64 v6, s[6:7], s12, v6
	v_addc_co_u32_e64 v7, s[6:7], v8, v7, s[6:7]
	global_store_dword v[6:7], v79, off
	s_or_b64 exec, exec, s[14:15]
	s_and_saveexec_b64 s[14:15], s[2:3]
	s_cbranch_execz .LBB133_48
.LBB133_77:
	v_add_u32_e32 v6, v5, v3
	v_mov_b32_e32 v7, 0
	v_lshlrev_b64 v[6:7], 2, v[6:7]
	s_waitcnt lgkmcnt(0)
	v_mov_b32_e32 v8, s13
	v_add_co_u32_e64 v6, s[6:7], s12, v6
	v_addc_co_u32_e64 v7, s[6:7], v8, v7, s[6:7]
	global_store_dword v[6:7], v78, off
	s_or_b64 exec, exec, s[14:15]
	s_and_saveexec_b64 s[14:15], s[4:5]
	s_cbranch_execnz .LBB133_49
	s_branch .LBB133_50
.LBB133_78:
	v_add_u32_e32 v6, v5, v0
	v_mov_b32_e32 v7, 0
	v_lshlrev_b64 v[6:7], 2, v[6:7]
	s_waitcnt lgkmcnt(0)
	v_mov_b32_e32 v8, s13
	v_add_co_u32_e64 v6, s[6:7], s12, v6
	v_addc_co_u32_e64 v7, s[6:7], v8, v7, s[6:7]
	global_store_dword v[6:7], v76, off
	s_or_b64 exec, exec, s[14:15]
	s_and_saveexec_b64 s[14:15], s[0:1]
	s_cbranch_execz .LBB133_53
.LBB133_79:
	v_add_u32_e32 v6, v5, v2
	v_mov_b32_e32 v7, 0
	v_lshlrev_b64 v[6:7], 2, v[6:7]
	s_waitcnt lgkmcnt(0)
	v_mov_b32_e32 v8, s13
	v_add_co_u32_e64 v6, s[6:7], s12, v6
	v_addc_co_u32_e64 v7, s[6:7], v8, v7, s[6:7]
	global_store_dword v[6:7], v75, off
	s_or_b64 exec, exec, s[14:15]
	s_and_saveexec_b64 s[14:15], s[2:3]
	s_cbranch_execz .LBB133_54
.LBB133_80:
	v_add_u32_e32 v6, v5, v3
	v_mov_b32_e32 v7, 0
	v_lshlrev_b64 v[6:7], 2, v[6:7]
	s_waitcnt lgkmcnt(0)
	v_mov_b32_e32 v8, s13
	v_add_co_u32_e64 v6, s[6:7], s12, v6
	v_addc_co_u32_e64 v7, s[6:7], v8, v7, s[6:7]
	global_store_dword v[6:7], v74, off
	s_or_b64 exec, exec, s[14:15]
	s_and_saveexec_b64 s[14:15], s[4:5]
	s_cbranch_execnz .LBB133_55
	s_branch .LBB133_56
.LBB133_81:
	v_add_u32_e32 v5, v1, v0
	v_mov_b32_e32 v6, 0
	v_lshlrev_b64 v[5:6], 2, v[5:6]
	s_waitcnt lgkmcnt(0)
	v_mov_b32_e32 v0, s13
	v_add_co_u32_e32 v5, vcc, s12, v5
	v_addc_co_u32_e32 v6, vcc, v0, v6, vcc
	global_store_dword v[5:6], v72, off
	s_or_b64 exec, exec, s[6:7]
	s_and_saveexec_b64 s[6:7], s[0:1]
	s_cbranch_execz .LBB133_59
.LBB133_82:
	v_add_u32_e32 v5, v1, v2
	v_mov_b32_e32 v6, 0
	v_lshlrev_b64 v[5:6], 2, v[5:6]
	s_waitcnt lgkmcnt(0)
	v_mov_b32_e32 v0, s13
	v_add_co_u32_e32 v5, vcc, s12, v5
	v_addc_co_u32_e32 v6, vcc, v0, v6, vcc
	global_store_dword v[5:6], v71, off
	s_or_b64 exec, exec, s[6:7]
	s_and_saveexec_b64 s[0:1], s[2:3]
	s_cbranch_execz .LBB133_60
.LBB133_83:
	v_add_u32_e32 v2, v1, v3
	v_mov_b32_e32 v3, 0
	v_lshlrev_b64 v[2:3], 2, v[2:3]
	s_waitcnt lgkmcnt(0)
	v_mov_b32_e32 v0, s13
	v_add_co_u32_e32 v2, vcc, s12, v2
	v_addc_co_u32_e32 v3, vcc, v0, v3, vcc
	global_store_dword v[2:3], v70, off
	s_or_b64 exec, exec, s[0:1]
	s_and_b64 exec, exec, s[4:5]
	s_cbranch_execnz .LBB133_61
	s_branch .LBB133_62
	.section	.rodata,"a",@progbits
	.p2align	6, 0x0
	.amdhsa_kernel _ZL12mul_mat_q5_KIfLb0EEvPKvS1_PT_iiiii
		.amdhsa_group_segment_fixed_size 45136
		.amdhsa_private_segment_fixed_size 0
		.amdhsa_kernarg_size 44
		.amdhsa_user_sgpr_count 6
		.amdhsa_user_sgpr_private_segment_buffer 1
		.amdhsa_user_sgpr_dispatch_ptr 0
		.amdhsa_user_sgpr_queue_ptr 0
		.amdhsa_user_sgpr_kernarg_segment_ptr 1
		.amdhsa_user_sgpr_dispatch_id 0
		.amdhsa_user_sgpr_flat_scratch_init 0
		.amdhsa_user_sgpr_private_segment_size 0
		.amdhsa_uses_dynamic_stack 0
		.amdhsa_system_sgpr_private_segment_wavefront_offset 0
		.amdhsa_system_sgpr_workgroup_id_x 1
		.amdhsa_system_sgpr_workgroup_id_y 1
		.amdhsa_system_sgpr_workgroup_id_z 0
		.amdhsa_system_sgpr_workgroup_info 0
		.amdhsa_system_vgpr_workitem_id 1
		.amdhsa_next_free_vgpr 241
		.amdhsa_next_free_sgpr 98
		.amdhsa_reserve_vcc 1
		.amdhsa_reserve_flat_scratch 0
		.amdhsa_float_round_mode_32 0
		.amdhsa_float_round_mode_16_64 0
		.amdhsa_float_denorm_mode_32 3
		.amdhsa_float_denorm_mode_16_64 3
		.amdhsa_dx10_clamp 1
		.amdhsa_ieee_mode 1
		.amdhsa_fp16_overflow 0
		.amdhsa_exception_fp_ieee_invalid_op 0
		.amdhsa_exception_fp_denorm_src 0
		.amdhsa_exception_fp_ieee_div_zero 0
		.amdhsa_exception_fp_ieee_overflow 0
		.amdhsa_exception_fp_ieee_underflow 0
		.amdhsa_exception_fp_ieee_inexact 0
		.amdhsa_exception_int_div_zero 0
	.end_amdhsa_kernel
	.section	.text._ZL12mul_mat_q5_KIfLb0EEvPKvS1_PT_iiiii,"axG",@progbits,_ZL12mul_mat_q5_KIfLb0EEvPKvS1_PT_iiiii,comdat
.Lfunc_end133:
	.size	_ZL12mul_mat_q5_KIfLb0EEvPKvS1_PT_iiiii, .Lfunc_end133-_ZL12mul_mat_q5_KIfLb0EEvPKvS1_PT_iiiii
                                        ; -- End function
	.set _ZL12mul_mat_q5_KIfLb0EEvPKvS1_PT_iiiii.num_vgpr, 241
	.set _ZL12mul_mat_q5_KIfLb0EEvPKvS1_PT_iiiii.num_agpr, 0
	.set _ZL12mul_mat_q5_KIfLb0EEvPKvS1_PT_iiiii.numbered_sgpr, 21
	.set _ZL12mul_mat_q5_KIfLb0EEvPKvS1_PT_iiiii.num_named_barrier, 0
	.set _ZL12mul_mat_q5_KIfLb0EEvPKvS1_PT_iiiii.private_seg_size, 0
	.set _ZL12mul_mat_q5_KIfLb0EEvPKvS1_PT_iiiii.uses_vcc, 1
	.set _ZL12mul_mat_q5_KIfLb0EEvPKvS1_PT_iiiii.uses_flat_scratch, 0
	.set _ZL12mul_mat_q5_KIfLb0EEvPKvS1_PT_iiiii.has_dyn_sized_stack, 0
	.set _ZL12mul_mat_q5_KIfLb0EEvPKvS1_PT_iiiii.has_recursion, 0
	.set _ZL12mul_mat_q5_KIfLb0EEvPKvS1_PT_iiiii.has_indirect_call, 0
	.section	.AMDGPU.csdata,"",@progbits
; Kernel info:
; codeLenInByte = 21948
; TotalNumSgprs: 25
; NumVgprs: 241
; ScratchSize: 0
; MemoryBound: 0
; FloatMode: 240
; IeeeMode: 1
; LDSByteSize: 45136 bytes/workgroup (compile time only)
; SGPRBlocks: 12
; VGPRBlocks: 60
; NumSGPRsForWavesPerEU: 102
; NumVGPRsForWavesPerEU: 241
; Occupancy: 1
; WaveLimiterHint : 0
; COMPUTE_PGM_RSRC2:SCRATCH_EN: 0
; COMPUTE_PGM_RSRC2:USER_SGPR: 6
; COMPUTE_PGM_RSRC2:TRAP_HANDLER: 0
; COMPUTE_PGM_RSRC2:TGID_X_EN: 1
; COMPUTE_PGM_RSRC2:TGID_Y_EN: 1
; COMPUTE_PGM_RSRC2:TGID_Z_EN: 0
; COMPUTE_PGM_RSRC2:TIDIG_COMP_CNT: 1
	.section	.text._ZL12mul_mat_q5_KIfLb1EEvPKvS1_PT_iiiii,"axG",@progbits,_ZL12mul_mat_q5_KIfLb1EEvPKvS1_PT_iiiii,comdat
	.globl	_ZL12mul_mat_q5_KIfLb1EEvPKvS1_PT_iiiii ; -- Begin function _ZL12mul_mat_q5_KIfLb1EEvPKvS1_PT_iiiii
	.p2align	8
	.type	_ZL12mul_mat_q5_KIfLb1EEvPKvS1_PT_iiiii,@function
_ZL12mul_mat_q5_KIfLb1EEvPKvS1_PT_iiiii: ; @_ZL12mul_mat_q5_KIfLb1EEvPKvS1_PT_iiiii
; %bb.0:
	s_load_dwordx4 s[8:11], s[4:5], 0x18
	s_load_dword s14, s[4:5], 0x28
	s_lshl_b32 s15, s7, 6
	v_add_u32_e32 v103, s15, v1
	s_waitcnt lgkmcnt(0)
	s_cmpk_gt_i32 s8, 0xff
	s_cbranch_scc1 .LBB134_2
; %bb.1:
	v_add_u32_e32 v2, s15, v1
	s_mov_b64 s[0:1], 0
	s_branch .LBB134_3
.LBB134_2:
	s_mov_b64 s[0:1], -1
                                        ; implicit-def: $vgpr2
.LBB134_3:
	s_load_dwordx2 s[12:13], s[4:5], 0x10
	s_lshl_b32 s6, s6, 7
	v_mov_b32_e32 v85, 0
	s_andn2_b64 vcc, exec, s[0:1]
	v_mov_b32_e32 v89, 0
	v_mov_b32_e32 v93, 0
	;; [unrolled: 1-line block ×31, first 2 shown]
	s_cbranch_vccnz .LBB134_11
; %bb.4:
	s_load_dwordx4 s[0:3], s[4:5], 0x0
	s_ashr_i32 s4, s8, 31
	s_lshr_b32 s4, s4, 24
	s_add_i32 s4, s8, s4
	s_ashr_i32 s5, s11, 31
	s_ashr_i32 s4, s4, 8
	s_lshr_b32 s5, s5, 27
	s_add_i32 s5, s11, s5
	s_mul_i32 s7, s4, s6
	s_ashr_i32 s11, s5, 5
	s_mul_hi_i32 s8, s7, 0xb0
	s_mulk_i32 s7, 0xb0
	s_waitcnt lgkmcnt(0)
	s_add_u32 s7, s0, s7
	s_addc_u32 s8, s1, s8
	s_not_b32 s0, s6
	v_lshlrev_b32_e32 v2, 1, v0
	v_and_b32_e32 v3, 7, v0
	s_add_i32 s1, s9, s0
	v_and_or_b32 v2, v2, 48, v3
	v_lshrrev_b32_e32 v19, 2, v0
	v_min_i32_e32 v3, s1, v1
	v_lshlrev_b32_e32 v18, 2, v2
	s_movk_i32 s0, 0x104
	v_mul_lo_u32 v117, v3, s4
	v_mad_u64_u32 v[2:3], s[16:17], v3, s0, v[18:19]
	v_add_u32_e32 v32, 8, v1
	v_min_i32_e32 v3, s1, v32
	v_mul_lo_u32 v118, v3, s4
	v_mad_u64_u32 v[3:4], s[16:17], v3, s0, v[18:19]
	v_add_u32_e32 v33, 16, v1
	v_min_i32_e32 v4, s1, v33
	;; [unrolled: 4-line block ×15, first 2 shown]
	v_mul_lo_u32 v136, v17, s4
	v_mad_u64_u32 v[17:18], s[16:17], v17, s0, v[18:19]
	v_lshlrev_b32_e32 v137, 5, v1
	v_add_u32_e32 v18, v137, v0
	v_and_b32_e32 v18, 0x7f, v18
	v_min_i32_e32 v18, s1, v18
	v_ashrrev_i32_e32 v20, 31, v18
	v_lshrrev_b32_e32 v20, 27, v20
	v_add_u32_e32 v20, v18, v20
	v_ashrrev_i32_e32 v20, 5, v20
	v_mul_lo_u32 v138, v18, s4
	v_lshlrev_b32_e32 v20, 2, v20
	v_lshlrev_b32_e32 v18, 2, v18
	s_mov_b32 s18, 0xae40
	v_add3_u32 v139, v20, v18, s18
	v_and_b32_e32 v18, 3, v0
	v_add_u32_e32 v20, 0xfe, v18
	v_and_b32_e32 v20, 0xff, v20
	v_cmp_gt_u32_e32 vcc, 2, v18
	v_cndmask_b32_e32 v20, v20, v18, vcc
	v_cmp_ne_u32_e32 vcc, 0, v18
	v_lshlrev_b32_e32 v111, 2, v0
	v_and_b32_e32 v115, 6, v19
	v_lshl_add_u32 v19, v1, 3, v19
	v_addc_co_u32_e32 v39, vcc, 0, v20, vcc
	v_and_b32_e32 v21, 4, v111
	v_cmp_lt_u32_e32 vcc, 1, v18
	v_lshlrev_b32_e32 v142, 1, v20
	v_and_b32_e32 v20, 0x7f, v19
	v_cndmask_b32_e32 v141, 0, v21, vcc
	v_min_i32_e32 v21, s1, v20
	v_ashrrev_i32_e32 v22, 31, v21
	v_xor_b32_e32 v20, 64, v20
	v_lshrrev_b32_e32 v22, 29, v22
	v_min_i32_e32 v20, s1, v20
	v_mul_lo_u32 v143, v21, s4
	v_add_u32_e32 v22, v21, v22
	v_lshlrev_b32_e32 v42, 4, v21
	v_ashrrev_i32_e32 v21, 31, v20
	v_lshrrev_b32_e32 v21, 29, v21
	v_add_u32_e32 v21, v20, v21
	v_ashrrev_i32_e32 v22, 3, v22
	v_ashrrev_i32_e32 v21, 3, v21
	v_lshlrev_b32_e32 v22, 2, v22
	v_lshlrev_b32_e32 v28, 2, v18
	s_mov_b32 s16, 0xa200
	v_lshlrev_b32_e32 v21, 2, v21
	s_add_i32 s1, s10, -1
	v_add3_u32 v41, v22, v28, s16
	v_mul_lo_u32 v144, v20, s4
	v_add3_u32 v43, v21, v28, s16
	v_lshlrev_b32_e32 v44, 4, v20
	v_cvt_f64_i32_e32 v[20:21], s1
	v_cvt_f64_u32_e32 v[22:23], v103
	v_and_b32_e32 v24, 31, v0
	v_mov_b32_e32 v25, 0x8200
	v_lshl_or_b32 v45, v24, 2, v25
	v_add_u32_e32 v24, 8, v103
	v_cvt_f64_u32_e32 v[24:25], v24
	v_add_u32_e32 v26, 16, v103
	v_min_f64 v[22:23], v[22:23], v[20:21]
	v_cvt_f64_u32_e32 v[26:27], v26
	v_min_f64 v[24:25], v[24:25], v[20:21]
	v_and_b32_e32 v29, 63, v19
	v_or_b32_e32 v19, s15, v29
	v_min_f64 v[26:27], v[26:27], v[20:21]
	v_min_i32_e32 v19, s1, v19
	v_mad_u64_u32 v[18:19], s[16:17], v19, s11, v[18:19]
	v_cvt_i32_f64_e32 v22, v[22:23]
	v_lshl_or_b32 v19, v29, 4, v28
	v_add_u32_e32 v147, 0xaa40, v19
	v_cvt_i32_f64_e32 v19, v[24:25]
	v_mul_lo_u32 v149, s11, v22
	v_cvt_i32_f64_e32 v22, v[26:27]
	v_lshrrev_b32_e32 v110, 5, v0
	v_mul_lo_u32 v150, s11, v19
	v_add_u32_e32 v19, 24, v103
	v_mul_lo_u32 v151, s11, v22
	v_cvt_f64_u32_e32 v[22:23], v19
	v_add_u32_e32 v19, 32, v103
	v_cvt_f64_u32_e32 v[24:25], v19
	v_add_u32_e32 v19, 40, v103
	v_min_f64 v[22:23], v[22:23], v[20:21]
	v_cvt_f64_u32_e32 v[26:27], v19
	v_add_u32_e32 v19, 48, v103
	v_cvt_f64_u32_e32 v[28:29], v19
	v_add_u32_e32 v19, 56, v103
	v_cvt_f64_u32_e32 v[30:31], v19
	v_min_f64 v[24:25], v[24:25], v[20:21]
	v_min_f64 v[26:27], v[26:27], v[20:21]
	v_cvt_i32_f64_e32 v49, v[22:23]
	v_min_f64 v[22:23], v[28:29], v[20:21]
	v_min_f64 v[19:20], v[30:31], v[20:21]
	v_and_b32_e32 v114, 28, v111
	v_mul_lo_u32 v152, s11, v49
	v_cndmask_b32_e64 v40, 0, 1, vcc
	v_cvt_i32_f64_e32 v24, v[24:25]
	v_cvt_i32_f64_e32 v25, v[26:27]
	v_lshlrev_b32_e32 v46, 7, v1
	v_cvt_i32_f64_e32 v22, v[22:23]
	v_cvt_i32_f64_e32 v19, v[19:20]
	v_mul_lo_u32 v153, s11, v24
	v_mul_lo_u32 v154, s11, v25
	;; [unrolled: 1-line block ×4, first 2 shown]
	v_lshlrev_b32_e32 v19, 2, v110
	v_add3_u32 v157, v111, v19, s18
	v_add_u32_e32 v19, 32, v0
	v_lshrrev_b32_e32 v158, 3, v19
	v_lshlrev_b32_e32 v26, 2, v19
	v_and_b32_e32 v19, 60, v158
	v_add3_u32 v159, v111, v19, s18
	v_add_u32_e32 v19, 64, v0
	v_lshrrev_b32_e32 v160, 3, v19
	v_lshlrev_b32_e32 v27, 2, v19
	v_and_b32_e32 v19, 60, v160
	;; [unrolled: 5-line block ×3, first 2 shown]
	v_add3_u32 v163, v111, v19, s18
	v_mov_b32_e32 v19, 0x2080
	v_mad_u32_u24 v172, v0, s0, v19
	v_mov_b32_e32 v19, 0x4100
	v_mad_u32_u24 v173, v0, s0, v19
	v_mov_b32_e32 v19, 0x6180
	v_lshlrev_b32_e32 v47, 7, v32
	v_lshlrev_b32_e32 v48, 7, v33
	;; [unrolled: 1-line block ×7, first 2 shown]
	v_mad_u32_u24 v174, v0, s0, v19
	v_mov_b32_e32 v20, s3
	v_add_co_u32_e32 v19, vcc, s2, v114
	s_movk_i32 s5, 0xb0
	s_mov_b32 s9, 0
	v_mov_b32_e32 v104, 0
	v_and_b32_e32 v113, 0x7c, v111
	v_or_b32_e32 v116, 1, v115
	v_lshrrev_b32_e32 v148, 3, v0
	v_lshlrev_b32_e32 v164, 5, v32
	v_lshlrev_b32_e32 v165, 5, v33
	;; [unrolled: 1-line block ×7, first 2 shown]
	v_mul_u32_u24_e32 v171, 0x104, v0
	v_addc_co_u32_e32 v20, vcc, 0, v20, vcc
	s_mov_b32 s11, 0x10101010
	v_lshlrev_b32_e32 v175, 2, v39
	v_lshlrev_b32_e32 v176, 2, v40
	s_mov_b32 s16, 0x30303030
	v_add_u32_e32 v177, v41, v42
	v_add_u32_e32 v178, v43, v44
	;; [unrolled: 1-line block ×10, first 2 shown]
	v_lshlrev_b32_e32 v187, 2, v26
	v_lshlrev_b32_e32 v188, 2, v27
	;; [unrolled: 1-line block ×3, first 2 shown]
	v_mov_b32_e32 v135, 0
	v_mov_b32_e32 v112, 0
	;; [unrolled: 1-line block ×31, first 2 shown]
.LBB134_5:                              ; =>This Loop Header: Depth=1
                                        ;     Child Loop BB134_6 Depth 2
                                        ;     Child Loop BB134_8 Depth 2
	s_mul_i32 s0, s9, 0xb0
	s_mul_hi_u32 s1, s9, 0xb0
	s_add_u32 s0, s7, s0
	s_addc_u32 s1, s8, s1
	v_mov_b32_e32 v22, s1
	v_mov_b32_e32 v21, s0
	v_mad_u64_u32 v[23:24], s[0:1], v110, s5, v[21:22]
	s_lshl_b32 s17, s9, 3
	v_add_u32_e32 v195, s17, v18
	v_mad_i64_i32 v[25:26], s[0:1], v117, s5, v[23:24]
	v_mad_i64_i32 v[29:30], s[0:1], v118, s5, v[23:24]
	v_add_co_u32_e32 v27, vcc, v25, v113
	v_addc_co_u32_e32 v28, vcc, 0, v26, vcc
	v_add_co_u32_e32 v25, vcc, v25, v114
	v_addc_co_u32_e32 v26, vcc, 0, v26, vcc
	v_add_co_u32_e32 v31, vcc, v29, v113
	v_addc_co_u32_e32 v32, vcc, 0, v30, vcc
	global_load_dword v35, v[27:28], off offset:48
	global_load_dword v36, v[25:26], off offset:16
	;; [unrolled: 1-line block ×3, first 2 shown]
	v_add_co_u32_e32 v25, vcc, v29, v114
	v_addc_co_u32_e32 v26, vcc, 0, v30, vcc
	global_load_dword v38, v[25:26], off offset:16
	v_mad_i64_i32 v[25:26], s[0:1], v119, s5, v[23:24]
	v_mad_i64_i32 v[27:28], s[0:1], v121, s5, v[23:24]
	v_add_co_u32_e32 v31, vcc, v25, v113
	v_addc_co_u32_e32 v32, vcc, 0, v26, vcc
	v_add_co_u32_e32 v25, vcc, v25, v114
	v_addc_co_u32_e32 v26, vcc, 0, v26, vcc
	global_load_dword v39, v[31:32], off offset:48
	global_load_dword v40, v[25:26], off offset:16
	v_add_co_u32_e32 v25, vcc, v27, v113
	v_addc_co_u32_e32 v26, vcc, 0, v28, vcc
	global_load_dword v41, v[25:26], off offset:48
	v_add_co_u32_e32 v25, vcc, v27, v114
	v_addc_co_u32_e32 v26, vcc, 0, v28, vcc
	global_load_dword v42, v[25:26], off offset:16
	v_mad_i64_i32 v[29:30], s[0:1], v122, s5, v[23:24]
	v_mad_i64_i32 v[25:26], s[0:1], v123, s5, v[23:24]
	v_add_co_u32_e32 v31, vcc, v29, v113
	v_addc_co_u32_e32 v32, vcc, 0, v30, vcc
	v_add_co_u32_e32 v29, vcc, v29, v114
	v_addc_co_u32_e32 v30, vcc, 0, v30, vcc
	v_mad_i64_i32 v[27:28], s[0:1], v124, s5, v[23:24]
	v_add_co_u32_e32 v33, vcc, v25, v113
	global_load_dword v31, v[31:32], off offset:48
	s_nop 0
	global_load_dword v29, v[29:30], off offset:16
	v_addc_co_u32_e32 v34, vcc, 0, v26, vcc
	v_add_co_u32_e32 v25, vcc, v25, v114
	v_addc_co_u32_e32 v26, vcc, 0, v26, vcc
	s_mov_b32 s18, 0
	s_waitcnt vmcnt(9)
	v_and_b32_e32 v30, 0xf0f0f0f, v35
	v_lshrrev_b32_e32 v32, 4, v35
	s_waitcnt vmcnt(8)
	v_ashrrev_i32_e32 v35, v115, v36
	v_ashrrev_i32_e32 v36, v116, v36
	v_and_b32_e32 v32, 0xf0f0f0f, v32
	v_lshlrev_b32_e32 v35, 4, v35
	v_lshlrev_b32_e32 v36, 4, v36
	v_and_or_b32 v30, v35, s11, v30
	v_and_or_b32 v32, v36, s11, v32
	ds_write2_b32 v2, v30, v32 offset1:8
	global_load_dword v30, v[33:34], off offset:48
	global_load_dword v32, v[25:26], off offset:16
	v_add_co_u32_e32 v25, vcc, v27, v113
	v_addc_co_u32_e32 v26, vcc, 0, v28, vcc
	v_add_co_u32_e32 v27, vcc, v27, v114
	v_addc_co_u32_e32 v28, vcc, 0, v28, vcc
	global_load_dword v33, v[25:26], off offset:48
	global_load_dword v34, v[27:28], off offset:16
	v_mad_i64_i32 v[25:26], s[0:1], v126, s5, v[23:24]
	s_waitcnt vmcnt(11)
	v_and_b32_e32 v43, 0xf0f0f0f, v37
	v_lshrrev_b32_e32 v37, 4, v37
	v_add_co_u32_e32 v27, vcc, v25, v113
	v_addc_co_u32_e32 v28, vcc, 0, v26, vcc
	s_waitcnt vmcnt(10)
	v_ashrrev_i32_e32 v44, v115, v38
	v_ashrrev_i32_e32 v38, v116, v38
	v_add_co_u32_e32 v25, vcc, v25, v114
	v_and_b32_e32 v37, 0xf0f0f0f, v37
	v_lshlrev_b32_e32 v44, 4, v44
	v_lshlrev_b32_e32 v38, 4, v38
	v_addc_co_u32_e32 v26, vcc, 0, v26, vcc
	v_and_or_b32 v35, v44, s11, v43
	global_load_dword v36, v[27:28], off offset:48
	global_load_dword v43, v[25:26], off offset:16
	v_and_or_b32 v25, v38, s11, v37
	s_waitcnt vmcnt(11)
	v_lshrrev_b32_e32 v26, 4, v39
	s_waitcnt vmcnt(10)
	v_ashrrev_i32_e32 v27, v115, v40
	v_ashrrev_i32_e32 v28, v116, v40
	ds_write2_b32 v3, v35, v25 offset1:8
	v_and_b32_e32 v25, 0xf0f0f0f, v39
	v_and_b32_e32 v26, 0xf0f0f0f, v26
	v_lshlrev_b32_e32 v27, 4, v27
	v_lshlrev_b32_e32 v28, 4, v28
	v_and_or_b32 v25, v27, s11, v25
	v_and_or_b32 v26, v28, s11, v26
	ds_write2_b32 v4, v25, v26 offset1:8
	s_waitcnt vmcnt(9)
	v_lshrrev_b32_e32 v25, 4, v41
	v_and_b32_e32 v35, 0xf0f0f0f, v25
	s_waitcnt vmcnt(8)
	v_ashrrev_i32_e32 v25, v115, v42
	v_lshlrev_b32_e32 v28, 4, v25
	v_mad_i64_i32 v[25:26], s[0:1], v127, s5, v[23:24]
	v_and_b32_e32 v27, 0xf0f0f0f, v41
	v_and_or_b32 v38, v28, s11, v27
	v_add_co_u32_e32 v27, vcc, v25, v113
	v_addc_co_u32_e32 v28, vcc, 0, v26, vcc
	v_add_co_u32_e32 v25, vcc, v25, v114
	v_addc_co_u32_e32 v26, vcc, 0, v26, vcc
	global_load_dword v39, v[27:28], off offset:48
	global_load_dword v40, v[25:26], off offset:16
	v_mad_i64_i32 v[27:28], s[0:1], v128, s5, v[23:24]
	v_ashrrev_i32_e32 v37, v116, v42
	v_lshlrev_b32_e32 v37, 4, v37
	v_add_co_u32_e32 v25, vcc, v27, v113
	v_addc_co_u32_e32 v26, vcc, 0, v28, vcc
	global_load_dword v41, v[25:26], off offset:48
	v_add_co_u32_e32 v25, vcc, v27, v114
	v_addc_co_u32_e32 v26, vcc, 0, v28, vcc
	global_load_dword v42, v[25:26], off offset:16
	v_and_or_b32 v25, v37, s11, v35
	s_waitcnt vmcnt(11)
	v_lshrrev_b32_e32 v26, 4, v31
	s_waitcnt vmcnt(10)
	v_ashrrev_i32_e32 v27, v115, v29
	v_ashrrev_i32_e32 v28, v116, v29
	ds_write2_b32 v5, v38, v25 offset1:8
	v_and_b32_e32 v25, 0xf0f0f0f, v31
	v_and_b32_e32 v26, 0xf0f0f0f, v26
	v_lshlrev_b32_e32 v27, 4, v27
	v_lshlrev_b32_e32 v28, 4, v28
	v_and_or_b32 v25, v27, s11, v25
	v_and_or_b32 v26, v28, s11, v26
	ds_write2_b32 v6, v25, v26 offset1:8
	s_waitcnt vmcnt(9)
	v_lshrrev_b32_e32 v26, 4, v30
	s_waitcnt vmcnt(8)
	v_ashrrev_i32_e32 v27, v115, v32
	v_ashrrev_i32_e32 v28, v116, v32
	v_and_b32_e32 v25, 0xf0f0f0f, v30
	v_and_b32_e32 v26, 0xf0f0f0f, v26
	v_lshlrev_b32_e32 v27, 4, v27
	v_lshlrev_b32_e32 v28, 4, v28
	v_and_or_b32 v25, v27, s11, v25
	v_and_or_b32 v26, v28, s11, v26
	ds_write2_b32 v7, v25, v26 offset1:8
	s_waitcnt vmcnt(7)
	v_lshrrev_b32_e32 v26, 4, v33
	s_waitcnt vmcnt(6)
	v_ashrrev_i32_e32 v27, v115, v34
	v_ashrrev_i32_e32 v28, v116, v34
	v_and_b32_e32 v25, 0xf0f0f0f, v33
	v_and_b32_e32 v26, 0xf0f0f0f, v26
	v_lshlrev_b32_e32 v27, 4, v27
	v_lshlrev_b32_e32 v28, 4, v28
	v_and_or_b32 v25, v27, s11, v25
	v_and_or_b32 v26, v28, s11, v26
	ds_write2_b32 v8, v25, v26 offset1:8
	v_mad_i64_i32 v[33:34], s[0:1], v134, s5, v[23:24]
	s_waitcnt vmcnt(5)
	v_lshrrev_b32_e32 v26, 4, v36
	v_and_b32_e32 v27, 0xf0f0f0f, v26
	s_waitcnt vmcnt(4)
	v_ashrrev_i32_e32 v26, v115, v43
	v_and_b32_e32 v25, 0xf0f0f0f, v36
	v_lshlrev_b32_e32 v26, 4, v26
	v_and_or_b32 v29, v26, s11, v25
	v_mad_i64_i32 v[25:26], s[0:1], v129, s5, v[23:24]
	v_ashrrev_i32_e32 v28, v116, v43
	v_lshlrev_b32_e32 v28, 4, v28
	v_and_or_b32 v27, v28, s11, v27
	ds_write2_b32 v9, v29, v27 offset1:8
	v_add_co_u32_e32 v27, vcc, v25, v113
	v_mad_i64_i32 v[29:30], s[0:1], v131, s5, v[23:24]
	v_addc_co_u32_e32 v28, vcc, 0, v26, vcc
	v_add_co_u32_e32 v25, vcc, v25, v114
	v_addc_co_u32_e32 v26, vcc, 0, v26, vcc
	v_add_co_u32_e32 v31, vcc, v29, v113
	;; [unrolled: 2-line block ×3, first 2 shown]
	v_addc_co_u32_e32 v30, vcc, 0, v30, vcc
	global_load_dword v43, v[27:28], off offset:48
	global_load_dword v44, v[25:26], off offset:16
	;; [unrolled: 1-line block ×4, first 2 shown]
	s_waitcnt vmcnt(7)
	v_lshrrev_b32_e32 v26, 4, v39
	s_waitcnt vmcnt(6)
	v_ashrrev_i32_e32 v27, v115, v40
	v_ashrrev_i32_e32 v28, v116, v40
	v_and_b32_e32 v25, 0xf0f0f0f, v39
	v_and_b32_e32 v26, 0xf0f0f0f, v26
	v_lshlrev_b32_e32 v27, 4, v27
	v_lshlrev_b32_e32 v28, 4, v28
	v_and_or_b32 v25, v27, s11, v25
	v_and_or_b32 v26, v28, s11, v26
	ds_write2_b32 v10, v25, v26 offset1:8
	s_waitcnt vmcnt(5)
	v_lshrrev_b32_e32 v26, 4, v41
	v_and_b32_e32 v27, 0xf0f0f0f, v26
	v_and_b32_e32 v25, 0xf0f0f0f, v41
	s_waitcnt vmcnt(4)
	v_ashrrev_i32_e32 v26, v115, v42
	v_lshlrev_b32_e32 v26, 4, v26
	v_and_or_b32 v29, v26, s11, v25
	v_mad_i64_i32 v[25:26], s[0:1], v132, s5, v[23:24]
	v_ashrrev_i32_e32 v28, v116, v42
	v_lshlrev_b32_e32 v28, 4, v28
	v_and_or_b32 v27, v28, s11, v27
	ds_write2_b32 v11, v29, v27 offset1:8
	v_add_co_u32_e32 v27, vcc, v25, v113
	v_mad_i64_i32 v[29:30], s[0:1], v133, s5, v[23:24]
	v_addc_co_u32_e32 v28, vcc, 0, v26, vcc
	v_add_co_u32_e32 v25, vcc, v25, v114
	v_addc_co_u32_e32 v26, vcc, 0, v26, vcc
	v_add_co_u32_e32 v31, vcc, v29, v113
	;; [unrolled: 2-line block ×4, first 2 shown]
	v_mad_i64_i32 v[23:24], s[0:1], v136, s5, v[23:24]
	v_addc_co_u32_e32 v36, vcc, 0, v34, vcc
	v_add_co_u32_e32 v33, vcc, v33, v114
	v_addc_co_u32_e32 v34, vcc, 0, v34, vcc
	v_add_co_u32_e32 v37, vcc, v23, v113
	;; [unrolled: 2-line block ×3, first 2 shown]
	v_addc_co_u32_e32 v24, vcc, 0, v24, vcc
	global_load_dword v39, v[27:28], off offset:48
	global_load_dword v40, v[25:26], off offset:16
	;; [unrolled: 1-line block ×8, first 2 shown]
	v_mad_i64_i32 v[23:24], s[0:1], v143, s5, v[21:22]
	v_mad_i64_i32 v[25:26], s[0:1], v138, s5, v[21:22]
	v_add_co_u32_e32 v27, vcc, v23, v175
	v_mad_i64_i32 v[21:22], s[0:1], v144, s5, v[21:22]
	v_addc_co_u32_e32 v28, vcc, 0, v24, vcc
	v_add_co_u32_e32 v23, vcc, v23, v176
	v_addc_co_u32_e32 v24, vcc, 0, v24, vcc
	v_add_co_u32_e32 v29, vcc, v21, v175
	;; [unrolled: 2-line block ×3, first 2 shown]
	v_add_u32_e32 v35, s17, v148
	v_addc_co_u32_e32 v22, vcc, 0, v22, vcc
	global_load_dword v51, v[25:26], off
	global_load_dword v52, v[27:28], off offset:4
	global_load_dword v53, v[23:24], off offset:4
	;; [unrolled: 1-line block ×4, first 2 shown]
	v_add_u32_e32 v21, v35, v149
	v_mad_i64_i32 v[21:22], s[0:1], v21, 36, v[19:20]
	v_add_u32_e32 v23, v35, v150
	v_mad_i64_i32 v[23:24], s[0:1], v23, 36, v[19:20]
	;; [unrolled: 2-line block ×3, first 2 shown]
	v_add_u32_e32 v27, v35, v152
	v_add_u32_e32 v29, v35, v153
	v_mad_i64_i32 v[27:28], s[0:1], v27, 36, v[19:20]
	v_mad_i64_i32 v[29:30], s[0:1], v29, 36, v[19:20]
	v_add_u32_e32 v31, v35, v154
	v_add_u32_e32 v33, v35, v155
	;; [unrolled: 1-line block ×3, first 2 shown]
	v_mad_i64_i32 v[31:32], s[0:1], v31, 36, v[19:20]
	v_mad_i64_i32 v[33:34], s[0:1], v33, 36, v[19:20]
	;; [unrolled: 1-line block ×3, first 2 shown]
	v_mad_u64_u32 v[37:38], s[0:1], v195, 36, s[2:3]
	global_load_dword v21, v[21:22], off offset:4
	s_nop 0
	global_load_dword v22, v[23:24], off offset:4
	s_nop 0
	global_load_dword v23, v[25:26], off offset:4
	global_load_dword v24, v[27:28], off offset:4
	s_nop 0
	global_load_dword v25, v[29:30], off offset:4
	global_load_dword v26, v[31:32], off offset:4
	;; [unrolled: 1-line block ×4, first 2 shown]
	s_nop 0
	global_load_dword v29, v[37:38], off
	s_waitcnt vmcnt(25)
	v_lshrrev_b32_e32 v31, 4, v43
	s_waitcnt vmcnt(24)
	v_ashrrev_i32_e32 v32, v115, v44
	v_ashrrev_i32_e32 v33, v116, v44
	v_and_b32_e32 v30, 0xf0f0f0f, v43
	v_and_b32_e32 v31, 0xf0f0f0f, v31
	v_lshlrev_b32_e32 v32, 4, v32
	v_lshlrev_b32_e32 v33, 4, v33
	v_and_or_b32 v30, v32, s11, v30
	v_and_or_b32 v31, v33, s11, v31
	ds_write2_b32 v12, v30, v31 offset1:8
	s_waitcnt vmcnt(23)
	v_lshrrev_b32_e32 v31, 4, v45
	s_waitcnt vmcnt(22)
	v_ashrrev_i32_e32 v32, v115, v46
	v_ashrrev_i32_e32 v33, v116, v46
	v_and_b32_e32 v30, 0xf0f0f0f, v45
	v_and_b32_e32 v31, 0xf0f0f0f, v31
	v_lshlrev_b32_e32 v32, 4, v32
	v_lshlrev_b32_e32 v33, 4, v33
	v_and_or_b32 v30, v32, s11, v30
	v_and_or_b32 v31, v33, s11, v31
	ds_write2_b32 v13, v30, v31 offset1:8
	s_mov_b64 s[0:1], -1
	s_waitcnt vmcnt(21)
	v_lshrrev_b32_e32 v31, 4, v39
	s_waitcnt vmcnt(20)
	v_ashrrev_i32_e32 v32, v115, v40
	v_ashrrev_i32_e32 v33, v116, v40
	v_and_b32_e32 v30, 0xf0f0f0f, v39
	v_and_b32_e32 v31, 0xf0f0f0f, v31
	v_lshlrev_b32_e32 v32, 4, v32
	v_lshlrev_b32_e32 v33, 4, v33
	v_and_or_b32 v30, v32, s11, v30
	v_and_or_b32 v31, v33, s11, v31
	ds_write2_b32 v14, v30, v31 offset1:8
	s_waitcnt vmcnt(19)
	v_lshrrev_b32_e32 v31, 4, v41
	s_waitcnt vmcnt(18)
	v_ashrrev_i32_e32 v32, v115, v42
	v_ashrrev_i32_e32 v33, v116, v42
	v_and_b32_e32 v30, 0xf0f0f0f, v41
	v_and_b32_e32 v31, 0xf0f0f0f, v31
	v_lshlrev_b32_e32 v32, 4, v32
	v_lshlrev_b32_e32 v33, 4, v33
	v_and_or_b32 v30, v32, s11, v30
	v_and_or_b32 v31, v33, s11, v31
	ds_write2_b32 v15, v30, v31 offset1:8
	;; [unrolled: 12-line block ×4, first 2 shown]
	s_waitcnt vmcnt(13)
	ds_write_b32 v139, v51
	s_waitcnt vmcnt(12)
	v_ashrrev_i32_e32 v30, v141, v52
	v_and_b32_e32 v30, 0xf0f0f0f, v30
	s_waitcnt vmcnt(11)
	v_ashrrev_i32_e32 v31, v142, v53
	v_and_or_b32 v30, v31, s16, v30
	ds_write_b32 v177, v30
	s_waitcnt vmcnt(10)
	v_ashrrev_i32_e32 v30, v141, v54
	v_and_b32_e32 v30, 0xf0f0f0f, v30
	s_waitcnt vmcnt(9)
	v_ashrrev_i32_e32 v31, v142, v55
	v_and_or_b32 v30, v31, s16, v30
	ds_write_b32 v178, v30
	s_waitcnt vmcnt(8)
	ds_write_b32 v179, v21
	s_waitcnt vmcnt(7)
	;; [unrolled: 2-line block ×9, first 2 shown]
	ds_write_b32 v147, v29
	s_waitcnt lgkmcnt(0)
	s_barrier
	ds_read_b32 v21, v157
	ds_read_b32 v22, v159 offset:128
	ds_read_b32 v23, v161 offset:256
	;; [unrolled: 1-line block ×3, first 2 shown]
	s_waitcnt lgkmcnt(3)
	v_cvt_f32_f16_e32 v196, v21
	v_cvt_f32_f16_sdwa v197, v21 dst_sel:DWORD dst_unused:UNUSED_PAD src0_sel:WORD_1
	s_waitcnt lgkmcnt(2)
	v_cvt_f32_f16_sdwa v198, v22 dst_sel:DWORD dst_unused:UNUSED_PAD src0_sel:WORD_1
	v_cvt_f32_f16_e32 v199, v22
	s_waitcnt lgkmcnt(1)
	v_cvt_f32_f16_sdwa v200, v23 dst_sel:DWORD dst_unused:UNUSED_PAD src0_sel:WORD_1
	v_cvt_f32_f16_e32 v201, v23
	;; [unrolled: 3-line block ×3, first 2 shown]
.LBB134_6:                              ;   Parent Loop BB134_5 Depth=1
                                        ; =>  This Inner Loop Header: Depth=2
	s_lshl_b32 s19, s18, 1
	s_lshr_b32 s20, s18, 2
	v_or_b32_e32 v21, s19, v137
	s_lshl_b32 s18, s18, 3
	v_lshlrev_b32_e32 v22, 2, v21
	v_add_u32_e32 v35, s18, v171
	v_lshrrev_b32_e32 v37, 1, v21
	ds_read_b128 v[71:74], v22 offset:33280
	ds_read_b128 v[75:78], v22 offset:33296
	;; [unrolled: 1-line block ×4, first 2 shown]
	ds_read2_b32 v[21:22], v35 offset1:1
	s_add_i32 s20, s20, 0xa200
	v_lshlrev_b32_e32 v190, 2, v148
	v_lshlrev_b32_e32 v191, 2, v111
	v_add3_u32 v29, s20, v190, v191
	s_waitcnt lgkmcnt(0)
	v_dot4_i32_i8 v23, v21, v71, 0
	v_dot4_i32_i8 v25, v22, v72, v23
	ds_read2_b32 v[23:24], v35 offset0:2 offset1:3
	v_add_u32_e32 v51, s18, v172
	v_lshlrev_b32_e32 v192, 2, v158
	v_add3_u32 v45, s20, v192, v187
	v_add_u32_e32 v67, s18, v173
	s_waitcnt lgkmcnt(0)
	v_dot4_i32_i8 v25, v23, v73, v25
	v_dot4_i32_i8 v27, v24, v74, v25
	ds_read2_b32 v[25:26], v35 offset0:4 offset1:5
	v_lshlrev_b32_e32 v193, 2, v160
	v_add3_u32 v61, s20, v193, v188
	v_lshlrev_b32_e32 v194, 2, v162
	s_and_b64 vcc, exec, s[0:1]
	s_waitcnt lgkmcnt(0)
	v_dot4_i32_i8 v27, v25, v75, v27
	v_dot4_i32_i8 v30, v26, v76, v27
	ds_read2_b32 v[27:28], v35 offset0:6 offset1:7
	s_mov_b64 s[0:1], 0
	s_waitcnt lgkmcnt(0)
	v_dot4_i32_i8 v30, v27, v77, v30
	v_dot4_i32_i8 v38, v28, v78, v30
	ds_read_u16 v39, v29
	ds_read_u8 v30, v29 offset:8
	ds_read_u8 v40, v29 offset:9
	ds_read_b64 v[222:223], v37 offset:43584
	s_waitcnt lgkmcnt(3)
	v_and_b32_e32 v207, 0xff, v39
	s_waitcnt lgkmcnt(2)
	v_cvt_f32_ubyte0_e32 v204, v30
	ds_read2_b32 v[29:30], v35 offset0:8 offset1:9
	v_lshrrev_b16_e32 v205, 8, v39
	v_mul_lo_u32 v37, v38, v207
	s_waitcnt lgkmcnt(1)
	v_fma_mix_f32 v39, v222, v204, 0 op_sel:[1,0,0] op_sel_hi:[1,0,0]
	v_cvt_f32_ubyte0_e32 v206, v40
	s_waitcnt lgkmcnt(0)
	v_dot4_i32_i8 v31, v29, v79, 0
	v_dot4_i32_i8 v33, v30, v80, v31
	ds_read2_b32 v[31:32], v35 offset0:10 offset1:11
	v_cvt_f32_i32_e32 v37, v37
	s_waitcnt lgkmcnt(0)
	v_dot4_i32_i8 v33, v31, v81, v33
	v_dot4_i32_i8 v36, v32, v82, v33
	ds_read2_b32 v[33:34], v35 offset0:12 offset1:13
	v_fma_mix_f32 v37, v222, v37, 0 op_sel_hi:[1,0,0]
	s_waitcnt lgkmcnt(0)
	v_dot4_i32_i8 v36, v33, v218, v36
	v_dot4_i32_i8 v41, v34, v219, v36
	ds_read2_b32 v[35:36], v35 offset0:14 offset1:15
	s_waitcnt lgkmcnt(0)
	v_dot4_i32_i8 v41, v35, v220, v41
	v_dot4_i32_i8 v41, v36, v221, v41
	v_mul_lo_u32 v38, v41, v205
	v_cvt_f32_i32_e32 v38, v38
	v_fma_mix_f32 v37, v223, v38, v37 op_sel_hi:[1,0,0]
	v_fma_mix_f32 v38, v223, v206, v39 op_sel:[1,0,0] op_sel_hi:[1,0,0]
	v_mul_f32_e32 v38, v38, v197
	v_fma_f32 v37, v37, v196, -v38
	v_add_f32_e32 v104, v104, v37
	ds_read2_b32 v[37:38], v51 offset1:1
	s_waitcnt lgkmcnt(0)
	v_dot4_i32_i8 v39, v37, v71, 0
	v_dot4_i32_i8 v41, v38, v72, v39
	ds_read2_b32 v[39:40], v51 offset0:2 offset1:3
	s_waitcnt lgkmcnt(0)
	v_dot4_i32_i8 v41, v39, v73, v41
	v_dot4_i32_i8 v43, v40, v74, v41
	ds_read2_b32 v[41:42], v51 offset0:4 offset1:5
	s_waitcnt lgkmcnt(0)
	v_dot4_i32_i8 v43, v41, v75, v43
	v_dot4_i32_i8 v46, v42, v76, v43
	ds_read2_b32 v[43:44], v51 offset0:6 offset1:7
	ds_read_u16 v53, v45
	ds_read_u16 v54, v45 offset:8
	s_waitcnt lgkmcnt(2)
	v_dot4_i32_i8 v46, v43, v77, v46
	v_dot4_i32_i8 v46, v44, v78, v46
	s_waitcnt lgkmcnt(1)
	v_and_b32_e32 v208, 0xff, v53
	v_mul_lo_u32 v45, v46, v208
	v_lshrrev_b16_e32 v210, 8, v53
	s_waitcnt lgkmcnt(0)
	v_cvt_f32_ubyte0_e32 v209, v54
	v_cvt_f32_ubyte1_e32 v211, v54
	v_cvt_f32_i32_e32 v55, v45
	ds_read2_b32 v[45:46], v51 offset0:8 offset1:9
	v_fma_mix_f32 v54, v222, v209, 0 op_sel:[1,0,0] op_sel_hi:[1,0,0]
	v_fma_mix_f32 v54, v223, v211, v54 op_sel:[1,0,0] op_sel_hi:[1,0,0]
	v_fma_mix_f32 v55, v222, v55, 0 op_sel_hi:[1,0,0]
	v_mul_f32_e32 v54, v54, v198
	s_waitcnt lgkmcnt(0)
	v_dot4_i32_i8 v47, v45, v79, 0
	v_dot4_i32_i8 v49, v46, v80, v47
	ds_read2_b32 v[47:48], v51 offset0:10 offset1:11
	s_waitcnt lgkmcnt(0)
	v_dot4_i32_i8 v49, v47, v81, v49
	v_dot4_i32_i8 v52, v48, v82, v49
	ds_read2_b32 v[49:50], v51 offset0:12 offset1:13
	;; [unrolled: 4-line block ×3, first 2 shown]
	s_waitcnt lgkmcnt(0)
	v_dot4_i32_i8 v56, v51, v220, v56
	v_dot4_i32_i8 v56, v52, v221, v56
	v_mul_lo_u32 v53, v56, v210
	v_cvt_f32_i32_e32 v53, v53
	v_fma_mix_f32 v53, v223, v53, v55 op_sel_hi:[1,0,0]
	v_fma_f32 v53, v53, v199, -v54
	v_add_f32_e32 v146, v146, v53
	ds_read2_b32 v[53:54], v67 offset1:1
	s_waitcnt lgkmcnt(0)
	v_dot4_i32_i8 v55, v53, v71, 0
	v_dot4_i32_i8 v57, v54, v72, v55
	ds_read2_b32 v[55:56], v67 offset0:2 offset1:3
	s_waitcnt lgkmcnt(0)
	v_dot4_i32_i8 v57, v55, v73, v57
	v_dot4_i32_i8 v59, v56, v74, v57
	ds_read2_b32 v[57:58], v67 offset0:4 offset1:5
	;; [unrolled: 4-line block ×3, first 2 shown]
	ds_read_u16 v69, v61
	ds_read_u16 v70, v61 offset:8
	s_waitcnt lgkmcnt(2)
	v_dot4_i32_i8 v62, v59, v77, v62
	v_dot4_i32_i8 v62, v60, v78, v62
	s_waitcnt lgkmcnt(1)
	v_and_b32_e32 v212, 0xff, v69
	v_mul_lo_u32 v61, v62, v212
	v_lshrrev_b16_e32 v214, 8, v69
	s_waitcnt lgkmcnt(0)
	v_cvt_f32_ubyte0_e32 v213, v70
	v_cvt_f32_ubyte1_e32 v215, v70
	v_cvt_f32_i32_e32 v83, v61
	ds_read2_b32 v[61:62], v67 offset0:8 offset1:9
	v_fma_mix_f32 v70, v222, v213, 0 op_sel:[1,0,0] op_sel_hi:[1,0,0]
	v_fma_mix_f32 v70, v223, v215, v70 op_sel:[1,0,0] op_sel_hi:[1,0,0]
	v_fma_mix_f32 v83, v222, v83, 0 op_sel_hi:[1,0,0]
	v_mul_f32_e32 v70, v70, v200
	s_waitcnt lgkmcnt(0)
	v_dot4_i32_i8 v63, v61, v79, 0
	v_dot4_i32_i8 v65, v62, v80, v63
	ds_read2_b32 v[63:64], v67 offset0:10 offset1:11
	s_waitcnt lgkmcnt(0)
	v_dot4_i32_i8 v65, v63, v81, v65
	v_dot4_i32_i8 v68, v64, v82, v65
	ds_read2_b32 v[65:66], v67 offset0:12 offset1:13
	s_waitcnt lgkmcnt(0)
	v_dot4_i32_i8 v68, v65, v218, v68
	v_dot4_i32_i8 v84, v66, v219, v68
	ds_read2_b32 v[67:68], v67 offset0:14 offset1:15
	s_waitcnt lgkmcnt(0)
	v_dot4_i32_i8 v84, v67, v220, v84
	v_dot4_i32_i8 v84, v68, v221, v84
	v_mul_lo_u32 v69, v84, v214
	v_add_u32_e32 v84, s18, v174
	s_mov_b32 s18, 8
	v_cvt_f32_i32_e32 v69, v69
	v_fma_mix_f32 v69, v223, v69, v83 op_sel_hi:[1,0,0]
	v_fma_f32 v69, v69, v201, -v70
	v_add_f32_e32 v145, v145, v69
	ds_read2_b32 v[69:70], v84 offset1:1
	v_add3_u32 v83, s20, v194, v189
	s_waitcnt lgkmcnt(0)
	v_dot4_i32_i8 v71, v69, v71, 0
	v_dot4_i32_i8 v216, v70, v72, v71
	ds_read2_b32 v[71:72], v84 offset0:2 offset1:3
	s_waitcnt lgkmcnt(0)
	v_dot4_i32_i8 v73, v71, v73, v216
	v_dot4_i32_i8 v216, v72, v74, v73
	ds_read2_b32 v[73:74], v84 offset0:4 offset1:5
	;; [unrolled: 4-line block ×3, first 2 shown]
	ds_read_u16 v224, v83
	ds_read_u16 v225, v83 offset:8
	s_waitcnt lgkmcnt(2)
	v_dot4_i32_i8 v77, v75, v77, v216
	v_dot4_i32_i8 v77, v76, v78, v77
	s_waitcnt lgkmcnt(1)
	v_and_b32_e32 v216, 0xff, v224
	v_mul_lo_u32 v77, v77, v216
	s_waitcnt lgkmcnt(0)
	v_cvt_f32_ubyte0_e32 v217, v225
	v_cvt_f32_i32_e32 v226, v77
	ds_read2_b32 v[77:78], v84 offset0:8 offset1:9
	s_waitcnt lgkmcnt(0)
	v_dot4_i32_i8 v79, v77, v79, 0
	v_dot4_i32_i8 v83, v78, v80, v79
	ds_read2_b32 v[79:80], v84 offset0:10 offset1:11
	s_waitcnt lgkmcnt(0)
	v_dot4_i32_i8 v81, v79, v81, v83
	v_dot4_i32_i8 v83, v80, v82, v81
	;; [unrolled: 4-line block ×4, first 2 shown]
	v_lshrrev_b16_e32 v218, 8, v224
	v_mul_lo_u32 v219, v219, v218
	v_fma_mix_f32 v221, v222, v217, 0 op_sel:[1,0,0] op_sel_hi:[1,0,0]
	v_fma_mix_f32 v222, v222, v226, 0 op_sel_hi:[1,0,0]
	v_cvt_f32_i32_e32 v220, v219
	v_cvt_f32_ubyte1_e32 v219, v225
	v_fma_mix_f32 v221, v223, v219, v221 op_sel:[1,0,0] op_sel_hi:[1,0,0]
	v_mul_f32_e32 v221, v221, v202
	v_fma_mix_f32 v220, v223, v220, v222 op_sel_hi:[1,0,0]
	v_fma_f32 v220, v220, v203, -v221
	v_add_f32_e32 v140, v140, v220
	v_or_b32_e32 v220, s19, v164
	v_lshlrev_b32_e32 v232, 2, v220
	v_lshrrev_b32_e32 v236, 1, v220
	ds_read_b128 v[220:223], v232 offset:33280
	ds_read_b128 v[224:227], v232 offset:33296
	ds_read_b128 v[228:231], v232 offset:33312
	ds_read_b128 v[232:235], v232 offset:33328
	ds_read_b64 v[236:237], v236 offset:43584
	s_waitcnt lgkmcnt(4)
	v_dot4_i32_i8 v238, v21, v220, 0
	v_dot4_i32_i8 v238, v22, v221, v238
	s_waitcnt lgkmcnt(2)
	v_dot4_i32_i8 v240, v29, v228, 0
	v_dot4_i32_i8 v238, v23, v222, v238
	;; [unrolled: 1-line block ×8, first 2 shown]
	s_waitcnt lgkmcnt(1)
	v_dot4_i32_i8 v240, v33, v232, v240
	v_dot4_i32_i8 v238, v27, v226, v238
	;; [unrolled: 1-line block ×5, first 2 shown]
	v_mul_lo_u32 v238, v238, v207
	v_dot4_i32_i8 v240, v36, v235, v240
	v_mul_lo_u32 v240, v240, v205
	s_waitcnt lgkmcnt(0)
	v_fma_mix_f32 v239, v204, v236, 0 op_sel:[0,1,0] op_sel_hi:[0,1,0]
	v_cvt_f32_i32_e32 v238, v238
	v_fma_mix_f32 v239, v206, v237, v239 op_sel:[0,1,0] op_sel_hi:[0,1,0]
	v_cvt_f32_i32_e32 v240, v240
	v_mul_f32_e32 v239, v239, v197
	v_fma_mix_f32 v238, v238, v236, 0 op_sel_hi:[0,1,0]
	v_fma_mix_f32 v238, v240, v237, v238 op_sel_hi:[0,1,0]
	v_fma_f32 v238, v238, v196, -v239
	v_add_f32_e32 v135, v135, v238
	v_dot4_i32_i8 v238, v37, v220, 0
	v_dot4_i32_i8 v238, v38, v221, v238
	v_dot4_i32_i8 v240, v45, v228, 0
	v_dot4_i32_i8 v238, v39, v222, v238
	v_dot4_i32_i8 v240, v46, v229, v240
	v_dot4_i32_i8 v238, v40, v223, v238
	v_dot4_i32_i8 v240, v47, v230, v240
	v_dot4_i32_i8 v238, v41, v224, v238
	v_dot4_i32_i8 v240, v48, v231, v240
	v_dot4_i32_i8 v238, v42, v225, v238
	v_dot4_i32_i8 v240, v49, v232, v240
	v_dot4_i32_i8 v238, v43, v226, v238
	v_dot4_i32_i8 v240, v50, v233, v240
	v_dot4_i32_i8 v238, v44, v227, v238
	v_dot4_i32_i8 v240, v51, v234, v240
	v_mul_lo_u32 v238, v238, v208
	v_dot4_i32_i8 v240, v52, v235, v240
	v_mul_lo_u32 v240, v240, v210
	v_fma_mix_f32 v239, v209, v236, 0 op_sel:[0,1,0] op_sel_hi:[0,1,0]
	v_cvt_f32_i32_e32 v238, v238
	v_fma_mix_f32 v239, v211, v237, v239 op_sel:[0,1,0] op_sel_hi:[0,1,0]
	v_cvt_f32_i32_e32 v240, v240
	v_mul_f32_e32 v239, v239, v198
	v_fma_mix_f32 v238, v238, v236, 0 op_sel_hi:[0,1,0]
	v_fma_mix_f32 v238, v240, v237, v238 op_sel_hi:[0,1,0]
	v_fma_f32 v238, v238, v199, -v239
	v_add_f32_e32 v130, v130, v238
	v_dot4_i32_i8 v238, v53, v220, 0
	v_dot4_i32_i8 v220, v69, v220, 0
	;; [unrolled: 1-line block ×24, first 2 shown]
	v_mul_lo_u32 v220, v220, v216
	v_dot4_i32_i8 v222, v84, v235, v222
	v_dot4_i32_i8 v238, v58, v225, v238
	;; [unrolled: 1-line block ×3, first 2 shown]
	v_mul_lo_u32 v222, v222, v218
	v_dot4_i32_i8 v238, v59, v226, v238
	v_dot4_i32_i8 v240, v66, v233, v240
	;; [unrolled: 1-line block ×4, first 2 shown]
	v_mul_lo_u32 v238, v238, v212
	v_dot4_i32_i8 v240, v68, v235, v240
	v_cvt_f32_i32_e32 v220, v220
	v_mul_lo_u32 v240, v240, v214
	v_cvt_f32_i32_e32 v222, v222
	v_fma_mix_f32 v221, v217, v236, 0 op_sel:[0,1,0] op_sel_hi:[0,1,0]
	v_cvt_f32_i32_e32 v238, v238
	v_fma_mix_f32 v220, v220, v236, 0 op_sel_hi:[0,1,0]
	v_fma_mix_f32 v221, v219, v237, v221 op_sel:[0,1,0] op_sel_hi:[0,1,0]
	v_cvt_f32_i32_e32 v240, v240
	v_fma_mix_f32 v220, v222, v237, v220 op_sel_hi:[0,1,0]
	v_mul_f32_e32 v221, v221, v202
	v_fma_f32 v220, v220, v203, -v221
	v_fma_mix_f32 v239, v213, v236, 0 op_sel:[0,1,0] op_sel_hi:[0,1,0]
	v_add_f32_e32 v120, v120, v220
	v_or_b32_e32 v220, s19, v165
	v_fma_mix_f32 v238, v238, v236, 0 op_sel_hi:[0,1,0]
	v_fma_mix_f32 v239, v215, v237, v239 op_sel:[0,1,0] op_sel_hi:[0,1,0]
	v_lshlrev_b32_e32 v232, 2, v220
	v_lshrrev_b32_e32 v236, 1, v220
	v_fma_mix_f32 v238, v240, v237, v238 op_sel_hi:[0,1,0]
	v_mul_f32_e32 v239, v239, v200
	ds_read_b128 v[220:223], v232 offset:33280
	ds_read_b128 v[224:227], v232 offset:33296
	;; [unrolled: 1-line block ×4, first 2 shown]
	ds_read_b64 v[236:237], v236 offset:43584
	v_fma_f32 v238, v238, v201, -v239
	v_add_f32_e32 v125, v125, v238
	s_waitcnt lgkmcnt(4)
	v_dot4_i32_i8 v238, v21, v220, 0
	v_dot4_i32_i8 v238, v22, v221, v238
	s_waitcnt lgkmcnt(2)
	v_dot4_i32_i8 v240, v29, v228, 0
	v_dot4_i32_i8 v238, v23, v222, v238
	;; [unrolled: 1-line block ×8, first 2 shown]
	s_waitcnt lgkmcnt(1)
	v_dot4_i32_i8 v240, v33, v232, v240
	v_dot4_i32_i8 v238, v27, v226, v238
	;; [unrolled: 1-line block ×5, first 2 shown]
	v_mul_lo_u32 v238, v238, v207
	v_dot4_i32_i8 v240, v36, v235, v240
	v_mul_lo_u32 v240, v240, v205
	s_waitcnt lgkmcnt(0)
	v_fma_mix_f32 v239, v204, v236, 0 op_sel:[0,1,0] op_sel_hi:[0,1,0]
	v_cvt_f32_i32_e32 v238, v238
	v_fma_mix_f32 v239, v206, v237, v239 op_sel:[0,1,0] op_sel_hi:[0,1,0]
	v_cvt_f32_i32_e32 v240, v240
	v_mul_f32_e32 v239, v239, v197
	v_fma_mix_f32 v238, v238, v236, 0 op_sel_hi:[0,1,0]
	v_fma_mix_f32 v238, v240, v237, v238 op_sel_hi:[0,1,0]
	v_fma_f32 v238, v238, v196, -v239
	v_add_f32_e32 v112, v112, v238
	v_dot4_i32_i8 v238, v37, v220, 0
	v_dot4_i32_i8 v238, v38, v221, v238
	;; [unrolled: 1-line block ×15, first 2 shown]
	v_mul_lo_u32 v238, v238, v208
	v_dot4_i32_i8 v240, v52, v235, v240
	v_mul_lo_u32 v240, v240, v210
	v_fma_mix_f32 v239, v209, v236, 0 op_sel:[0,1,0] op_sel_hi:[0,1,0]
	v_cvt_f32_i32_e32 v238, v238
	v_fma_mix_f32 v239, v211, v237, v239 op_sel:[0,1,0] op_sel_hi:[0,1,0]
	v_cvt_f32_i32_e32 v240, v240
	v_mul_f32_e32 v239, v239, v198
	v_fma_mix_f32 v238, v238, v236, 0 op_sel_hi:[0,1,0]
	v_fma_mix_f32 v238, v240, v237, v238 op_sel_hi:[0,1,0]
	v_fma_f32 v238, v238, v199, -v239
	v_add_f32_e32 v109, v109, v238
	v_dot4_i32_i8 v238, v53, v220, 0
	v_dot4_i32_i8 v220, v69, v220, 0
	;; [unrolled: 1-line block ×24, first 2 shown]
	v_mul_lo_u32 v220, v220, v216
	v_dot4_i32_i8 v222, v84, v235, v222
	v_dot4_i32_i8 v238, v58, v225, v238
	;; [unrolled: 1-line block ×3, first 2 shown]
	v_mul_lo_u32 v222, v222, v218
	v_dot4_i32_i8 v238, v59, v226, v238
	v_dot4_i32_i8 v240, v66, v233, v240
	;; [unrolled: 1-line block ×4, first 2 shown]
	v_mul_lo_u32 v238, v238, v212
	v_dot4_i32_i8 v240, v68, v235, v240
	v_cvt_f32_i32_e32 v220, v220
	v_mul_lo_u32 v240, v240, v214
	v_cvt_f32_i32_e32 v222, v222
	v_fma_mix_f32 v221, v217, v236, 0 op_sel:[0,1,0] op_sel_hi:[0,1,0]
	v_cvt_f32_i32_e32 v238, v238
	v_fma_mix_f32 v220, v220, v236, 0 op_sel_hi:[0,1,0]
	v_fma_mix_f32 v221, v219, v237, v221 op_sel:[0,1,0] op_sel_hi:[0,1,0]
	v_cvt_f32_i32_e32 v240, v240
	v_fma_mix_f32 v220, v222, v237, v220 op_sel_hi:[0,1,0]
	v_mul_f32_e32 v221, v221, v202
	v_fma_f32 v220, v220, v203, -v221
	v_fma_mix_f32 v239, v213, v236, 0 op_sel:[0,1,0] op_sel_hi:[0,1,0]
	v_add_f32_e32 v107, v107, v220
	v_or_b32_e32 v220, s19, v166
	v_fma_mix_f32 v238, v238, v236, 0 op_sel_hi:[0,1,0]
	v_fma_mix_f32 v239, v215, v237, v239 op_sel:[0,1,0] op_sel_hi:[0,1,0]
	v_lshlrev_b32_e32 v232, 2, v220
	v_lshrrev_b32_e32 v236, 1, v220
	v_fma_mix_f32 v238, v240, v237, v238 op_sel_hi:[0,1,0]
	v_mul_f32_e32 v239, v239, v200
	ds_read_b128 v[220:223], v232 offset:33280
	ds_read_b128 v[224:227], v232 offset:33296
	;; [unrolled: 1-line block ×4, first 2 shown]
	ds_read_b64 v[236:237], v236 offset:43584
	v_fma_f32 v238, v238, v201, -v239
	v_add_f32_e32 v108, v108, v238
	s_waitcnt lgkmcnt(4)
	v_dot4_i32_i8 v238, v21, v220, 0
	v_dot4_i32_i8 v238, v22, v221, v238
	s_waitcnt lgkmcnt(2)
	v_dot4_i32_i8 v240, v29, v228, 0
	v_dot4_i32_i8 v238, v23, v222, v238
	;; [unrolled: 1-line block ×8, first 2 shown]
	s_waitcnt lgkmcnt(1)
	v_dot4_i32_i8 v240, v33, v232, v240
	v_dot4_i32_i8 v238, v27, v226, v238
	;; [unrolled: 1-line block ×5, first 2 shown]
	v_mul_lo_u32 v238, v238, v207
	v_dot4_i32_i8 v240, v36, v235, v240
	v_mul_lo_u32 v240, v240, v205
	s_waitcnt lgkmcnt(0)
	v_fma_mix_f32 v239, v204, v236, 0 op_sel:[0,1,0] op_sel_hi:[0,1,0]
	v_cvt_f32_i32_e32 v238, v238
	v_fma_mix_f32 v239, v206, v237, v239 op_sel:[0,1,0] op_sel_hi:[0,1,0]
	v_cvt_f32_i32_e32 v240, v240
	v_mul_f32_e32 v239, v239, v197
	v_fma_mix_f32 v238, v238, v236, 0 op_sel_hi:[0,1,0]
	v_fma_mix_f32 v238, v240, v237, v238 op_sel_hi:[0,1,0]
	v_fma_f32 v238, v238, v196, -v239
	v_add_f32_e32 v106, v106, v238
	v_dot4_i32_i8 v238, v37, v220, 0
	v_dot4_i32_i8 v238, v38, v221, v238
	;; [unrolled: 1-line block ×15, first 2 shown]
	v_mul_lo_u32 v238, v238, v208
	v_dot4_i32_i8 v240, v52, v235, v240
	v_mul_lo_u32 v240, v240, v210
	v_fma_mix_f32 v239, v209, v236, 0 op_sel:[0,1,0] op_sel_hi:[0,1,0]
	v_cvt_f32_i32_e32 v238, v238
	v_fma_mix_f32 v239, v211, v237, v239 op_sel:[0,1,0] op_sel_hi:[0,1,0]
	v_cvt_f32_i32_e32 v240, v240
	v_mul_f32_e32 v239, v239, v198
	v_fma_mix_f32 v238, v238, v236, 0 op_sel_hi:[0,1,0]
	v_fma_mix_f32 v238, v240, v237, v238 op_sel_hi:[0,1,0]
	v_fma_f32 v238, v238, v199, -v239
	v_add_f32_e32 v105, v105, v238
	v_dot4_i32_i8 v238, v53, v220, 0
	v_dot4_i32_i8 v220, v69, v220, 0
	;; [unrolled: 1-line block ×24, first 2 shown]
	v_mul_lo_u32 v220, v220, v216
	v_dot4_i32_i8 v222, v84, v235, v222
	v_dot4_i32_i8 v238, v58, v225, v238
	;; [unrolled: 1-line block ×3, first 2 shown]
	v_mul_lo_u32 v222, v222, v218
	v_dot4_i32_i8 v238, v59, v226, v238
	v_dot4_i32_i8 v240, v66, v233, v240
	v_dot4_i32_i8 v238, v60, v227, v238
	v_dot4_i32_i8 v240, v67, v234, v240
	v_mul_lo_u32 v238, v238, v212
	v_dot4_i32_i8 v240, v68, v235, v240
	v_cvt_f32_i32_e32 v220, v220
	v_mul_lo_u32 v240, v240, v214
	v_cvt_f32_i32_e32 v222, v222
	v_fma_mix_f32 v221, v217, v236, 0 op_sel:[0,1,0] op_sel_hi:[0,1,0]
	v_cvt_f32_i32_e32 v238, v238
	v_fma_mix_f32 v220, v220, v236, 0 op_sel_hi:[0,1,0]
	v_fma_mix_f32 v221, v219, v237, v221 op_sel:[0,1,0] op_sel_hi:[0,1,0]
	v_cvt_f32_i32_e32 v240, v240
	v_fma_mix_f32 v220, v222, v237, v220 op_sel_hi:[0,1,0]
	v_mul_f32_e32 v221, v221, v202
	v_fma_f32 v220, v220, v203, -v221
	v_fma_mix_f32 v239, v213, v236, 0 op_sel:[0,1,0] op_sel_hi:[0,1,0]
	v_add_f32_e32 v101, v101, v220
	v_or_b32_e32 v220, s19, v167
	v_fma_mix_f32 v238, v238, v236, 0 op_sel_hi:[0,1,0]
	v_fma_mix_f32 v239, v215, v237, v239 op_sel:[0,1,0] op_sel_hi:[0,1,0]
	v_lshlrev_b32_e32 v232, 2, v220
	v_lshrrev_b32_e32 v236, 1, v220
	v_fma_mix_f32 v238, v240, v237, v238 op_sel_hi:[0,1,0]
	v_mul_f32_e32 v239, v239, v200
	ds_read_b128 v[220:223], v232 offset:33280
	ds_read_b128 v[224:227], v232 offset:33296
	;; [unrolled: 1-line block ×4, first 2 shown]
	ds_read_b64 v[236:237], v236 offset:43584
	v_fma_f32 v238, v238, v201, -v239
	v_add_f32_e32 v102, v102, v238
	s_waitcnt lgkmcnt(4)
	v_dot4_i32_i8 v238, v21, v220, 0
	v_dot4_i32_i8 v238, v22, v221, v238
	s_waitcnt lgkmcnt(2)
	v_dot4_i32_i8 v240, v29, v228, 0
	v_dot4_i32_i8 v238, v23, v222, v238
	v_dot4_i32_i8 v240, v30, v229, v240
	v_dot4_i32_i8 v238, v24, v223, v238
	v_dot4_i32_i8 v240, v31, v230, v240
	v_dot4_i32_i8 v238, v25, v224, v238
	v_dot4_i32_i8 v240, v32, v231, v240
	v_dot4_i32_i8 v238, v26, v225, v238
	s_waitcnt lgkmcnt(1)
	v_dot4_i32_i8 v240, v33, v232, v240
	v_dot4_i32_i8 v238, v27, v226, v238
	;; [unrolled: 1-line block ×5, first 2 shown]
	v_mul_lo_u32 v238, v238, v207
	v_dot4_i32_i8 v240, v36, v235, v240
	v_mul_lo_u32 v240, v240, v205
	s_waitcnt lgkmcnt(0)
	v_fma_mix_f32 v239, v204, v236, 0 op_sel:[0,1,0] op_sel_hi:[0,1,0]
	v_cvt_f32_i32_e32 v238, v238
	v_fma_mix_f32 v239, v206, v237, v239 op_sel:[0,1,0] op_sel_hi:[0,1,0]
	v_cvt_f32_i32_e32 v240, v240
	v_mul_f32_e32 v239, v239, v197
	v_fma_mix_f32 v238, v238, v236, 0 op_sel_hi:[0,1,0]
	v_fma_mix_f32 v238, v240, v237, v238 op_sel_hi:[0,1,0]
	v_fma_f32 v238, v238, v196, -v239
	v_add_f32_e32 v100, v100, v238
	v_dot4_i32_i8 v238, v37, v220, 0
	v_dot4_i32_i8 v238, v38, v221, v238
	;; [unrolled: 1-line block ×15, first 2 shown]
	v_mul_lo_u32 v238, v238, v208
	v_dot4_i32_i8 v240, v52, v235, v240
	v_mul_lo_u32 v240, v240, v210
	v_fma_mix_f32 v239, v209, v236, 0 op_sel:[0,1,0] op_sel_hi:[0,1,0]
	v_cvt_f32_i32_e32 v238, v238
	v_fma_mix_f32 v239, v211, v237, v239 op_sel:[0,1,0] op_sel_hi:[0,1,0]
	v_cvt_f32_i32_e32 v240, v240
	v_mul_f32_e32 v239, v239, v198
	v_fma_mix_f32 v238, v238, v236, 0 op_sel_hi:[0,1,0]
	v_fma_mix_f32 v238, v240, v237, v238 op_sel_hi:[0,1,0]
	v_fma_f32 v238, v238, v199, -v239
	v_add_f32_e32 v99, v99, v238
	v_dot4_i32_i8 v238, v53, v220, 0
	v_dot4_i32_i8 v220, v69, v220, 0
	;; [unrolled: 1-line block ×24, first 2 shown]
	v_mul_lo_u32 v220, v220, v216
	v_dot4_i32_i8 v222, v84, v235, v222
	v_dot4_i32_i8 v238, v58, v225, v238
	;; [unrolled: 1-line block ×3, first 2 shown]
	v_mul_lo_u32 v222, v222, v218
	v_dot4_i32_i8 v238, v59, v226, v238
	v_dot4_i32_i8 v240, v66, v233, v240
	;; [unrolled: 1-line block ×4, first 2 shown]
	v_mul_lo_u32 v238, v238, v212
	v_dot4_i32_i8 v240, v68, v235, v240
	v_cvt_f32_i32_e32 v220, v220
	v_mul_lo_u32 v240, v240, v214
	v_cvt_f32_i32_e32 v222, v222
	v_fma_mix_f32 v221, v217, v236, 0 op_sel:[0,1,0] op_sel_hi:[0,1,0]
	v_cvt_f32_i32_e32 v238, v238
	v_fma_mix_f32 v220, v220, v236, 0 op_sel_hi:[0,1,0]
	v_fma_mix_f32 v221, v219, v237, v221 op_sel:[0,1,0] op_sel_hi:[0,1,0]
	v_cvt_f32_i32_e32 v240, v240
	v_fma_mix_f32 v220, v222, v237, v220 op_sel_hi:[0,1,0]
	v_mul_f32_e32 v221, v221, v202
	v_fma_f32 v220, v220, v203, -v221
	v_fma_mix_f32 v239, v213, v236, 0 op_sel:[0,1,0] op_sel_hi:[0,1,0]
	v_add_f32_e32 v97, v97, v220
	v_or_b32_e32 v220, s19, v168
	v_fma_mix_f32 v238, v238, v236, 0 op_sel_hi:[0,1,0]
	v_fma_mix_f32 v239, v215, v237, v239 op_sel:[0,1,0] op_sel_hi:[0,1,0]
	v_lshlrev_b32_e32 v232, 2, v220
	v_lshrrev_b32_e32 v236, 1, v220
	v_fma_mix_f32 v238, v240, v237, v238 op_sel_hi:[0,1,0]
	v_mul_f32_e32 v239, v239, v200
	ds_read_b128 v[220:223], v232 offset:33280
	ds_read_b128 v[224:227], v232 offset:33296
	;; [unrolled: 1-line block ×4, first 2 shown]
	ds_read_b64 v[236:237], v236 offset:43584
	v_fma_f32 v238, v238, v201, -v239
	v_add_f32_e32 v98, v98, v238
	s_waitcnt lgkmcnt(4)
	v_dot4_i32_i8 v238, v21, v220, 0
	v_dot4_i32_i8 v238, v22, v221, v238
	s_waitcnt lgkmcnt(2)
	v_dot4_i32_i8 v240, v29, v228, 0
	v_dot4_i32_i8 v238, v23, v222, v238
	v_dot4_i32_i8 v240, v30, v229, v240
	v_dot4_i32_i8 v238, v24, v223, v238
	v_dot4_i32_i8 v240, v31, v230, v240
	v_dot4_i32_i8 v238, v25, v224, v238
	v_dot4_i32_i8 v240, v32, v231, v240
	v_dot4_i32_i8 v238, v26, v225, v238
	s_waitcnt lgkmcnt(1)
	v_dot4_i32_i8 v240, v33, v232, v240
	v_dot4_i32_i8 v238, v27, v226, v238
	;; [unrolled: 1-line block ×5, first 2 shown]
	v_mul_lo_u32 v238, v238, v207
	v_dot4_i32_i8 v240, v36, v235, v240
	v_mul_lo_u32 v240, v240, v205
	s_waitcnt lgkmcnt(0)
	v_fma_mix_f32 v239, v204, v236, 0 op_sel:[0,1,0] op_sel_hi:[0,1,0]
	v_cvt_f32_i32_e32 v238, v238
	v_fma_mix_f32 v239, v206, v237, v239 op_sel:[0,1,0] op_sel_hi:[0,1,0]
	v_cvt_f32_i32_e32 v240, v240
	v_mul_f32_e32 v239, v239, v197
	v_fma_mix_f32 v238, v238, v236, 0 op_sel_hi:[0,1,0]
	v_fma_mix_f32 v238, v240, v237, v238 op_sel_hi:[0,1,0]
	v_fma_f32 v238, v238, v196, -v239
	v_add_f32_e32 v96, v96, v238
	v_dot4_i32_i8 v238, v37, v220, 0
	v_dot4_i32_i8 v238, v38, v221, v238
	;; [unrolled: 1-line block ×15, first 2 shown]
	v_mul_lo_u32 v238, v238, v208
	v_dot4_i32_i8 v240, v52, v235, v240
	v_mul_lo_u32 v240, v240, v210
	v_fma_mix_f32 v239, v209, v236, 0 op_sel:[0,1,0] op_sel_hi:[0,1,0]
	v_cvt_f32_i32_e32 v238, v238
	v_fma_mix_f32 v239, v211, v237, v239 op_sel:[0,1,0] op_sel_hi:[0,1,0]
	v_cvt_f32_i32_e32 v240, v240
	v_mul_f32_e32 v239, v239, v198
	v_fma_mix_f32 v238, v238, v236, 0 op_sel_hi:[0,1,0]
	v_fma_mix_f32 v238, v240, v237, v238 op_sel_hi:[0,1,0]
	v_fma_f32 v238, v238, v199, -v239
	v_add_f32_e32 v95, v95, v238
	v_dot4_i32_i8 v238, v53, v220, 0
	v_dot4_i32_i8 v220, v69, v220, 0
	;; [unrolled: 1-line block ×24, first 2 shown]
	v_mul_lo_u32 v220, v220, v216
	v_dot4_i32_i8 v222, v84, v235, v222
	v_dot4_i32_i8 v238, v58, v225, v238
	;; [unrolled: 1-line block ×3, first 2 shown]
	v_mul_lo_u32 v222, v222, v218
	v_dot4_i32_i8 v238, v59, v226, v238
	v_dot4_i32_i8 v240, v66, v233, v240
	;; [unrolled: 1-line block ×4, first 2 shown]
	v_mul_lo_u32 v238, v238, v212
	v_dot4_i32_i8 v240, v68, v235, v240
	v_cvt_f32_i32_e32 v220, v220
	v_mul_lo_u32 v240, v240, v214
	v_cvt_f32_i32_e32 v222, v222
	v_fma_mix_f32 v221, v217, v236, 0 op_sel:[0,1,0] op_sel_hi:[0,1,0]
	v_cvt_f32_i32_e32 v238, v238
	v_fma_mix_f32 v220, v220, v236, 0 op_sel_hi:[0,1,0]
	v_fma_mix_f32 v221, v219, v237, v221 op_sel:[0,1,0] op_sel_hi:[0,1,0]
	v_cvt_f32_i32_e32 v240, v240
	v_fma_mix_f32 v220, v222, v237, v220 op_sel_hi:[0,1,0]
	v_mul_f32_e32 v221, v221, v202
	v_fma_f32 v220, v220, v203, -v221
	v_fma_mix_f32 v239, v213, v236, 0 op_sel:[0,1,0] op_sel_hi:[0,1,0]
	v_add_f32_e32 v93, v93, v220
	v_or_b32_e32 v220, s19, v169
	v_fma_mix_f32 v238, v238, v236, 0 op_sel_hi:[0,1,0]
	v_fma_mix_f32 v239, v215, v237, v239 op_sel:[0,1,0] op_sel_hi:[0,1,0]
	v_lshlrev_b32_e32 v232, 2, v220
	v_lshrrev_b32_e32 v236, 1, v220
	v_fma_mix_f32 v238, v240, v237, v238 op_sel_hi:[0,1,0]
	v_mul_f32_e32 v239, v239, v200
	ds_read_b128 v[220:223], v232 offset:33280
	ds_read_b128 v[224:227], v232 offset:33296
	;; [unrolled: 1-line block ×4, first 2 shown]
	ds_read_b64 v[236:237], v236 offset:43584
	v_fma_f32 v238, v238, v201, -v239
	v_add_f32_e32 v94, v94, v238
	s_waitcnt lgkmcnt(4)
	v_dot4_i32_i8 v238, v21, v220, 0
	v_dot4_i32_i8 v238, v22, v221, v238
	s_waitcnt lgkmcnt(2)
	v_dot4_i32_i8 v240, v29, v228, 0
	v_dot4_i32_i8 v238, v23, v222, v238
	;; [unrolled: 1-line block ×8, first 2 shown]
	s_waitcnt lgkmcnt(1)
	v_dot4_i32_i8 v240, v33, v232, v240
	v_dot4_i32_i8 v238, v27, v226, v238
	;; [unrolled: 1-line block ×5, first 2 shown]
	v_mul_lo_u32 v238, v238, v207
	v_dot4_i32_i8 v240, v36, v235, v240
	v_mul_lo_u32 v240, v240, v205
	s_waitcnt lgkmcnt(0)
	v_fma_mix_f32 v239, v204, v236, 0 op_sel:[0,1,0] op_sel_hi:[0,1,0]
	v_cvt_f32_i32_e32 v238, v238
	v_fma_mix_f32 v239, v206, v237, v239 op_sel:[0,1,0] op_sel_hi:[0,1,0]
	v_cvt_f32_i32_e32 v240, v240
	v_mul_f32_e32 v239, v239, v197
	v_fma_mix_f32 v238, v238, v236, 0 op_sel_hi:[0,1,0]
	v_fma_mix_f32 v238, v240, v237, v238 op_sel_hi:[0,1,0]
	v_fma_f32 v238, v238, v196, -v239
	v_add_f32_e32 v92, v92, v238
	v_dot4_i32_i8 v238, v37, v220, 0
	v_dot4_i32_i8 v238, v38, v221, v238
	;; [unrolled: 1-line block ×15, first 2 shown]
	v_mul_lo_u32 v238, v238, v208
	v_dot4_i32_i8 v240, v52, v235, v240
	v_mul_lo_u32 v240, v240, v210
	v_fma_mix_f32 v239, v209, v236, 0 op_sel:[0,1,0] op_sel_hi:[0,1,0]
	v_cvt_f32_i32_e32 v238, v238
	v_fma_mix_f32 v239, v211, v237, v239 op_sel:[0,1,0] op_sel_hi:[0,1,0]
	v_cvt_f32_i32_e32 v240, v240
	v_mul_f32_e32 v239, v239, v198
	v_fma_mix_f32 v238, v238, v236, 0 op_sel_hi:[0,1,0]
	v_fma_mix_f32 v238, v240, v237, v238 op_sel_hi:[0,1,0]
	v_fma_f32 v238, v238, v199, -v239
	v_add_f32_e32 v91, v91, v238
	v_dot4_i32_i8 v238, v53, v220, 0
	v_dot4_i32_i8 v220, v69, v220, 0
	;; [unrolled: 1-line block ×24, first 2 shown]
	v_mul_lo_u32 v220, v220, v216
	v_dot4_i32_i8 v222, v84, v235, v222
	v_dot4_i32_i8 v238, v58, v225, v238
	;; [unrolled: 1-line block ×3, first 2 shown]
	v_mul_lo_u32 v222, v222, v218
	v_dot4_i32_i8 v238, v59, v226, v238
	v_dot4_i32_i8 v240, v66, v233, v240
	;; [unrolled: 1-line block ×4, first 2 shown]
	v_mul_lo_u32 v238, v238, v212
	v_dot4_i32_i8 v240, v68, v235, v240
	v_cvt_f32_i32_e32 v220, v220
	v_mul_lo_u32 v240, v240, v214
	v_cvt_f32_i32_e32 v222, v222
	v_fma_mix_f32 v221, v217, v236, 0 op_sel:[0,1,0] op_sel_hi:[0,1,0]
	v_cvt_f32_i32_e32 v238, v238
	v_fma_mix_f32 v220, v220, v236, 0 op_sel_hi:[0,1,0]
	v_fma_mix_f32 v221, v219, v237, v221 op_sel:[0,1,0] op_sel_hi:[0,1,0]
	v_cvt_f32_i32_e32 v240, v240
	v_fma_mix_f32 v220, v222, v237, v220 op_sel_hi:[0,1,0]
	v_mul_f32_e32 v221, v221, v202
	v_fma_f32 v220, v220, v203, -v221
	v_add_f32_e32 v89, v89, v220
	v_or_b32_e32 v220, s19, v170
	v_fma_mix_f32 v238, v238, v236, 0 op_sel_hi:[0,1,0]
	v_fma_mix_f32 v239, v213, v236, 0 op_sel:[0,1,0] op_sel_hi:[0,1,0]
	v_lshlrev_b32_e32 v232, 2, v220
	v_lshrrev_b32_e32 v236, 1, v220
	v_fma_mix_f32 v238, v240, v237, v238 op_sel_hi:[0,1,0]
	v_fma_mix_f32 v239, v215, v237, v239 op_sel:[0,1,0] op_sel_hi:[0,1,0]
	ds_read_b128 v[220:223], v232 offset:33280
	ds_read_b128 v[224:227], v232 offset:33296
	;; [unrolled: 1-line block ×4, first 2 shown]
	ds_read_b64 v[236:237], v236 offset:43584
	s_waitcnt lgkmcnt(4)
	v_dot4_i32_i8 v21, v21, v220, 0
	v_dot4_i32_i8 v21, v22, v221, v21
	;; [unrolled: 1-line block ×3, first 2 shown]
	s_waitcnt lgkmcnt(2)
	v_dot4_i32_i8 v23, v29, v228, 0
	v_dot4_i32_i8 v23, v30, v229, v23
	;; [unrolled: 1-line block ×7, first 2 shown]
	s_waitcnt lgkmcnt(1)
	v_dot4_i32_i8 v23, v33, v232, v23
	v_dot4_i32_i8 v21, v27, v226, v21
	;; [unrolled: 1-line block ×5, first 2 shown]
	v_mul_lo_u32 v21, v21, v207
	v_dot4_i32_i8 v23, v36, v235, v23
	v_mul_lo_u32 v23, v23, v205
	s_waitcnt lgkmcnt(0)
	v_fma_mix_f32 v22, v204, v236, 0 op_sel:[0,1,0] op_sel_hi:[0,1,0]
	v_cvt_f32_i32_e32 v21, v21
	v_fma_mix_f32 v22, v206, v237, v22 op_sel:[0,1,0] op_sel_hi:[0,1,0]
	v_cvt_f32_i32_e32 v23, v23
	v_mul_f32_e32 v22, v22, v197
	v_fma_mix_f32 v21, v21, v236, 0 op_sel_hi:[0,1,0]
	v_mul_f32_e32 v239, v239, v200
	v_fma_mix_f32 v21, v23, v237, v21 op_sel_hi:[0,1,0]
	v_fma_f32 v21, v21, v196, -v22
	v_add_f32_e32 v88, v88, v21
	v_dot4_i32_i8 v21, v37, v220, 0
	v_dot4_i32_i8 v21, v38, v221, v21
	;; [unrolled: 1-line block ×15, first 2 shown]
	v_mul_lo_u32 v21, v21, v208
	v_dot4_i32_i8 v23, v52, v235, v23
	v_mul_lo_u32 v23, v23, v210
	v_fma_mix_f32 v22, v209, v236, 0 op_sel:[0,1,0] op_sel_hi:[0,1,0]
	v_cvt_f32_i32_e32 v21, v21
	v_fma_mix_f32 v22, v211, v237, v22 op_sel:[0,1,0] op_sel_hi:[0,1,0]
	v_cvt_f32_i32_e32 v23, v23
	v_mul_f32_e32 v22, v22, v198
	v_fma_mix_f32 v21, v21, v236, 0 op_sel_hi:[0,1,0]
	v_fma_f32 v238, v238, v201, -v239
	v_fma_mix_f32 v21, v23, v237, v21 op_sel_hi:[0,1,0]
	v_fma_f32 v21, v21, v199, -v22
	v_add_f32_e32 v87, v87, v21
	v_dot4_i32_i8 v21, v53, v220, 0
	v_dot4_i32_i8 v21, v54, v221, v21
	;; [unrolled: 1-line block ×15, first 2 shown]
	v_mul_lo_u32 v21, v21, v212
	v_dot4_i32_i8 v23, v68, v235, v23
	v_mul_lo_u32 v23, v23, v214
	v_fma_mix_f32 v22, v213, v236, 0 op_sel:[0,1,0] op_sel_hi:[0,1,0]
	v_cvt_f32_i32_e32 v21, v21
	v_fma_mix_f32 v22, v215, v237, v22 op_sel:[0,1,0] op_sel_hi:[0,1,0]
	v_cvt_f32_i32_e32 v23, v23
	v_mul_f32_e32 v22, v22, v200
	v_fma_mix_f32 v21, v21, v236, 0 op_sel_hi:[0,1,0]
	v_add_f32_e32 v90, v90, v238
	v_fma_mix_f32 v21, v23, v237, v21 op_sel_hi:[0,1,0]
	v_fma_f32 v21, v21, v201, -v22
	v_add_f32_e32 v86, v86, v21
	v_dot4_i32_i8 v21, v69, v220, 0
	v_dot4_i32_i8 v21, v70, v221, v21
	;; [unrolled: 1-line block ×15, first 2 shown]
	v_mul_lo_u32 v21, v21, v216
	v_dot4_i32_i8 v23, v84, v235, v23
	v_mul_lo_u32 v23, v23, v218
	v_fma_mix_f32 v22, v217, v236, 0 op_sel:[0,1,0] op_sel_hi:[0,1,0]
	v_cvt_f32_i32_e32 v21, v21
	v_fma_mix_f32 v22, v219, v237, v22 op_sel:[0,1,0] op_sel_hi:[0,1,0]
	v_cvt_f32_i32_e32 v23, v23
	v_mul_f32_e32 v22, v22, v202
	v_fma_mix_f32 v21, v21, v236, 0 op_sel_hi:[0,1,0]
	v_fma_mix_f32 v21, v23, v237, v21 op_sel_hi:[0,1,0]
	v_fma_f32 v21, v21, v203, -v22
	v_add_f32_e32 v85, v85, v21
	s_cbranch_vccnz .LBB134_6
; %bb.7:                                ;   in Loop: Header=BB134_5 Depth=1
	v_add_u32_e32 v37, s17, v158
	v_add_u32_e32 v35, 4, v195
	;; [unrolled: 1-line block ×3, first 2 shown]
	v_mad_u64_u32 v[35:36], s[0:1], v35, 36, s[2:3]
	v_mad_i64_i32 v[21:22], s[0:1], v21, 36, v[19:20]
	v_add_u32_e32 v23, v37, v150
	v_mad_i64_i32 v[23:24], s[0:1], v23, 36, v[19:20]
	v_add_u32_e32 v25, v37, v151
	v_add_u32_e32 v27, v37, v152
	v_mad_i64_i32 v[25:26], s[0:1], v25, 36, v[19:20]
	v_mad_i64_i32 v[27:28], s[0:1], v27, 36, v[19:20]
	v_add_u32_e32 v29, v37, v153
	v_add_u32_e32 v31, v37, v154
	;; [unrolled: 1-line block ×4, first 2 shown]
	s_barrier
	v_mad_i64_i32 v[29:30], s[0:1], v29, 36, v[19:20]
	v_mad_i64_i32 v[31:32], s[0:1], v31, 36, v[19:20]
	;; [unrolled: 1-line block ×4, first 2 shown]
	global_load_dword v35, v[35:36], off
	s_nop 0
	global_load_dword v21, v[21:22], off offset:4
	s_nop 0
	global_load_dword v22, v[23:24], off offset:4
	;; [unrolled: 2-line block ×3, first 2 shown]
	global_load_dword v24, v[27:28], off offset:4
	s_nop 0
	global_load_dword v25, v[29:30], off offset:4
	global_load_dword v26, v[31:32], off offset:4
	;; [unrolled: 1-line block ×4, first 2 shown]
	s_mov_b32 s0, 16
	s_waitcnt vmcnt(8)
	ds_write_b32 v147, v35
	s_waitcnt vmcnt(7)
	ds_write_b32 v179, v21
	s_waitcnt vmcnt(6)
	ds_write_b32 v180, v22
	s_waitcnt vmcnt(5)
	ds_write_b32 v181, v23
	s_waitcnt vmcnt(4)
	ds_write_b32 v182, v24
	s_waitcnt vmcnt(3)
	ds_write_b32 v183, v25
	s_waitcnt vmcnt(2)
	ds_write_b32 v184, v26
	s_waitcnt vmcnt(1)
	ds_write_b32 v185, v27
	s_waitcnt vmcnt(0)
	ds_write_b32 v186, v28
	s_waitcnt lgkmcnt(0)
	s_barrier
	ds_read_b32 v21, v157
	ds_read_b32 v22, v159 offset:128
	ds_read_b32 v23, v161 offset:256
	;; [unrolled: 1-line block ×3, first 2 shown]
	s_waitcnt lgkmcnt(3)
	v_cvt_f32_f16_e32 v195, v21
	v_cvt_f32_f16_sdwa v196, v21 dst_sel:DWORD dst_unused:UNUSED_PAD src0_sel:WORD_1
	s_waitcnt lgkmcnt(2)
	v_cvt_f32_f16_sdwa v197, v22 dst_sel:DWORD dst_unused:UNUSED_PAD src0_sel:WORD_1
	v_cvt_f32_f16_e32 v198, v22
	s_waitcnt lgkmcnt(1)
	v_cvt_f32_f16_sdwa v199, v23 dst_sel:DWORD dst_unused:UNUSED_PAD src0_sel:WORD_1
	v_cvt_f32_f16_e32 v200, v23
	;; [unrolled: 3-line block ×3, first 2 shown]
.LBB134_8:                              ;   Parent Loop BB134_5 Depth=1
                                        ; =>  This Inner Loop Header: Depth=2
	s_lshr_b32 s1, s0, 2
	s_and_b32 s17, s1, 0x3ffffffe
	s_lshl_b32 s1, s0, 1
	s_and_b32 s1, s1, 16
	v_or_b32_e32 v21, s1, v137
	s_lshl_b32 s18, s0, 3
	v_lshlrev_b32_e32 v22, 2, v21
	v_add_u32_e32 v35, s18, v171
	v_lshrrev_b32_e32 v37, 1, v21
	ds_read_b128 v[71:74], v22 offset:33280
	ds_read_b128 v[75:78], v22 offset:33296
	;; [unrolled: 1-line block ×4, first 2 shown]
	ds_read2_b32 v[21:22], v35 offset1:1
	s_add_i32 s17, s17, 0xa200
	v_add3_u32 v29, s17, v190, v191
	v_add_u32_e32 v51, s18, v172
	v_add3_u32 v45, s17, v192, v187
	s_waitcnt lgkmcnt(0)
	v_dot4_i32_i8 v23, v21, v71, 0
	v_dot4_i32_i8 v25, v22, v72, v23
	ds_read2_b32 v[23:24], v35 offset0:2 offset1:3
	v_add_u32_e32 v67, s18, v173
	v_add3_u32 v61, s17, v193, v188
	s_waitcnt lgkmcnt(0)
	v_dot4_i32_i8 v25, v23, v73, v25
	v_dot4_i32_i8 v27, v24, v74, v25
	ds_read2_b32 v[25:26], v35 offset0:4 offset1:5
	s_waitcnt lgkmcnt(0)
	v_dot4_i32_i8 v27, v25, v75, v27
	v_dot4_i32_i8 v30, v26, v76, v27
	ds_read2_b32 v[27:28], v35 offset0:6 offset1:7
	ds_read_u16 v39, v29
	ds_read_u16 v40, v29 offset:8
	ds_read_b64 v[221:222], v37 offset:43584
	s_waitcnt lgkmcnt(3)
	v_dot4_i32_i8 v30, v27, v77, v30
	v_dot4_i32_i8 v38, v28, v78, v30
	ds_read2_b32 v[29:30], v35 offset0:8 offset1:9
	s_waitcnt lgkmcnt(3)
	v_and_b32_e32 v206, 0xff, v39
	v_lshrrev_b16_e32 v204, 8, v39
	v_mul_lo_u32 v37, v38, v206
	s_waitcnt lgkmcnt(2)
	v_cvt_f32_ubyte0_e32 v203, v40
	s_waitcnt lgkmcnt(0)
	v_dot4_i32_i8 v31, v29, v79, 0
	v_dot4_i32_i8 v33, v30, v80, v31
	ds_read2_b32 v[31:32], v35 offset0:10 offset1:11
	v_cvt_f32_i32_e32 v37, v37
	v_fma_mix_f32 v39, v221, v203, 0 op_sel:[1,0,0] op_sel_hi:[1,0,0]
	v_cvt_f32_ubyte1_e32 v205, v40
	s_waitcnt lgkmcnt(0)
	v_dot4_i32_i8 v33, v31, v81, v33
	v_dot4_i32_i8 v36, v32, v82, v33
	ds_read2_b32 v[33:34], v35 offset0:12 offset1:13
	v_fma_mix_f32 v37, v221, v37, 0 op_sel_hi:[1,0,0]
	s_waitcnt lgkmcnt(0)
	v_dot4_i32_i8 v36, v33, v217, v36
	v_dot4_i32_i8 v41, v34, v218, v36
	ds_read2_b32 v[35:36], v35 offset0:14 offset1:15
	s_waitcnt lgkmcnt(0)
	v_dot4_i32_i8 v41, v35, v219, v41
	v_dot4_i32_i8 v41, v36, v220, v41
	v_mul_lo_u32 v38, v41, v204
	v_cvt_f32_i32_e32 v38, v38
	v_fma_mix_f32 v37, v222, v38, v37 op_sel_hi:[1,0,0]
	v_fma_mix_f32 v38, v222, v205, v39 op_sel:[1,0,0] op_sel_hi:[1,0,0]
	v_mul_f32_e32 v38, v38, v196
	v_fma_f32 v37, v37, v195, -v38
	v_add_f32_e32 v104, v104, v37
	ds_read2_b32 v[37:38], v51 offset1:1
	s_waitcnt lgkmcnt(0)
	v_dot4_i32_i8 v39, v37, v71, 0
	v_dot4_i32_i8 v41, v38, v72, v39
	ds_read2_b32 v[39:40], v51 offset0:2 offset1:3
	s_waitcnt lgkmcnt(0)
	v_dot4_i32_i8 v41, v39, v73, v41
	v_dot4_i32_i8 v43, v40, v74, v41
	ds_read2_b32 v[41:42], v51 offset0:4 offset1:5
	;; [unrolled: 4-line block ×3, first 2 shown]
	ds_read_u16 v53, v45
	ds_read_u16 v54, v45 offset:8
	s_waitcnt lgkmcnt(2)
	v_dot4_i32_i8 v46, v43, v77, v46
	v_dot4_i32_i8 v46, v44, v78, v46
	s_waitcnt lgkmcnt(1)
	v_and_b32_e32 v207, 0xff, v53
	v_mul_lo_u32 v45, v46, v207
	v_lshrrev_b16_e32 v209, 8, v53
	s_waitcnt lgkmcnt(0)
	v_cvt_f32_ubyte0_e32 v208, v54
	v_cvt_f32_ubyte1_e32 v210, v54
	v_cvt_f32_i32_e32 v55, v45
	ds_read2_b32 v[45:46], v51 offset0:8 offset1:9
	v_fma_mix_f32 v54, v221, v208, 0 op_sel:[1,0,0] op_sel_hi:[1,0,0]
	v_fma_mix_f32 v54, v222, v210, v54 op_sel:[1,0,0] op_sel_hi:[1,0,0]
	v_fma_mix_f32 v55, v221, v55, 0 op_sel_hi:[1,0,0]
	v_mul_f32_e32 v54, v54, v197
	s_waitcnt lgkmcnt(0)
	v_dot4_i32_i8 v47, v45, v79, 0
	v_dot4_i32_i8 v49, v46, v80, v47
	ds_read2_b32 v[47:48], v51 offset0:10 offset1:11
	s_waitcnt lgkmcnt(0)
	v_dot4_i32_i8 v49, v47, v81, v49
	v_dot4_i32_i8 v52, v48, v82, v49
	ds_read2_b32 v[49:50], v51 offset0:12 offset1:13
	;; [unrolled: 4-line block ×3, first 2 shown]
	s_waitcnt lgkmcnt(0)
	v_dot4_i32_i8 v56, v51, v219, v56
	v_dot4_i32_i8 v56, v52, v220, v56
	v_mul_lo_u32 v53, v56, v209
	v_cvt_f32_i32_e32 v53, v53
	v_fma_mix_f32 v53, v222, v53, v55 op_sel_hi:[1,0,0]
	v_fma_f32 v53, v53, v198, -v54
	v_add_f32_e32 v146, v146, v53
	ds_read2_b32 v[53:54], v67 offset1:1
	s_waitcnt lgkmcnt(0)
	v_dot4_i32_i8 v55, v53, v71, 0
	v_dot4_i32_i8 v57, v54, v72, v55
	ds_read2_b32 v[55:56], v67 offset0:2 offset1:3
	s_waitcnt lgkmcnt(0)
	v_dot4_i32_i8 v57, v55, v73, v57
	v_dot4_i32_i8 v59, v56, v74, v57
	ds_read2_b32 v[57:58], v67 offset0:4 offset1:5
	;; [unrolled: 4-line block ×3, first 2 shown]
	ds_read_u16 v69, v61
	ds_read_u16 v70, v61 offset:8
	s_waitcnt lgkmcnt(2)
	v_dot4_i32_i8 v62, v59, v77, v62
	v_dot4_i32_i8 v62, v60, v78, v62
	s_waitcnt lgkmcnt(1)
	v_and_b32_e32 v211, 0xff, v69
	v_mul_lo_u32 v61, v62, v211
	v_lshrrev_b16_e32 v213, 8, v69
	s_waitcnt lgkmcnt(0)
	v_cvt_f32_ubyte0_e32 v212, v70
	v_cvt_f32_ubyte1_e32 v214, v70
	v_cvt_f32_i32_e32 v83, v61
	ds_read2_b32 v[61:62], v67 offset0:8 offset1:9
	v_fma_mix_f32 v70, v221, v212, 0 op_sel:[1,0,0] op_sel_hi:[1,0,0]
	v_fma_mix_f32 v70, v222, v214, v70 op_sel:[1,0,0] op_sel_hi:[1,0,0]
	v_fma_mix_f32 v83, v221, v83, 0 op_sel_hi:[1,0,0]
	v_mul_f32_e32 v70, v70, v199
	s_waitcnt lgkmcnt(0)
	v_dot4_i32_i8 v63, v61, v79, 0
	v_dot4_i32_i8 v65, v62, v80, v63
	ds_read2_b32 v[63:64], v67 offset0:10 offset1:11
	s_waitcnt lgkmcnt(0)
	v_dot4_i32_i8 v65, v63, v81, v65
	v_dot4_i32_i8 v68, v64, v82, v65
	ds_read2_b32 v[65:66], v67 offset0:12 offset1:13
	;; [unrolled: 4-line block ×3, first 2 shown]
	s_waitcnt lgkmcnt(0)
	v_dot4_i32_i8 v84, v67, v219, v84
	v_dot4_i32_i8 v84, v68, v220, v84
	v_mul_lo_u32 v69, v84, v213
	v_add_u32_e32 v84, s18, v174
	v_cvt_f32_i32_e32 v69, v69
	v_fma_mix_f32 v69, v222, v69, v83 op_sel_hi:[1,0,0]
	v_fma_f32 v69, v69, v200, -v70
	v_add_f32_e32 v145, v145, v69
	ds_read2_b32 v[69:70], v84 offset1:1
	v_add3_u32 v83, s17, v194, v189
	s_waitcnt lgkmcnt(0)
	v_dot4_i32_i8 v71, v69, v71, 0
	v_dot4_i32_i8 v215, v70, v72, v71
	ds_read2_b32 v[71:72], v84 offset0:2 offset1:3
	s_waitcnt lgkmcnt(0)
	v_dot4_i32_i8 v73, v71, v73, v215
	v_dot4_i32_i8 v215, v72, v74, v73
	ds_read2_b32 v[73:74], v84 offset0:4 offset1:5
	;; [unrolled: 4-line block ×3, first 2 shown]
	ds_read_u16 v223, v83
	ds_read_u16 v224, v83 offset:8
	s_waitcnt lgkmcnt(2)
	v_dot4_i32_i8 v77, v75, v77, v215
	v_dot4_i32_i8 v77, v76, v78, v77
	s_waitcnt lgkmcnt(1)
	v_and_b32_e32 v215, 0xff, v223
	v_mul_lo_u32 v77, v77, v215
	s_waitcnt lgkmcnt(0)
	v_cvt_f32_ubyte0_e32 v216, v224
	v_cvt_f32_i32_e32 v225, v77
	ds_read2_b32 v[77:78], v84 offset0:8 offset1:9
	s_waitcnt lgkmcnt(0)
	v_dot4_i32_i8 v79, v77, v79, 0
	v_dot4_i32_i8 v83, v78, v80, v79
	ds_read2_b32 v[79:80], v84 offset0:10 offset1:11
	s_waitcnt lgkmcnt(0)
	v_dot4_i32_i8 v81, v79, v81, v83
	v_dot4_i32_i8 v83, v80, v82, v81
	;; [unrolled: 4-line block ×4, first 2 shown]
	v_lshrrev_b16_e32 v217, 8, v223
	v_mul_lo_u32 v218, v218, v217
	v_fma_mix_f32 v220, v221, v216, 0 op_sel:[1,0,0] op_sel_hi:[1,0,0]
	v_fma_mix_f32 v221, v221, v225, 0 op_sel_hi:[1,0,0]
	v_cvt_f32_i32_e32 v219, v218
	v_cvt_f32_ubyte1_e32 v218, v224
	v_fma_mix_f32 v220, v222, v218, v220 op_sel:[1,0,0] op_sel_hi:[1,0,0]
	v_mul_f32_e32 v220, v220, v201
	v_fma_mix_f32 v219, v222, v219, v221 op_sel_hi:[1,0,0]
	v_fma_f32 v219, v219, v202, -v220
	v_add_f32_e32 v140, v140, v219
	v_or_b32_e32 v219, s1, v164
	v_lshlrev_b32_e32 v231, 2, v219
	v_lshrrev_b32_e32 v235, 1, v219
	ds_read_b128 v[219:222], v231 offset:33280
	ds_read_b128 v[223:226], v231 offset:33296
	ds_read_b128 v[227:230], v231 offset:33312
	ds_read_b128 v[231:234], v231 offset:33328
	ds_read_b64 v[235:236], v235 offset:43584
	s_waitcnt lgkmcnt(4)
	v_dot4_i32_i8 v237, v21, v219, 0
	v_dot4_i32_i8 v237, v22, v220, v237
	s_waitcnt lgkmcnt(2)
	v_dot4_i32_i8 v239, v29, v227, 0
	v_dot4_i32_i8 v237, v23, v221, v237
	;; [unrolled: 1-line block ×8, first 2 shown]
	s_waitcnt lgkmcnt(1)
	v_dot4_i32_i8 v239, v33, v231, v239
	v_dot4_i32_i8 v237, v27, v225, v237
	;; [unrolled: 1-line block ×5, first 2 shown]
	v_mul_lo_u32 v237, v237, v206
	v_dot4_i32_i8 v239, v36, v234, v239
	v_mul_lo_u32 v239, v239, v204
	s_waitcnt lgkmcnt(0)
	v_fma_mix_f32 v238, v203, v235, 0 op_sel:[0,1,0] op_sel_hi:[0,1,0]
	v_cvt_f32_i32_e32 v237, v237
	v_fma_mix_f32 v238, v205, v236, v238 op_sel:[0,1,0] op_sel_hi:[0,1,0]
	v_cvt_f32_i32_e32 v239, v239
	v_mul_f32_e32 v238, v238, v196
	v_fma_mix_f32 v237, v237, v235, 0 op_sel_hi:[0,1,0]
	v_fma_mix_f32 v237, v239, v236, v237 op_sel_hi:[0,1,0]
	v_fma_f32 v237, v237, v195, -v238
	v_add_f32_e32 v135, v135, v237
	v_dot4_i32_i8 v237, v37, v219, 0
	v_dot4_i32_i8 v237, v38, v220, v237
	;; [unrolled: 1-line block ×15, first 2 shown]
	v_mul_lo_u32 v237, v237, v207
	v_dot4_i32_i8 v239, v52, v234, v239
	v_mul_lo_u32 v239, v239, v209
	v_fma_mix_f32 v238, v208, v235, 0 op_sel:[0,1,0] op_sel_hi:[0,1,0]
	v_cvt_f32_i32_e32 v237, v237
	v_fma_mix_f32 v238, v210, v236, v238 op_sel:[0,1,0] op_sel_hi:[0,1,0]
	v_cvt_f32_i32_e32 v239, v239
	v_mul_f32_e32 v238, v238, v197
	v_fma_mix_f32 v237, v237, v235, 0 op_sel_hi:[0,1,0]
	v_fma_mix_f32 v237, v239, v236, v237 op_sel_hi:[0,1,0]
	v_fma_f32 v237, v237, v198, -v238
	v_add_f32_e32 v130, v130, v237
	v_dot4_i32_i8 v237, v53, v219, 0
	v_dot4_i32_i8 v219, v69, v219, 0
	;; [unrolled: 1-line block ×24, first 2 shown]
	v_mul_lo_u32 v219, v219, v215
	v_dot4_i32_i8 v221, v84, v234, v221
	v_dot4_i32_i8 v237, v58, v224, v237
	;; [unrolled: 1-line block ×3, first 2 shown]
	v_mul_lo_u32 v221, v221, v217
	v_dot4_i32_i8 v237, v59, v225, v237
	v_dot4_i32_i8 v239, v66, v232, v239
	;; [unrolled: 1-line block ×4, first 2 shown]
	v_mul_lo_u32 v237, v237, v211
	v_dot4_i32_i8 v239, v68, v234, v239
	v_cvt_f32_i32_e32 v219, v219
	v_mul_lo_u32 v239, v239, v213
	v_cvt_f32_i32_e32 v221, v221
	v_fma_mix_f32 v220, v216, v235, 0 op_sel:[0,1,0] op_sel_hi:[0,1,0]
	v_cvt_f32_i32_e32 v237, v237
	v_fma_mix_f32 v219, v219, v235, 0 op_sel_hi:[0,1,0]
	v_fma_mix_f32 v220, v218, v236, v220 op_sel:[0,1,0] op_sel_hi:[0,1,0]
	v_cvt_f32_i32_e32 v239, v239
	v_fma_mix_f32 v219, v221, v236, v219 op_sel_hi:[0,1,0]
	v_mul_f32_e32 v220, v220, v201
	v_fma_f32 v219, v219, v202, -v220
	v_fma_mix_f32 v238, v212, v235, 0 op_sel:[0,1,0] op_sel_hi:[0,1,0]
	v_add_f32_e32 v120, v120, v219
	v_or_b32_e32 v219, s1, v165
	v_fma_mix_f32 v237, v237, v235, 0 op_sel_hi:[0,1,0]
	v_fma_mix_f32 v238, v214, v236, v238 op_sel:[0,1,0] op_sel_hi:[0,1,0]
	v_lshlrev_b32_e32 v231, 2, v219
	v_lshrrev_b32_e32 v235, 1, v219
	v_fma_mix_f32 v237, v239, v236, v237 op_sel_hi:[0,1,0]
	v_mul_f32_e32 v238, v238, v199
	ds_read_b128 v[219:222], v231 offset:33280
	ds_read_b128 v[223:226], v231 offset:33296
	;; [unrolled: 1-line block ×4, first 2 shown]
	ds_read_b64 v[235:236], v235 offset:43584
	v_fma_f32 v237, v237, v200, -v238
	v_add_f32_e32 v125, v125, v237
	s_waitcnt lgkmcnt(4)
	v_dot4_i32_i8 v237, v21, v219, 0
	v_dot4_i32_i8 v237, v22, v220, v237
	s_waitcnt lgkmcnt(2)
	v_dot4_i32_i8 v239, v29, v227, 0
	v_dot4_i32_i8 v237, v23, v221, v237
	;; [unrolled: 1-line block ×8, first 2 shown]
	s_waitcnt lgkmcnt(1)
	v_dot4_i32_i8 v239, v33, v231, v239
	v_dot4_i32_i8 v237, v27, v225, v237
	;; [unrolled: 1-line block ×5, first 2 shown]
	v_mul_lo_u32 v237, v237, v206
	v_dot4_i32_i8 v239, v36, v234, v239
	v_mul_lo_u32 v239, v239, v204
	s_waitcnt lgkmcnt(0)
	v_fma_mix_f32 v238, v203, v235, 0 op_sel:[0,1,0] op_sel_hi:[0,1,0]
	v_cvt_f32_i32_e32 v237, v237
	v_fma_mix_f32 v238, v205, v236, v238 op_sel:[0,1,0] op_sel_hi:[0,1,0]
	v_cvt_f32_i32_e32 v239, v239
	v_mul_f32_e32 v238, v238, v196
	v_fma_mix_f32 v237, v237, v235, 0 op_sel_hi:[0,1,0]
	v_fma_mix_f32 v237, v239, v236, v237 op_sel_hi:[0,1,0]
	v_fma_f32 v237, v237, v195, -v238
	v_add_f32_e32 v112, v112, v237
	v_dot4_i32_i8 v237, v37, v219, 0
	v_dot4_i32_i8 v237, v38, v220, v237
	;; [unrolled: 1-line block ×15, first 2 shown]
	v_mul_lo_u32 v237, v237, v207
	v_dot4_i32_i8 v239, v52, v234, v239
	v_mul_lo_u32 v239, v239, v209
	v_fma_mix_f32 v238, v208, v235, 0 op_sel:[0,1,0] op_sel_hi:[0,1,0]
	v_cvt_f32_i32_e32 v237, v237
	v_fma_mix_f32 v238, v210, v236, v238 op_sel:[0,1,0] op_sel_hi:[0,1,0]
	v_cvt_f32_i32_e32 v239, v239
	v_mul_f32_e32 v238, v238, v197
	v_fma_mix_f32 v237, v237, v235, 0 op_sel_hi:[0,1,0]
	v_fma_mix_f32 v237, v239, v236, v237 op_sel_hi:[0,1,0]
	v_fma_f32 v237, v237, v198, -v238
	v_add_f32_e32 v109, v109, v237
	v_dot4_i32_i8 v237, v53, v219, 0
	v_dot4_i32_i8 v219, v69, v219, 0
	;; [unrolled: 1-line block ×24, first 2 shown]
	v_mul_lo_u32 v219, v219, v215
	v_dot4_i32_i8 v221, v84, v234, v221
	v_dot4_i32_i8 v237, v58, v224, v237
	v_dot4_i32_i8 v239, v65, v231, v239
	v_mul_lo_u32 v221, v221, v217
	v_dot4_i32_i8 v237, v59, v225, v237
	v_dot4_i32_i8 v239, v66, v232, v239
	;; [unrolled: 1-line block ×4, first 2 shown]
	v_mul_lo_u32 v237, v237, v211
	v_dot4_i32_i8 v239, v68, v234, v239
	v_cvt_f32_i32_e32 v219, v219
	v_mul_lo_u32 v239, v239, v213
	v_cvt_f32_i32_e32 v221, v221
	v_fma_mix_f32 v220, v216, v235, 0 op_sel:[0,1,0] op_sel_hi:[0,1,0]
	v_cvt_f32_i32_e32 v237, v237
	v_fma_mix_f32 v219, v219, v235, 0 op_sel_hi:[0,1,0]
	v_fma_mix_f32 v220, v218, v236, v220 op_sel:[0,1,0] op_sel_hi:[0,1,0]
	v_cvt_f32_i32_e32 v239, v239
	v_fma_mix_f32 v219, v221, v236, v219 op_sel_hi:[0,1,0]
	v_mul_f32_e32 v220, v220, v201
	v_fma_f32 v219, v219, v202, -v220
	v_fma_mix_f32 v238, v212, v235, 0 op_sel:[0,1,0] op_sel_hi:[0,1,0]
	v_add_f32_e32 v107, v107, v219
	v_or_b32_e32 v219, s1, v166
	v_fma_mix_f32 v237, v237, v235, 0 op_sel_hi:[0,1,0]
	v_fma_mix_f32 v238, v214, v236, v238 op_sel:[0,1,0] op_sel_hi:[0,1,0]
	v_lshlrev_b32_e32 v231, 2, v219
	v_lshrrev_b32_e32 v235, 1, v219
	v_fma_mix_f32 v237, v239, v236, v237 op_sel_hi:[0,1,0]
	v_mul_f32_e32 v238, v238, v199
	ds_read_b128 v[219:222], v231 offset:33280
	ds_read_b128 v[223:226], v231 offset:33296
	;; [unrolled: 1-line block ×4, first 2 shown]
	ds_read_b64 v[235:236], v235 offset:43584
	v_fma_f32 v237, v237, v200, -v238
	v_add_f32_e32 v108, v108, v237
	s_waitcnt lgkmcnt(4)
	v_dot4_i32_i8 v237, v21, v219, 0
	v_dot4_i32_i8 v237, v22, v220, v237
	s_waitcnt lgkmcnt(2)
	v_dot4_i32_i8 v239, v29, v227, 0
	v_dot4_i32_i8 v237, v23, v221, v237
	;; [unrolled: 1-line block ×8, first 2 shown]
	s_waitcnt lgkmcnt(1)
	v_dot4_i32_i8 v239, v33, v231, v239
	v_dot4_i32_i8 v237, v27, v225, v237
	;; [unrolled: 1-line block ×5, first 2 shown]
	v_mul_lo_u32 v237, v237, v206
	v_dot4_i32_i8 v239, v36, v234, v239
	v_mul_lo_u32 v239, v239, v204
	s_waitcnt lgkmcnt(0)
	v_fma_mix_f32 v238, v203, v235, 0 op_sel:[0,1,0] op_sel_hi:[0,1,0]
	v_cvt_f32_i32_e32 v237, v237
	v_fma_mix_f32 v238, v205, v236, v238 op_sel:[0,1,0] op_sel_hi:[0,1,0]
	v_cvt_f32_i32_e32 v239, v239
	v_mul_f32_e32 v238, v238, v196
	v_fma_mix_f32 v237, v237, v235, 0 op_sel_hi:[0,1,0]
	v_fma_mix_f32 v237, v239, v236, v237 op_sel_hi:[0,1,0]
	v_fma_f32 v237, v237, v195, -v238
	v_add_f32_e32 v106, v106, v237
	v_dot4_i32_i8 v237, v37, v219, 0
	v_dot4_i32_i8 v237, v38, v220, v237
	;; [unrolled: 1-line block ×15, first 2 shown]
	v_mul_lo_u32 v237, v237, v207
	v_dot4_i32_i8 v239, v52, v234, v239
	v_mul_lo_u32 v239, v239, v209
	v_fma_mix_f32 v238, v208, v235, 0 op_sel:[0,1,0] op_sel_hi:[0,1,0]
	v_cvt_f32_i32_e32 v237, v237
	v_fma_mix_f32 v238, v210, v236, v238 op_sel:[0,1,0] op_sel_hi:[0,1,0]
	v_cvt_f32_i32_e32 v239, v239
	v_mul_f32_e32 v238, v238, v197
	v_fma_mix_f32 v237, v237, v235, 0 op_sel_hi:[0,1,0]
	v_fma_mix_f32 v237, v239, v236, v237 op_sel_hi:[0,1,0]
	v_fma_f32 v237, v237, v198, -v238
	v_add_f32_e32 v105, v105, v237
	v_dot4_i32_i8 v237, v53, v219, 0
	v_dot4_i32_i8 v219, v69, v219, 0
	;; [unrolled: 1-line block ×24, first 2 shown]
	v_mul_lo_u32 v219, v219, v215
	v_dot4_i32_i8 v221, v84, v234, v221
	v_dot4_i32_i8 v237, v58, v224, v237
	;; [unrolled: 1-line block ×3, first 2 shown]
	v_mul_lo_u32 v221, v221, v217
	v_dot4_i32_i8 v237, v59, v225, v237
	v_dot4_i32_i8 v239, v66, v232, v239
	;; [unrolled: 1-line block ×4, first 2 shown]
	v_mul_lo_u32 v237, v237, v211
	v_dot4_i32_i8 v239, v68, v234, v239
	v_cvt_f32_i32_e32 v219, v219
	v_mul_lo_u32 v239, v239, v213
	v_cvt_f32_i32_e32 v221, v221
	v_fma_mix_f32 v220, v216, v235, 0 op_sel:[0,1,0] op_sel_hi:[0,1,0]
	v_cvt_f32_i32_e32 v237, v237
	v_fma_mix_f32 v219, v219, v235, 0 op_sel_hi:[0,1,0]
	v_fma_mix_f32 v220, v218, v236, v220 op_sel:[0,1,0] op_sel_hi:[0,1,0]
	v_cvt_f32_i32_e32 v239, v239
	v_fma_mix_f32 v219, v221, v236, v219 op_sel_hi:[0,1,0]
	v_mul_f32_e32 v220, v220, v201
	v_fma_f32 v219, v219, v202, -v220
	v_fma_mix_f32 v238, v212, v235, 0 op_sel:[0,1,0] op_sel_hi:[0,1,0]
	v_add_f32_e32 v101, v101, v219
	v_or_b32_e32 v219, s1, v167
	v_fma_mix_f32 v237, v237, v235, 0 op_sel_hi:[0,1,0]
	v_fma_mix_f32 v238, v214, v236, v238 op_sel:[0,1,0] op_sel_hi:[0,1,0]
	v_lshlrev_b32_e32 v231, 2, v219
	v_lshrrev_b32_e32 v235, 1, v219
	v_fma_mix_f32 v237, v239, v236, v237 op_sel_hi:[0,1,0]
	v_mul_f32_e32 v238, v238, v199
	ds_read_b128 v[219:222], v231 offset:33280
	ds_read_b128 v[223:226], v231 offset:33296
	;; [unrolled: 1-line block ×4, first 2 shown]
	ds_read_b64 v[235:236], v235 offset:43584
	v_fma_f32 v237, v237, v200, -v238
	v_add_f32_e32 v102, v102, v237
	s_waitcnt lgkmcnt(4)
	v_dot4_i32_i8 v237, v21, v219, 0
	v_dot4_i32_i8 v237, v22, v220, v237
	s_waitcnt lgkmcnt(2)
	v_dot4_i32_i8 v239, v29, v227, 0
	v_dot4_i32_i8 v237, v23, v221, v237
	;; [unrolled: 1-line block ×8, first 2 shown]
	s_waitcnt lgkmcnt(1)
	v_dot4_i32_i8 v239, v33, v231, v239
	v_dot4_i32_i8 v237, v27, v225, v237
	;; [unrolled: 1-line block ×5, first 2 shown]
	v_mul_lo_u32 v237, v237, v206
	v_dot4_i32_i8 v239, v36, v234, v239
	v_mul_lo_u32 v239, v239, v204
	s_waitcnt lgkmcnt(0)
	v_fma_mix_f32 v238, v203, v235, 0 op_sel:[0,1,0] op_sel_hi:[0,1,0]
	v_cvt_f32_i32_e32 v237, v237
	v_fma_mix_f32 v238, v205, v236, v238 op_sel:[0,1,0] op_sel_hi:[0,1,0]
	v_cvt_f32_i32_e32 v239, v239
	v_mul_f32_e32 v238, v238, v196
	v_fma_mix_f32 v237, v237, v235, 0 op_sel_hi:[0,1,0]
	v_fma_mix_f32 v237, v239, v236, v237 op_sel_hi:[0,1,0]
	v_fma_f32 v237, v237, v195, -v238
	v_add_f32_e32 v100, v100, v237
	v_dot4_i32_i8 v237, v37, v219, 0
	v_dot4_i32_i8 v237, v38, v220, v237
	;; [unrolled: 1-line block ×15, first 2 shown]
	v_mul_lo_u32 v237, v237, v207
	v_dot4_i32_i8 v239, v52, v234, v239
	v_mul_lo_u32 v239, v239, v209
	v_fma_mix_f32 v238, v208, v235, 0 op_sel:[0,1,0] op_sel_hi:[0,1,0]
	v_cvt_f32_i32_e32 v237, v237
	v_fma_mix_f32 v238, v210, v236, v238 op_sel:[0,1,0] op_sel_hi:[0,1,0]
	v_cvt_f32_i32_e32 v239, v239
	v_mul_f32_e32 v238, v238, v197
	v_fma_mix_f32 v237, v237, v235, 0 op_sel_hi:[0,1,0]
	v_fma_mix_f32 v237, v239, v236, v237 op_sel_hi:[0,1,0]
	v_fma_f32 v237, v237, v198, -v238
	v_add_f32_e32 v99, v99, v237
	v_dot4_i32_i8 v237, v53, v219, 0
	v_dot4_i32_i8 v219, v69, v219, 0
	;; [unrolled: 1-line block ×24, first 2 shown]
	v_mul_lo_u32 v219, v219, v215
	v_dot4_i32_i8 v221, v84, v234, v221
	v_dot4_i32_i8 v237, v58, v224, v237
	;; [unrolled: 1-line block ×3, first 2 shown]
	v_mul_lo_u32 v221, v221, v217
	v_dot4_i32_i8 v237, v59, v225, v237
	v_dot4_i32_i8 v239, v66, v232, v239
	v_dot4_i32_i8 v237, v60, v226, v237
	v_dot4_i32_i8 v239, v67, v233, v239
	v_mul_lo_u32 v237, v237, v211
	v_dot4_i32_i8 v239, v68, v234, v239
	v_cvt_f32_i32_e32 v219, v219
	v_mul_lo_u32 v239, v239, v213
	v_cvt_f32_i32_e32 v221, v221
	v_fma_mix_f32 v220, v216, v235, 0 op_sel:[0,1,0] op_sel_hi:[0,1,0]
	v_cvt_f32_i32_e32 v237, v237
	v_fma_mix_f32 v219, v219, v235, 0 op_sel_hi:[0,1,0]
	v_fma_mix_f32 v220, v218, v236, v220 op_sel:[0,1,0] op_sel_hi:[0,1,0]
	v_cvt_f32_i32_e32 v239, v239
	v_fma_mix_f32 v219, v221, v236, v219 op_sel_hi:[0,1,0]
	v_mul_f32_e32 v220, v220, v201
	v_fma_f32 v219, v219, v202, -v220
	v_fma_mix_f32 v238, v212, v235, 0 op_sel:[0,1,0] op_sel_hi:[0,1,0]
	v_add_f32_e32 v97, v97, v219
	v_or_b32_e32 v219, s1, v168
	v_fma_mix_f32 v237, v237, v235, 0 op_sel_hi:[0,1,0]
	v_fma_mix_f32 v238, v214, v236, v238 op_sel:[0,1,0] op_sel_hi:[0,1,0]
	v_lshlrev_b32_e32 v231, 2, v219
	v_lshrrev_b32_e32 v235, 1, v219
	v_fma_mix_f32 v237, v239, v236, v237 op_sel_hi:[0,1,0]
	v_mul_f32_e32 v238, v238, v199
	ds_read_b128 v[219:222], v231 offset:33280
	ds_read_b128 v[223:226], v231 offset:33296
	;; [unrolled: 1-line block ×4, first 2 shown]
	ds_read_b64 v[235:236], v235 offset:43584
	v_fma_f32 v237, v237, v200, -v238
	v_add_f32_e32 v98, v98, v237
	s_waitcnt lgkmcnt(4)
	v_dot4_i32_i8 v237, v21, v219, 0
	v_dot4_i32_i8 v237, v22, v220, v237
	s_waitcnt lgkmcnt(2)
	v_dot4_i32_i8 v239, v29, v227, 0
	v_dot4_i32_i8 v237, v23, v221, v237
	v_dot4_i32_i8 v239, v30, v228, v239
	v_dot4_i32_i8 v237, v24, v222, v237
	v_dot4_i32_i8 v239, v31, v229, v239
	v_dot4_i32_i8 v237, v25, v223, v237
	v_dot4_i32_i8 v239, v32, v230, v239
	v_dot4_i32_i8 v237, v26, v224, v237
	s_waitcnt lgkmcnt(1)
	v_dot4_i32_i8 v239, v33, v231, v239
	v_dot4_i32_i8 v237, v27, v225, v237
	;; [unrolled: 1-line block ×5, first 2 shown]
	v_mul_lo_u32 v237, v237, v206
	v_dot4_i32_i8 v239, v36, v234, v239
	v_mul_lo_u32 v239, v239, v204
	s_waitcnt lgkmcnt(0)
	v_fma_mix_f32 v238, v203, v235, 0 op_sel:[0,1,0] op_sel_hi:[0,1,0]
	v_cvt_f32_i32_e32 v237, v237
	v_fma_mix_f32 v238, v205, v236, v238 op_sel:[0,1,0] op_sel_hi:[0,1,0]
	v_cvt_f32_i32_e32 v239, v239
	v_mul_f32_e32 v238, v238, v196
	v_fma_mix_f32 v237, v237, v235, 0 op_sel_hi:[0,1,0]
	v_fma_mix_f32 v237, v239, v236, v237 op_sel_hi:[0,1,0]
	v_fma_f32 v237, v237, v195, -v238
	v_add_f32_e32 v96, v96, v237
	v_dot4_i32_i8 v237, v37, v219, 0
	v_dot4_i32_i8 v237, v38, v220, v237
	;; [unrolled: 1-line block ×15, first 2 shown]
	v_mul_lo_u32 v237, v237, v207
	v_dot4_i32_i8 v239, v52, v234, v239
	v_mul_lo_u32 v239, v239, v209
	v_fma_mix_f32 v238, v208, v235, 0 op_sel:[0,1,0] op_sel_hi:[0,1,0]
	v_cvt_f32_i32_e32 v237, v237
	v_fma_mix_f32 v238, v210, v236, v238 op_sel:[0,1,0] op_sel_hi:[0,1,0]
	v_cvt_f32_i32_e32 v239, v239
	v_mul_f32_e32 v238, v238, v197
	v_fma_mix_f32 v237, v237, v235, 0 op_sel_hi:[0,1,0]
	v_fma_mix_f32 v237, v239, v236, v237 op_sel_hi:[0,1,0]
	v_fma_f32 v237, v237, v198, -v238
	v_add_f32_e32 v95, v95, v237
	v_dot4_i32_i8 v237, v53, v219, 0
	v_dot4_i32_i8 v219, v69, v219, 0
	;; [unrolled: 1-line block ×24, first 2 shown]
	v_mul_lo_u32 v219, v219, v215
	v_dot4_i32_i8 v221, v84, v234, v221
	v_dot4_i32_i8 v237, v58, v224, v237
	;; [unrolled: 1-line block ×3, first 2 shown]
	v_mul_lo_u32 v221, v221, v217
	v_dot4_i32_i8 v237, v59, v225, v237
	v_dot4_i32_i8 v239, v66, v232, v239
	;; [unrolled: 1-line block ×4, first 2 shown]
	v_mul_lo_u32 v237, v237, v211
	v_dot4_i32_i8 v239, v68, v234, v239
	v_cvt_f32_i32_e32 v219, v219
	v_mul_lo_u32 v239, v239, v213
	v_cvt_f32_i32_e32 v221, v221
	v_fma_mix_f32 v220, v216, v235, 0 op_sel:[0,1,0] op_sel_hi:[0,1,0]
	v_cvt_f32_i32_e32 v237, v237
	v_fma_mix_f32 v219, v219, v235, 0 op_sel_hi:[0,1,0]
	v_fma_mix_f32 v220, v218, v236, v220 op_sel:[0,1,0] op_sel_hi:[0,1,0]
	v_cvt_f32_i32_e32 v239, v239
	v_fma_mix_f32 v219, v221, v236, v219 op_sel_hi:[0,1,0]
	v_mul_f32_e32 v220, v220, v201
	v_fma_f32 v219, v219, v202, -v220
	v_fma_mix_f32 v238, v212, v235, 0 op_sel:[0,1,0] op_sel_hi:[0,1,0]
	v_add_f32_e32 v93, v93, v219
	v_or_b32_e32 v219, s1, v169
	v_fma_mix_f32 v237, v237, v235, 0 op_sel_hi:[0,1,0]
	v_fma_mix_f32 v238, v214, v236, v238 op_sel:[0,1,0] op_sel_hi:[0,1,0]
	v_lshlrev_b32_e32 v231, 2, v219
	v_lshrrev_b32_e32 v235, 1, v219
	v_fma_mix_f32 v237, v239, v236, v237 op_sel_hi:[0,1,0]
	v_mul_f32_e32 v238, v238, v199
	ds_read_b128 v[219:222], v231 offset:33280
	ds_read_b128 v[223:226], v231 offset:33296
	;; [unrolled: 1-line block ×4, first 2 shown]
	ds_read_b64 v[235:236], v235 offset:43584
	v_fma_f32 v237, v237, v200, -v238
	v_add_f32_e32 v94, v94, v237
	s_waitcnt lgkmcnt(4)
	v_dot4_i32_i8 v237, v21, v219, 0
	v_dot4_i32_i8 v237, v22, v220, v237
	s_waitcnt lgkmcnt(2)
	v_dot4_i32_i8 v239, v29, v227, 0
	v_dot4_i32_i8 v237, v23, v221, v237
	;; [unrolled: 1-line block ×8, first 2 shown]
	s_waitcnt lgkmcnt(1)
	v_dot4_i32_i8 v239, v33, v231, v239
	v_dot4_i32_i8 v237, v27, v225, v237
	;; [unrolled: 1-line block ×5, first 2 shown]
	v_mul_lo_u32 v237, v237, v206
	v_dot4_i32_i8 v239, v36, v234, v239
	v_mul_lo_u32 v239, v239, v204
	s_waitcnt lgkmcnt(0)
	v_fma_mix_f32 v238, v203, v235, 0 op_sel:[0,1,0] op_sel_hi:[0,1,0]
	v_cvt_f32_i32_e32 v237, v237
	v_fma_mix_f32 v238, v205, v236, v238 op_sel:[0,1,0] op_sel_hi:[0,1,0]
	v_cvt_f32_i32_e32 v239, v239
	v_mul_f32_e32 v238, v238, v196
	v_fma_mix_f32 v237, v237, v235, 0 op_sel_hi:[0,1,0]
	v_fma_mix_f32 v237, v239, v236, v237 op_sel_hi:[0,1,0]
	v_fma_f32 v237, v237, v195, -v238
	v_add_f32_e32 v92, v92, v237
	v_dot4_i32_i8 v237, v37, v219, 0
	v_dot4_i32_i8 v237, v38, v220, v237
	;; [unrolled: 1-line block ×15, first 2 shown]
	v_mul_lo_u32 v237, v237, v207
	v_dot4_i32_i8 v239, v52, v234, v239
	v_mul_lo_u32 v239, v239, v209
	v_fma_mix_f32 v238, v208, v235, 0 op_sel:[0,1,0] op_sel_hi:[0,1,0]
	v_cvt_f32_i32_e32 v237, v237
	v_fma_mix_f32 v238, v210, v236, v238 op_sel:[0,1,0] op_sel_hi:[0,1,0]
	v_cvt_f32_i32_e32 v239, v239
	v_mul_f32_e32 v238, v238, v197
	v_fma_mix_f32 v237, v237, v235, 0 op_sel_hi:[0,1,0]
	v_fma_mix_f32 v237, v239, v236, v237 op_sel_hi:[0,1,0]
	v_fma_f32 v237, v237, v198, -v238
	v_add_f32_e32 v91, v91, v237
	v_dot4_i32_i8 v237, v53, v219, 0
	v_dot4_i32_i8 v219, v69, v219, 0
	;; [unrolled: 1-line block ×24, first 2 shown]
	v_mul_lo_u32 v219, v219, v215
	v_dot4_i32_i8 v221, v84, v234, v221
	v_dot4_i32_i8 v237, v58, v224, v237
	;; [unrolled: 1-line block ×3, first 2 shown]
	v_mul_lo_u32 v221, v221, v217
	v_dot4_i32_i8 v237, v59, v225, v237
	v_dot4_i32_i8 v239, v66, v232, v239
	;; [unrolled: 1-line block ×4, first 2 shown]
	v_mul_lo_u32 v237, v237, v211
	v_dot4_i32_i8 v239, v68, v234, v239
	v_cvt_f32_i32_e32 v219, v219
	v_mul_lo_u32 v239, v239, v213
	v_cvt_f32_i32_e32 v221, v221
	v_fma_mix_f32 v220, v216, v235, 0 op_sel:[0,1,0] op_sel_hi:[0,1,0]
	v_cvt_f32_i32_e32 v237, v237
	v_fma_mix_f32 v219, v219, v235, 0 op_sel_hi:[0,1,0]
	v_fma_mix_f32 v220, v218, v236, v220 op_sel:[0,1,0] op_sel_hi:[0,1,0]
	v_cvt_f32_i32_e32 v239, v239
	v_fma_mix_f32 v219, v221, v236, v219 op_sel_hi:[0,1,0]
	v_mul_f32_e32 v220, v220, v201
	v_fma_f32 v219, v219, v202, -v220
	v_add_f32_e32 v89, v89, v219
	v_or_b32_e32 v219, s1, v170
	v_fma_mix_f32 v237, v237, v235, 0 op_sel_hi:[0,1,0]
	v_fma_mix_f32 v238, v212, v235, 0 op_sel:[0,1,0] op_sel_hi:[0,1,0]
	v_lshlrev_b32_e32 v231, 2, v219
	v_lshrrev_b32_e32 v235, 1, v219
	v_fma_mix_f32 v237, v239, v236, v237 op_sel_hi:[0,1,0]
	v_fma_mix_f32 v238, v214, v236, v238 op_sel:[0,1,0] op_sel_hi:[0,1,0]
	ds_read_b128 v[219:222], v231 offset:33280
	ds_read_b128 v[223:226], v231 offset:33296
	;; [unrolled: 1-line block ×4, first 2 shown]
	ds_read_b64 v[235:236], v235 offset:43584
	s_waitcnt lgkmcnt(4)
	v_dot4_i32_i8 v21, v21, v219, 0
	v_dot4_i32_i8 v21, v22, v220, v21
	;; [unrolled: 1-line block ×3, first 2 shown]
	s_waitcnt lgkmcnt(2)
	v_dot4_i32_i8 v23, v29, v227, 0
	v_dot4_i32_i8 v23, v30, v228, v23
	;; [unrolled: 1-line block ×7, first 2 shown]
	s_waitcnt lgkmcnt(1)
	v_dot4_i32_i8 v23, v33, v231, v23
	v_dot4_i32_i8 v21, v27, v225, v21
	;; [unrolled: 1-line block ×5, first 2 shown]
	v_mul_lo_u32 v21, v21, v206
	v_dot4_i32_i8 v23, v36, v234, v23
	v_mul_lo_u32 v23, v23, v204
	s_waitcnt lgkmcnt(0)
	v_fma_mix_f32 v22, v203, v235, 0 op_sel:[0,1,0] op_sel_hi:[0,1,0]
	v_cvt_f32_i32_e32 v21, v21
	v_fma_mix_f32 v22, v205, v236, v22 op_sel:[0,1,0] op_sel_hi:[0,1,0]
	v_cvt_f32_i32_e32 v23, v23
	v_mul_f32_e32 v22, v22, v196
	v_fma_mix_f32 v21, v21, v235, 0 op_sel_hi:[0,1,0]
	v_mul_f32_e32 v238, v238, v199
	v_fma_mix_f32 v21, v23, v236, v21 op_sel_hi:[0,1,0]
	v_fma_f32 v21, v21, v195, -v22
	v_add_f32_e32 v88, v88, v21
	v_dot4_i32_i8 v21, v37, v219, 0
	v_dot4_i32_i8 v21, v38, v220, v21
	;; [unrolled: 1-line block ×15, first 2 shown]
	v_mul_lo_u32 v21, v21, v207
	v_dot4_i32_i8 v23, v52, v234, v23
	v_mul_lo_u32 v23, v23, v209
	v_fma_mix_f32 v22, v208, v235, 0 op_sel:[0,1,0] op_sel_hi:[0,1,0]
	v_cvt_f32_i32_e32 v21, v21
	v_fma_mix_f32 v22, v210, v236, v22 op_sel:[0,1,0] op_sel_hi:[0,1,0]
	v_cvt_f32_i32_e32 v23, v23
	v_mul_f32_e32 v22, v22, v197
	v_fma_mix_f32 v21, v21, v235, 0 op_sel_hi:[0,1,0]
	v_fma_f32 v237, v237, v200, -v238
	v_fma_mix_f32 v21, v23, v236, v21 op_sel_hi:[0,1,0]
	v_fma_f32 v21, v21, v198, -v22
	v_add_f32_e32 v87, v87, v21
	v_dot4_i32_i8 v21, v53, v219, 0
	v_dot4_i32_i8 v21, v54, v220, v21
	;; [unrolled: 1-line block ×15, first 2 shown]
	v_mul_lo_u32 v21, v21, v211
	v_dot4_i32_i8 v23, v68, v234, v23
	v_mul_lo_u32 v23, v23, v213
	v_fma_mix_f32 v22, v212, v235, 0 op_sel:[0,1,0] op_sel_hi:[0,1,0]
	v_cvt_f32_i32_e32 v21, v21
	v_fma_mix_f32 v22, v214, v236, v22 op_sel:[0,1,0] op_sel_hi:[0,1,0]
	v_cvt_f32_i32_e32 v23, v23
	v_mul_f32_e32 v22, v22, v199
	v_fma_mix_f32 v21, v21, v235, 0 op_sel_hi:[0,1,0]
	s_add_i32 s1, s0, 8
	v_fma_mix_f32 v21, v23, v236, v21 op_sel_hi:[0,1,0]
	v_fma_f32 v21, v21, v200, -v22
	v_add_f32_e32 v86, v86, v21
	v_dot4_i32_i8 v21, v69, v219, 0
	v_dot4_i32_i8 v21, v70, v220, v21
	;; [unrolled: 1-line block ×15, first 2 shown]
	v_mul_lo_u32 v21, v21, v215
	v_dot4_i32_i8 v23, v84, v234, v23
	v_mul_lo_u32 v23, v23, v217
	v_fma_mix_f32 v22, v216, v235, 0 op_sel:[0,1,0] op_sel_hi:[0,1,0]
	v_cvt_f32_i32_e32 v21, v21
	v_fma_mix_f32 v22, v218, v236, v22 op_sel:[0,1,0] op_sel_hi:[0,1,0]
	v_cvt_f32_i32_e32 v23, v23
	v_mul_f32_e32 v22, v22, v201
	v_fma_mix_f32 v21, v21, v235, 0 op_sel_hi:[0,1,0]
	v_add_f32_e32 v90, v90, v237
	v_fma_mix_f32 v21, v23, v236, v21 op_sel_hi:[0,1,0]
	v_fma_f32 v21, v21, v202, -v22
	v_add_f32_e32 v85, v85, v21
	s_cmp_lt_u32 s0, 24
	s_mov_b32 s0, s1
	s_cbranch_scc1 .LBB134_8
; %bb.9:                                ;   in Loop: Header=BB134_5 Depth=1
	s_add_i32 s9, s9, 1
	s_cmp_eq_u32 s9, s4
	s_barrier
	s_cbranch_scc0 .LBB134_5
; %bb.10:
	v_mov_b32_e32 v2, v103
.LBB134_11:
	v_cmp_gt_u32_e32 vcc, s10, v2
	s_and_saveexec_b64 s[0:1], vcc
	s_cbranch_execz .LBB134_62
; %bb.12:
	v_mul_lo_u32 v5, v2, s14
	v_add_u32_e32 v0, s6, v0
	v_cmp_gt_u32_e32 vcc, s14, v0
	s_and_saveexec_b64 s[2:3], vcc
	s_cbranch_execz .LBB134_14
; %bb.13:
	v_add_u32_e32 v2, v0, v5
	v_mov_b32_e32 v3, 0
	v_lshlrev_b64 v[2:3], 2, v[2:3]
	s_waitcnt lgkmcnt(0)
	v_mov_b32_e32 v4, s13
	v_add_co_u32_e64 v2, s[0:1], s12, v2
	v_addc_co_u32_e64 v3, s[0:1], v4, v3, s[0:1]
	global_store_dword v[2:3], v104, off
.LBB134_14:
	s_or_b64 exec, exec, s[2:3]
	v_add_u32_e32 v2, 32, v0
	v_cmp_gt_u32_e64 s[0:1], s14, v2
	s_and_saveexec_b64 s[4:5], s[0:1]
	s_cbranch_execz .LBB134_16
; %bb.15:
	v_add_u32_e32 v3, v2, v5
	v_mov_b32_e32 v4, 0
	v_lshlrev_b64 v[3:4], 2, v[3:4]
	s_waitcnt lgkmcnt(0)
	v_mov_b32_e32 v6, s13
	v_add_co_u32_e64 v3, s[2:3], s12, v3
	v_addc_co_u32_e64 v4, s[2:3], v6, v4, s[2:3]
	global_store_dword v[3:4], v146, off
.LBB134_16:
	s_or_b64 exec, exec, s[4:5]
	v_add_u32_e32 v3, 64, v0
	v_cmp_gt_u32_e64 s[2:3], s14, v3
	s_and_saveexec_b64 s[6:7], s[2:3]
	;; [unrolled: 15-line block ×3, first 2 shown]
	s_cbranch_execz .LBB134_20
; %bb.19:
	v_add_u32_e32 v5, v4, v5
	v_mov_b32_e32 v6, 0
	v_lshlrev_b64 v[5:6], 2, v[5:6]
	s_waitcnt lgkmcnt(0)
	v_mov_b32_e32 v7, s13
	v_add_co_u32_e64 v5, s[6:7], s12, v5
	v_addc_co_u32_e64 v6, s[6:7], v7, v6, s[6:7]
	global_store_dword v[5:6], v140, off
.LBB134_20:
	s_or_b64 exec, exec, s[8:9]
	v_add3_u32 v5, v1, s15, 8
	v_cmp_gt_u32_e64 s[6:7], s10, v5
	s_and_b64 exec, exec, s[6:7]
	s_cbranch_execz .LBB134_62
; %bb.21:
	v_mul_lo_u32 v5, v5, s14
	s_and_saveexec_b64 s[8:9], vcc
	s_cbranch_execnz .LBB134_63
; %bb.22:
	s_or_b64 exec, exec, s[8:9]
	s_and_saveexec_b64 s[8:9], s[0:1]
	s_cbranch_execnz .LBB134_64
.LBB134_23:
	s_or_b64 exec, exec, s[8:9]
	s_and_saveexec_b64 s[8:9], s[2:3]
	s_cbranch_execnz .LBB134_65
.LBB134_24:
	s_or_b64 exec, exec, s[8:9]
	s_and_saveexec_b64 s[8:9], s[4:5]
	s_cbranch_execz .LBB134_26
.LBB134_25:
	v_add_u32_e32 v5, v5, v4
	v_mov_b32_e32 v6, 0
	v_lshlrev_b64 v[5:6], 2, v[5:6]
	s_waitcnt lgkmcnt(0)
	v_mov_b32_e32 v7, s13
	v_add_co_u32_e64 v5, s[6:7], s12, v5
	v_addc_co_u32_e64 v6, s[6:7], v7, v6, s[6:7]
	global_store_dword v[5:6], v120, off
.LBB134_26:
	s_or_b64 exec, exec, s[8:9]
	v_add3_u32 v5, v1, s15, 16
	v_cmp_gt_u32_e64 s[6:7], s10, v5
	s_and_b64 exec, exec, s[6:7]
	s_cbranch_execz .LBB134_62
; %bb.27:
	v_mul_lo_u32 v5, v5, s14
	s_and_saveexec_b64 s[8:9], vcc
	s_cbranch_execnz .LBB134_66
; %bb.28:
	s_or_b64 exec, exec, s[8:9]
	s_and_saveexec_b64 s[8:9], s[0:1]
	s_cbranch_execnz .LBB134_67
.LBB134_29:
	s_or_b64 exec, exec, s[8:9]
	s_and_saveexec_b64 s[8:9], s[2:3]
	s_cbranch_execnz .LBB134_68
.LBB134_30:
	s_or_b64 exec, exec, s[8:9]
	s_and_saveexec_b64 s[8:9], s[4:5]
	s_cbranch_execz .LBB134_32
.LBB134_31:
	v_add_u32_e32 v5, v5, v4
	v_mov_b32_e32 v6, 0
	v_lshlrev_b64 v[5:6], 2, v[5:6]
	s_waitcnt lgkmcnt(0)
	v_mov_b32_e32 v7, s13
	v_add_co_u32_e64 v5, s[6:7], s12, v5
	v_addc_co_u32_e64 v6, s[6:7], v7, v6, s[6:7]
	global_store_dword v[5:6], v107, off
.LBB134_32:
	s_or_b64 exec, exec, s[8:9]
	v_add3_u32 v5, v1, s15, 24
	v_cmp_gt_u32_e64 s[6:7], s10, v5
	s_and_b64 exec, exec, s[6:7]
	s_cbranch_execz .LBB134_62
; %bb.33:
	v_mul_lo_u32 v5, v5, s14
	s_and_saveexec_b64 s[8:9], vcc
	s_cbranch_execnz .LBB134_69
; %bb.34:
	s_or_b64 exec, exec, s[8:9]
	s_and_saveexec_b64 s[8:9], s[0:1]
	s_cbranch_execnz .LBB134_70
.LBB134_35:
	s_or_b64 exec, exec, s[8:9]
	s_and_saveexec_b64 s[8:9], s[2:3]
	s_cbranch_execnz .LBB134_71
.LBB134_36:
	s_or_b64 exec, exec, s[8:9]
	s_and_saveexec_b64 s[8:9], s[4:5]
	s_cbranch_execz .LBB134_38
.LBB134_37:
	v_add_u32_e32 v5, v5, v4
	v_mov_b32_e32 v6, 0
	v_lshlrev_b64 v[5:6], 2, v[5:6]
	s_waitcnt lgkmcnt(0)
	v_mov_b32_e32 v7, s13
	v_add_co_u32_e64 v5, s[6:7], s12, v5
	v_addc_co_u32_e64 v6, s[6:7], v7, v6, s[6:7]
	global_store_dword v[5:6], v101, off
.LBB134_38:
	s_or_b64 exec, exec, s[8:9]
	v_add3_u32 v5, v1, s15, 32
	v_cmp_gt_u32_e64 s[6:7], s10, v5
	s_and_b64 exec, exec, s[6:7]
	s_cbranch_execz .LBB134_62
; %bb.39:
	v_mul_lo_u32 v5, v5, s14
	s_and_saveexec_b64 s[8:9], vcc
	s_cbranch_execnz .LBB134_72
; %bb.40:
	s_or_b64 exec, exec, s[8:9]
	s_and_saveexec_b64 s[8:9], s[0:1]
	s_cbranch_execnz .LBB134_73
.LBB134_41:
	s_or_b64 exec, exec, s[8:9]
	s_and_saveexec_b64 s[8:9], s[2:3]
	s_cbranch_execnz .LBB134_74
.LBB134_42:
	s_or_b64 exec, exec, s[8:9]
	s_and_saveexec_b64 s[8:9], s[4:5]
	s_cbranch_execz .LBB134_44
.LBB134_43:
	v_add_u32_e32 v5, v5, v4
	v_mov_b32_e32 v6, 0
	v_lshlrev_b64 v[5:6], 2, v[5:6]
	s_waitcnt lgkmcnt(0)
	v_mov_b32_e32 v7, s13
	v_add_co_u32_e64 v5, s[6:7], s12, v5
	v_addc_co_u32_e64 v6, s[6:7], v7, v6, s[6:7]
	global_store_dword v[5:6], v97, off
.LBB134_44:
	s_or_b64 exec, exec, s[8:9]
	v_add3_u32 v5, v1, s15, 40
	v_cmp_gt_u32_e64 s[6:7], s10, v5
	s_and_b64 exec, exec, s[6:7]
	s_cbranch_execz .LBB134_62
; %bb.45:
	v_mul_lo_u32 v5, v5, s14
	s_and_saveexec_b64 s[8:9], vcc
	s_cbranch_execnz .LBB134_75
; %bb.46:
	s_or_b64 exec, exec, s[8:9]
	s_and_saveexec_b64 s[8:9], s[0:1]
	s_cbranch_execnz .LBB134_76
.LBB134_47:
	s_or_b64 exec, exec, s[8:9]
	s_and_saveexec_b64 s[8:9], s[2:3]
	s_cbranch_execnz .LBB134_77
.LBB134_48:
	s_or_b64 exec, exec, s[8:9]
	s_and_saveexec_b64 s[8:9], s[4:5]
	s_cbranch_execz .LBB134_50
.LBB134_49:
	v_add_u32_e32 v5, v5, v4
	v_mov_b32_e32 v6, 0
	v_lshlrev_b64 v[5:6], 2, v[5:6]
	s_waitcnt lgkmcnt(0)
	v_mov_b32_e32 v7, s13
	v_add_co_u32_e64 v5, s[6:7], s12, v5
	v_addc_co_u32_e64 v6, s[6:7], v7, v6, s[6:7]
	global_store_dword v[5:6], v93, off
.LBB134_50:
	s_or_b64 exec, exec, s[8:9]
	v_add3_u32 v5, v1, s15, 48
	v_cmp_gt_u32_e64 s[6:7], s10, v5
	s_and_b64 exec, exec, s[6:7]
	s_cbranch_execz .LBB134_62
; %bb.51:
	v_mul_lo_u32 v5, v5, s14
	s_and_saveexec_b64 s[8:9], vcc
	s_cbranch_execnz .LBB134_78
; %bb.52:
	s_or_b64 exec, exec, s[8:9]
	s_and_saveexec_b64 s[8:9], s[0:1]
	s_cbranch_execnz .LBB134_79
.LBB134_53:
	s_or_b64 exec, exec, s[8:9]
	s_and_saveexec_b64 s[8:9], s[2:3]
	s_cbranch_execnz .LBB134_80
.LBB134_54:
	s_or_b64 exec, exec, s[8:9]
	s_and_saveexec_b64 s[8:9], s[4:5]
	s_cbranch_execz .LBB134_56
.LBB134_55:
	v_add_u32_e32 v5, v5, v4
	v_mov_b32_e32 v6, 0
	v_lshlrev_b64 v[5:6], 2, v[5:6]
	s_waitcnt lgkmcnt(0)
	v_mov_b32_e32 v7, s13
	v_add_co_u32_e64 v5, s[6:7], s12, v5
	v_addc_co_u32_e64 v6, s[6:7], v7, v6, s[6:7]
	global_store_dword v[5:6], v89, off
.LBB134_56:
	s_or_b64 exec, exec, s[8:9]
	v_add3_u32 v1, v1, s15, 56
	v_cmp_gt_u32_e64 s[6:7], s10, v1
	s_and_b64 exec, exec, s[6:7]
	s_cbranch_execz .LBB134_62
; %bb.57:
	v_mul_lo_u32 v1, v1, s14
	s_and_saveexec_b64 s[6:7], vcc
	s_cbranch_execnz .LBB134_81
; %bb.58:
	s_or_b64 exec, exec, s[6:7]
	s_and_saveexec_b64 s[6:7], s[0:1]
	s_cbranch_execnz .LBB134_82
.LBB134_59:
	s_or_b64 exec, exec, s[6:7]
	s_and_saveexec_b64 s[0:1], s[2:3]
	s_cbranch_execnz .LBB134_83
.LBB134_60:
	s_or_b64 exec, exec, s[0:1]
	s_and_b64 exec, exec, s[4:5]
	s_cbranch_execz .LBB134_62
.LBB134_61:
	v_add_u32_e32 v0, v1, v4
	v_mov_b32_e32 v1, 0
	v_lshlrev_b64 v[0:1], 2, v[0:1]
	s_waitcnt lgkmcnt(0)
	v_mov_b32_e32 v2, s13
	v_add_co_u32_e32 v0, vcc, s12, v0
	v_addc_co_u32_e32 v1, vcc, v2, v1, vcc
	global_store_dword v[0:1], v85, off
.LBB134_62:
	s_endpgm
.LBB134_63:
	v_add_u32_e32 v6, v5, v0
	v_mov_b32_e32 v7, 0
	v_lshlrev_b64 v[6:7], 2, v[6:7]
	s_waitcnt lgkmcnt(0)
	v_mov_b32_e32 v8, s13
	v_add_co_u32_e64 v6, s[6:7], s12, v6
	v_addc_co_u32_e64 v7, s[6:7], v8, v7, s[6:7]
	global_store_dword v[6:7], v135, off
	s_or_b64 exec, exec, s[8:9]
	s_and_saveexec_b64 s[8:9], s[0:1]
	s_cbranch_execz .LBB134_23
.LBB134_64:
	v_add_u32_e32 v6, v5, v2
	v_mov_b32_e32 v7, 0
	v_lshlrev_b64 v[6:7], 2, v[6:7]
	s_waitcnt lgkmcnt(0)
	v_mov_b32_e32 v8, s13
	v_add_co_u32_e64 v6, s[6:7], s12, v6
	v_addc_co_u32_e64 v7, s[6:7], v8, v7, s[6:7]
	global_store_dword v[6:7], v130, off
	s_or_b64 exec, exec, s[8:9]
	s_and_saveexec_b64 s[8:9], s[2:3]
	s_cbranch_execz .LBB134_24
.LBB134_65:
	v_add_u32_e32 v6, v5, v3
	v_mov_b32_e32 v7, 0
	v_lshlrev_b64 v[6:7], 2, v[6:7]
	s_waitcnt lgkmcnt(0)
	v_mov_b32_e32 v8, s13
	v_add_co_u32_e64 v6, s[6:7], s12, v6
	v_addc_co_u32_e64 v7, s[6:7], v8, v7, s[6:7]
	global_store_dword v[6:7], v125, off
	s_or_b64 exec, exec, s[8:9]
	s_and_saveexec_b64 s[8:9], s[4:5]
	s_cbranch_execnz .LBB134_25
	s_branch .LBB134_26
.LBB134_66:
	v_add_u32_e32 v6, v5, v0
	v_mov_b32_e32 v7, 0
	v_lshlrev_b64 v[6:7], 2, v[6:7]
	s_waitcnt lgkmcnt(0)
	v_mov_b32_e32 v8, s13
	v_add_co_u32_e64 v6, s[6:7], s12, v6
	v_addc_co_u32_e64 v7, s[6:7], v8, v7, s[6:7]
	global_store_dword v[6:7], v112, off
	s_or_b64 exec, exec, s[8:9]
	s_and_saveexec_b64 s[8:9], s[0:1]
	s_cbranch_execz .LBB134_29
.LBB134_67:
	v_add_u32_e32 v6, v5, v2
	v_mov_b32_e32 v7, 0
	v_lshlrev_b64 v[6:7], 2, v[6:7]
	s_waitcnt lgkmcnt(0)
	v_mov_b32_e32 v8, s13
	v_add_co_u32_e64 v6, s[6:7], s12, v6
	v_addc_co_u32_e64 v7, s[6:7], v8, v7, s[6:7]
	global_store_dword v[6:7], v109, off
	s_or_b64 exec, exec, s[8:9]
	s_and_saveexec_b64 s[8:9], s[2:3]
	s_cbranch_execz .LBB134_30
.LBB134_68:
	v_add_u32_e32 v6, v5, v3
	v_mov_b32_e32 v7, 0
	v_lshlrev_b64 v[6:7], 2, v[6:7]
	s_waitcnt lgkmcnt(0)
	v_mov_b32_e32 v8, s13
	v_add_co_u32_e64 v6, s[6:7], s12, v6
	v_addc_co_u32_e64 v7, s[6:7], v8, v7, s[6:7]
	global_store_dword v[6:7], v108, off
	s_or_b64 exec, exec, s[8:9]
	s_and_saveexec_b64 s[8:9], s[4:5]
	s_cbranch_execnz .LBB134_31
	s_branch .LBB134_32
.LBB134_69:
	v_add_u32_e32 v6, v5, v0
	v_mov_b32_e32 v7, 0
	v_lshlrev_b64 v[6:7], 2, v[6:7]
	s_waitcnt lgkmcnt(0)
	v_mov_b32_e32 v8, s13
	v_add_co_u32_e64 v6, s[6:7], s12, v6
	v_addc_co_u32_e64 v7, s[6:7], v8, v7, s[6:7]
	global_store_dword v[6:7], v106, off
	s_or_b64 exec, exec, s[8:9]
	s_and_saveexec_b64 s[8:9], s[0:1]
	s_cbranch_execz .LBB134_35
.LBB134_70:
	v_add_u32_e32 v6, v5, v2
	v_mov_b32_e32 v7, 0
	v_lshlrev_b64 v[6:7], 2, v[6:7]
	s_waitcnt lgkmcnt(0)
	v_mov_b32_e32 v8, s13
	v_add_co_u32_e64 v6, s[6:7], s12, v6
	v_addc_co_u32_e64 v7, s[6:7], v8, v7, s[6:7]
	global_store_dword v[6:7], v105, off
	s_or_b64 exec, exec, s[8:9]
	s_and_saveexec_b64 s[8:9], s[2:3]
	s_cbranch_execz .LBB134_36
.LBB134_71:
	v_add_u32_e32 v6, v5, v3
	v_mov_b32_e32 v7, 0
	v_lshlrev_b64 v[6:7], 2, v[6:7]
	s_waitcnt lgkmcnt(0)
	v_mov_b32_e32 v8, s13
	v_add_co_u32_e64 v6, s[6:7], s12, v6
	v_addc_co_u32_e64 v7, s[6:7], v8, v7, s[6:7]
	global_store_dword v[6:7], v102, off
	s_or_b64 exec, exec, s[8:9]
	s_and_saveexec_b64 s[8:9], s[4:5]
	s_cbranch_execnz .LBB134_37
	s_branch .LBB134_38
.LBB134_72:
	v_add_u32_e32 v6, v5, v0
	v_mov_b32_e32 v7, 0
	v_lshlrev_b64 v[6:7], 2, v[6:7]
	s_waitcnt lgkmcnt(0)
	v_mov_b32_e32 v8, s13
	v_add_co_u32_e64 v6, s[6:7], s12, v6
	v_addc_co_u32_e64 v7, s[6:7], v8, v7, s[6:7]
	global_store_dword v[6:7], v100, off
	s_or_b64 exec, exec, s[8:9]
	s_and_saveexec_b64 s[8:9], s[0:1]
	s_cbranch_execz .LBB134_41
.LBB134_73:
	v_add_u32_e32 v6, v5, v2
	v_mov_b32_e32 v7, 0
	v_lshlrev_b64 v[6:7], 2, v[6:7]
	s_waitcnt lgkmcnt(0)
	v_mov_b32_e32 v8, s13
	v_add_co_u32_e64 v6, s[6:7], s12, v6
	v_addc_co_u32_e64 v7, s[6:7], v8, v7, s[6:7]
	global_store_dword v[6:7], v99, off
	s_or_b64 exec, exec, s[8:9]
	s_and_saveexec_b64 s[8:9], s[2:3]
	s_cbranch_execz .LBB134_42
.LBB134_74:
	v_add_u32_e32 v6, v5, v3
	v_mov_b32_e32 v7, 0
	v_lshlrev_b64 v[6:7], 2, v[6:7]
	s_waitcnt lgkmcnt(0)
	v_mov_b32_e32 v8, s13
	v_add_co_u32_e64 v6, s[6:7], s12, v6
	v_addc_co_u32_e64 v7, s[6:7], v8, v7, s[6:7]
	global_store_dword v[6:7], v98, off
	s_or_b64 exec, exec, s[8:9]
	s_and_saveexec_b64 s[8:9], s[4:5]
	s_cbranch_execnz .LBB134_43
	s_branch .LBB134_44
.LBB134_75:
	v_add_u32_e32 v6, v5, v0
	v_mov_b32_e32 v7, 0
	v_lshlrev_b64 v[6:7], 2, v[6:7]
	s_waitcnt lgkmcnt(0)
	v_mov_b32_e32 v8, s13
	v_add_co_u32_e64 v6, s[6:7], s12, v6
	v_addc_co_u32_e64 v7, s[6:7], v8, v7, s[6:7]
	global_store_dword v[6:7], v96, off
	s_or_b64 exec, exec, s[8:9]
	s_and_saveexec_b64 s[8:9], s[0:1]
	s_cbranch_execz .LBB134_47
.LBB134_76:
	v_add_u32_e32 v6, v5, v2
	v_mov_b32_e32 v7, 0
	v_lshlrev_b64 v[6:7], 2, v[6:7]
	s_waitcnt lgkmcnt(0)
	v_mov_b32_e32 v8, s13
	v_add_co_u32_e64 v6, s[6:7], s12, v6
	v_addc_co_u32_e64 v7, s[6:7], v8, v7, s[6:7]
	global_store_dword v[6:7], v95, off
	s_or_b64 exec, exec, s[8:9]
	s_and_saveexec_b64 s[8:9], s[2:3]
	s_cbranch_execz .LBB134_48
.LBB134_77:
	v_add_u32_e32 v6, v5, v3
	v_mov_b32_e32 v7, 0
	v_lshlrev_b64 v[6:7], 2, v[6:7]
	s_waitcnt lgkmcnt(0)
	v_mov_b32_e32 v8, s13
	v_add_co_u32_e64 v6, s[6:7], s12, v6
	v_addc_co_u32_e64 v7, s[6:7], v8, v7, s[6:7]
	global_store_dword v[6:7], v94, off
	s_or_b64 exec, exec, s[8:9]
	s_and_saveexec_b64 s[8:9], s[4:5]
	s_cbranch_execnz .LBB134_49
	s_branch .LBB134_50
.LBB134_78:
	v_add_u32_e32 v6, v5, v0
	v_mov_b32_e32 v7, 0
	v_lshlrev_b64 v[6:7], 2, v[6:7]
	s_waitcnt lgkmcnt(0)
	v_mov_b32_e32 v8, s13
	v_add_co_u32_e64 v6, s[6:7], s12, v6
	v_addc_co_u32_e64 v7, s[6:7], v8, v7, s[6:7]
	global_store_dword v[6:7], v92, off
	s_or_b64 exec, exec, s[8:9]
	s_and_saveexec_b64 s[8:9], s[0:1]
	s_cbranch_execz .LBB134_53
.LBB134_79:
	v_add_u32_e32 v6, v5, v2
	v_mov_b32_e32 v7, 0
	v_lshlrev_b64 v[6:7], 2, v[6:7]
	s_waitcnt lgkmcnt(0)
	v_mov_b32_e32 v8, s13
	v_add_co_u32_e64 v6, s[6:7], s12, v6
	v_addc_co_u32_e64 v7, s[6:7], v8, v7, s[6:7]
	global_store_dword v[6:7], v91, off
	s_or_b64 exec, exec, s[8:9]
	s_and_saveexec_b64 s[8:9], s[2:3]
	s_cbranch_execz .LBB134_54
.LBB134_80:
	v_add_u32_e32 v6, v5, v3
	v_mov_b32_e32 v7, 0
	v_lshlrev_b64 v[6:7], 2, v[6:7]
	s_waitcnt lgkmcnt(0)
	v_mov_b32_e32 v8, s13
	v_add_co_u32_e64 v6, s[6:7], s12, v6
	v_addc_co_u32_e64 v7, s[6:7], v8, v7, s[6:7]
	global_store_dword v[6:7], v90, off
	s_or_b64 exec, exec, s[8:9]
	s_and_saveexec_b64 s[8:9], s[4:5]
	s_cbranch_execnz .LBB134_55
	s_branch .LBB134_56
.LBB134_81:
	v_add_u32_e32 v5, v1, v0
	v_mov_b32_e32 v6, 0
	v_lshlrev_b64 v[5:6], 2, v[5:6]
	s_waitcnt lgkmcnt(0)
	v_mov_b32_e32 v0, s13
	v_add_co_u32_e32 v5, vcc, s12, v5
	v_addc_co_u32_e32 v6, vcc, v0, v6, vcc
	global_store_dword v[5:6], v88, off
	s_or_b64 exec, exec, s[6:7]
	s_and_saveexec_b64 s[6:7], s[0:1]
	s_cbranch_execz .LBB134_59
.LBB134_82:
	v_add_u32_e32 v5, v1, v2
	v_mov_b32_e32 v6, 0
	v_lshlrev_b64 v[5:6], 2, v[5:6]
	s_waitcnt lgkmcnt(0)
	v_mov_b32_e32 v0, s13
	v_add_co_u32_e32 v5, vcc, s12, v5
	v_addc_co_u32_e32 v6, vcc, v0, v6, vcc
	global_store_dword v[5:6], v87, off
	s_or_b64 exec, exec, s[6:7]
	s_and_saveexec_b64 s[0:1], s[2:3]
	s_cbranch_execz .LBB134_60
.LBB134_83:
	v_add_u32_e32 v2, v1, v3
	v_mov_b32_e32 v3, 0
	v_lshlrev_b64 v[2:3], 2, v[2:3]
	s_waitcnt lgkmcnt(0)
	v_mov_b32_e32 v0, s13
	v_add_co_u32_e32 v2, vcc, s12, v2
	v_addc_co_u32_e32 v3, vcc, v0, v3, vcc
	global_store_dword v[2:3], v86, off
	s_or_b64 exec, exec, s[0:1]
	s_and_b64 exec, exec, s[4:5]
	s_cbranch_execnz .LBB134_61
	s_branch .LBB134_62
	.section	.rodata,"a",@progbits
	.p2align	6, 0x0
	.amdhsa_kernel _ZL12mul_mat_q5_KIfLb1EEvPKvS1_PT_iiiii
		.amdhsa_group_segment_fixed_size 45136
		.amdhsa_private_segment_fixed_size 0
		.amdhsa_kernarg_size 44
		.amdhsa_user_sgpr_count 6
		.amdhsa_user_sgpr_private_segment_buffer 1
		.amdhsa_user_sgpr_dispatch_ptr 0
		.amdhsa_user_sgpr_queue_ptr 0
		.amdhsa_user_sgpr_kernarg_segment_ptr 1
		.amdhsa_user_sgpr_dispatch_id 0
		.amdhsa_user_sgpr_flat_scratch_init 0
		.amdhsa_user_sgpr_private_segment_size 0
		.amdhsa_uses_dynamic_stack 0
		.amdhsa_system_sgpr_private_segment_wavefront_offset 0
		.amdhsa_system_sgpr_workgroup_id_x 1
		.amdhsa_system_sgpr_workgroup_id_y 1
		.amdhsa_system_sgpr_workgroup_id_z 0
		.amdhsa_system_sgpr_workgroup_info 0
		.amdhsa_system_vgpr_workitem_id 1
		.amdhsa_next_free_vgpr 241
		.amdhsa_next_free_sgpr 98
		.amdhsa_reserve_vcc 1
		.amdhsa_reserve_flat_scratch 0
		.amdhsa_float_round_mode_32 0
		.amdhsa_float_round_mode_16_64 0
		.amdhsa_float_denorm_mode_32 3
		.amdhsa_float_denorm_mode_16_64 3
		.amdhsa_dx10_clamp 1
		.amdhsa_ieee_mode 1
		.amdhsa_fp16_overflow 0
		.amdhsa_exception_fp_ieee_invalid_op 0
		.amdhsa_exception_fp_denorm_src 0
		.amdhsa_exception_fp_ieee_div_zero 0
		.amdhsa_exception_fp_ieee_overflow 0
		.amdhsa_exception_fp_ieee_underflow 0
		.amdhsa_exception_fp_ieee_inexact 0
		.amdhsa_exception_int_div_zero 0
	.end_amdhsa_kernel
	.section	.text._ZL12mul_mat_q5_KIfLb1EEvPKvS1_PT_iiiii,"axG",@progbits,_ZL12mul_mat_q5_KIfLb1EEvPKvS1_PT_iiiii,comdat
.Lfunc_end134:
	.size	_ZL12mul_mat_q5_KIfLb1EEvPKvS1_PT_iiiii, .Lfunc_end134-_ZL12mul_mat_q5_KIfLb1EEvPKvS1_PT_iiiii
                                        ; -- End function
	.set _ZL12mul_mat_q5_KIfLb1EEvPKvS1_PT_iiiii.num_vgpr, 241
	.set _ZL12mul_mat_q5_KIfLb1EEvPKvS1_PT_iiiii.num_agpr, 0
	.set _ZL12mul_mat_q5_KIfLb1EEvPKvS1_PT_iiiii.numbered_sgpr, 21
	.set _ZL12mul_mat_q5_KIfLb1EEvPKvS1_PT_iiiii.num_named_barrier, 0
	.set _ZL12mul_mat_q5_KIfLb1EEvPKvS1_PT_iiiii.private_seg_size, 0
	.set _ZL12mul_mat_q5_KIfLb1EEvPKvS1_PT_iiiii.uses_vcc, 1
	.set _ZL12mul_mat_q5_KIfLb1EEvPKvS1_PT_iiiii.uses_flat_scratch, 0
	.set _ZL12mul_mat_q5_KIfLb1EEvPKvS1_PT_iiiii.has_dyn_sized_stack, 0
	.set _ZL12mul_mat_q5_KIfLb1EEvPKvS1_PT_iiiii.has_recursion, 0
	.set _ZL12mul_mat_q5_KIfLb1EEvPKvS1_PT_iiiii.has_indirect_call, 0
	.section	.AMDGPU.csdata,"",@progbits
; Kernel info:
; codeLenInByte = 22176
; TotalNumSgprs: 25
; NumVgprs: 241
; ScratchSize: 0
; MemoryBound: 0
; FloatMode: 240
; IeeeMode: 1
; LDSByteSize: 45136 bytes/workgroup (compile time only)
; SGPRBlocks: 12
; VGPRBlocks: 60
; NumSGPRsForWavesPerEU: 102
; NumVGPRsForWavesPerEU: 241
; Occupancy: 1
; WaveLimiterHint : 0
; COMPUTE_PGM_RSRC2:SCRATCH_EN: 0
; COMPUTE_PGM_RSRC2:USER_SGPR: 6
; COMPUTE_PGM_RSRC2:TRAP_HANDLER: 0
; COMPUTE_PGM_RSRC2:TGID_X_EN: 1
; COMPUTE_PGM_RSRC2:TGID_Y_EN: 1
; COMPUTE_PGM_RSRC2:TGID_Z_EN: 0
; COMPUTE_PGM_RSRC2:TIDIG_COMP_CNT: 1
	.section	.text._ZL12mul_mat_q6_KIfLb0EEvPKvS1_PT_iiiii,"axG",@progbits,_ZL12mul_mat_q6_KIfLb0EEvPKvS1_PT_iiiii,comdat
	.globl	_ZL12mul_mat_q6_KIfLb0EEvPKvS1_PT_iiiii ; -- Begin function _ZL12mul_mat_q6_KIfLb0EEvPKvS1_PT_iiiii
	.p2align	8
	.type	_ZL12mul_mat_q6_KIfLb0EEvPKvS1_PT_iiiii,@function
_ZL12mul_mat_q6_KIfLb0EEvPKvS1_PT_iiiii: ; @_ZL12mul_mat_q6_KIfLb0EEvPKvS1_PT_iiiii
; %bb.0:
	s_mov_b64 s[26:27], s[2:3]
	s_mov_b64 s[24:25], s[0:1]
	s_add_u32 s24, s24, s8
	s_load_dword s14, s[4:5], 0x18
	s_load_dwordx4 s[8:11], s[4:5], 0x20
	s_addc_u32 s25, s25, 0
	v_mov_b32_e32 v38, v1
	s_waitcnt lgkmcnt(0)
	s_lshl_b32 s11, s7, 6
	v_mov_b32_e32 v1, v0
	s_cmpk_gt_i32 s14, 0xff
	v_add_u32_e32 v34, s11, v38
	s_cbranch_scc1 .LBB135_2
; %bb.1:
	v_add_u32_e32 v0, s11, v38
	s_mov_b64 s[0:1], 0
	s_branch .LBB135_3
.LBB135_2:
	s_mov_b64 s[0:1], -1
                                        ; implicit-def: $vgpr0
.LBB135_3:
	s_load_dwordx2 s[12:13], s[4:5], 0x10
	s_lshl_b32 s6, s6, 7
	v_mov_b32_e32 v5, 0
	s_andn2_b64 vcc, exec, s[0:1]
	v_mov_b32_e32 v4, 0
	v_mov_b32_e32 v3, 0
	;; [unrolled: 1-line block ×31, first 2 shown]
	s_cbranch_vccnz .LBB135_11
; %bb.4:
	s_load_dwordx4 s[0:3], s[4:5], 0x0
	s_ashr_i32 s4, s14, 31
	s_lshr_b32 s4, s4, 24
	s_add_i32 s14, s14, s4
	s_ashr_i32 s5, s9, 31
	s_ashr_i32 s4, s14, 8
	s_lshr_b32 s5, s5, 27
	v_lshrrev_b32_e32 v3, 1, v1
	v_and_b32_e32 v4, 7, v1
	s_add_i32 s5, s9, s5
	s_mul_i32 s7, s4, s6
	v_and_b32_e32 v0, 31, v1
	v_and_or_b32 v3, v3, 8, v4
	s_ashr_i32 s15, s5, 5
	s_mul_hi_i32 s9, s7, 0xd2
	s_mulk_i32 s7, 0xd2
	v_lshlrev_b32_e32 v120, 2, v3
	v_add_u16_e32 v3, -16, v0
	v_cmp_gt_u32_e32 vcc, 16, v0
	s_waitcnt lgkmcnt(0)
	s_add_u32 s7, s0, s7
	v_lshlrev_b32_e32 v2, 1, v0
	v_lshlrev_b32_e32 v119, 2, v0
	v_cndmask_b32_e32 v0, v3, v0, vcc
	s_addc_u32 s9, s1, s9
	v_cmp_lt_u16_e64 s[0:1], 7, v0
	v_add_u32_e32 v0, 0xe0, v2
	v_cndmask_b32_e32 v0, v0, v2, vcc
	v_and_b32_e32 v0, 0xfe, v0
	v_sub_u32_e32 v0, v2, v0
	v_and_b32_e32 v2, 15, v1
	v_mul_u32_u24_e32 v3, 0x41, v38
	v_cndmask_b32_e64 v121, 0, 2, s[0:1]
	v_lshlrev_b32_e32 v0, 2, v0
	v_lshlrev_b32_e32 v2, 2, v2
	;; [unrolled: 1-line block ×3, first 2 shown]
	s_lshl_b32 s0, s4, 3
	v_add3_u32 v122, v0, v2, v3
	v_mov_b32_e32 v0, s0
	v_mad_i32_i24 v0, s4, v38, v0
	buffer_store_dword v0, off, s[24:27], 0 offset:12 ; 4-byte Folded Spill
	v_add_u32_e32 v0, s0, v0
	buffer_store_dword v0, off, s[24:27], 0 offset:16 ; 4-byte Folded Spill
	v_add_u32_e32 v0, s0, v0
	;; [unrolled: 2-line block ×14, first 2 shown]
	v_lshlrev_b32_e32 v139, 5, v38
	buffer_store_dword v0, off, s[24:27], 0 offset:68 ; 4-byte Folded Spill
	v_add_u32_e32 v0, v139, v1
	v_and_b32_e32 v2, 0x7f, v0
	v_lshrrev_b32_e32 v0, 3, v0
	v_mul_i32_i24_e32 v3, s4, v2
	v_and_b32_e32 v0, 12, v0
	v_lshlrev_b32_e32 v2, 2, v2
	s_mov_b32 s16, 0xae40
	buffer_store_dword v3, off, s[24:27], 0 offset:72 ; 4-byte Folded Spill
	v_add3_u32 v0, v2, v0, s16
	v_lshlrev_b32_e32 v2, 3, v38
	v_lshrrev_b32_e32 v3, 2, v1
	v_add_u32_e32 v6, v3, v2
	buffer_store_dword v0, off, s[24:27], 0 offset:76 ; 4-byte Folded Spill
	v_and_b32_e32 v0, 3, v1
	v_and_b32_e32 v4, 0x7f, v6
	v_add_u16_e32 v2, v3, v2
	v_lshlrev_b32_e32 v142, 2, v0
	v_mul_i32_i24_e32 v5, s4, v4
	v_lshrrev_b16_e32 v2, 1, v2
	buffer_store_dword v5, off, s[24:27], 0 offset:80 ; 4-byte Folded Spill
	v_lshl_or_b32 v5, v4, 4, v142
	v_and_b32_e32 v2, 60, v2
	s_mov_b32 s0, 0xa200
	v_add3_u32 v2, v5, v2, s0
	buffer_store_dword v2, off, s[24:27], 0 offset:84 ; 4-byte Folded Spill
	v_xor_b32_e32 v2, 64, v4
	v_mul_i32_i24_e32 v3, s4, v2
	buffer_store_dword v3, off, s[24:27], 0 offset:88 ; 4-byte Folded Spill
	v_lshl_or_b32 v3, v2, 4, v142
	v_lshrrev_b32_e32 v2, 1, v2
	v_and_b32_e32 v2, 60, v2
	v_add3_u32 v2, v3, v2, s0
	s_add_i32 s0, s8, -1
	buffer_store_dword v2, off, s[24:27], 0 offset:92 ; 4-byte Folded Spill
	v_cvt_f64_i32_e32 v[2:3], s0
	v_cvt_f64_u32_e32 v[4:5], v34
	v_add_u32_e32 v8, 16, v34
	v_cvt_f64_u32_e32 v[8:9], v8
	v_and_b32_e32 v10, 63, v6
	v_min_f64 v[4:5], v[4:5], v[2:3]
	v_or_b32_e32 v11, s11, v10
	v_min_f64 v[8:9], v[8:9], v[2:3]
	v_min_i32_e32 v11, s0, v11
	v_mad_u64_u32 v[11:12], s[0:1], v11, s15, v[0:1]
	buffer_store_dword v11, off, s[24:27], 0 offset:96 ; 4-byte Folded Spill
	s_nop 0
	buffer_store_dword v12, off, s[24:27], 0 offset:100 ; 4-byte Folded Spill
	v_cvt_i32_f64_e32 v4, v[4:5]
	v_add_u32_e32 v6, 8, v34
	v_cvt_f64_u32_e32 v[6:7], v6
	v_lshl_or_b32 v0, v10, 4, v142
	v_mul_lo_u32 v254, s15, v4
	v_cvt_i32_f64_e32 v4, v[8:9]
	v_add_u32_e32 v8, 40, v34
	v_min_f64 v[6:7], v[6:7], v[2:3]
	v_cvt_f64_u32_e32 v[8:9], v8
	v_mul_lo_u32 v4, s15, v4
	v_add_u32_e32 v10, 48, v34
	v_cvt_f64_u32_e32 v[10:11], v10
	v_min_f64 v[8:9], v[8:9], v[2:3]
	buffer_store_dword v4, off, s[24:27], 0 ; 4-byte Folded Spill
	v_add_u32_e32 v4, 24, v34
	v_cvt_f64_u32_e32 v[4:5], v4
	v_add_u32_e32 v253, 0xaa40, v0
	v_cvt_i32_f64_e32 v0, v[6:7]
	v_add_u32_e32 v6, 32, v34
	v_min_f64 v[4:5], v[4:5], v[2:3]
	v_add_u32_e32 v12, 56, v34
	v_cvt_f64_u32_e32 v[6:7], v6
	v_cvt_f64_u32_e32 v[12:13], v12
	v_lshrrev_b32_e32 v27, 5, v1
	v_cvt_i32_f64_e32 v8, v[8:9]
	v_lshlrev_b32_e32 v147, 2, v1
	v_min_f64 v[6:7], v[6:7], v[2:3]
	v_cvt_i32_f64_e32 v26, v[4:5]
	v_min_f64 v[4:5], v[10:11], v[2:3]
	v_min_f64 v[2:3], v[12:13], v[2:3]
	v_mul_lo_u32 v155, s15, v8
	s_movk_i32 s0, 0x104
	v_mov_b32_e32 v18, 0
	v_add_u32_e32 v14, 8, v38
	v_cvt_i32_f64_e32 v6, v[6:7]
	v_mul_lo_u32 v7, s15, v26
	v_cvt_i32_f64_e32 v4, v[4:5]
	v_lshlrev_b32_e32 v5, 2, v27
	v_add3_u32 v158, v147, v5, s16
	v_add_u32_e32 v5, 32, v1
	v_lshrrev_b32_e32 v159, 3, v5
	v_lshlrev_b32_e32 v8, 2, v5
	v_and_b32_e32 v5, 60, v159
	v_add3_u32 v160, v147, v5, s16
	v_add_u32_e32 v5, 64, v1
	v_lshrrev_b32_e32 v161, 3, v5
	v_lshlrev_b32_e32 v9, 2, v5
	v_and_b32_e32 v5, 60, v161
	v_add3_u32 v162, v147, v5, s16
	v_add_u32_e32 v5, 0x60, v1
	v_cvt_i32_f64_e32 v2, v[2:3]
	v_lshrrev_b32_e32 v163, 3, v5
	v_lshlrev_b32_e32 v10, 2, v5
	v_and_b32_e32 v5, 60, v163
	v_add3_u32 v164, v147, v5, s16
	v_mov_b32_e32 v5, 0x2080
	v_mad_u32_u24 v173, v1, s0, v5
	v_mov_b32_e32 v5, 0x4100
	v_add_u32_e32 v15, 16, v38
	v_add_u32_e32 v16, 24, v38
	;; [unrolled: 1-line block ×6, first 2 shown]
	v_and_b32_e32 v22, 28, v147
	v_mul_lo_u32 v255, s15, v0
	v_mul_lo_u32 v154, s15, v6
	v_mul_lo_u32 v156, s15, v4
	v_mul_lo_u32 v157, s15, v2
	v_mad_u32_u24 v174, v1, s0, v5
	v_mov_b32_e32 v5, 0x6180
	v_or_b32_e32 v23, 0x8200, v119
	v_lshlrev_b32_e32 v24, 7, v38
	v_lshlrev_b32_e32 v0, 7, v14
	;; [unrolled: 1-line block ×3, first 2 shown]
	buffer_store_dword v7, off, s[24:27], 0 offset:4 ; 4-byte Folded Spill
	v_lshlrev_b32_e32 v7, 7, v16
	v_lshlrev_b32_e32 v6, 7, v17
	v_lshlrev_b32_e32 v3, 7, v19
	v_lshlrev_b32_e32 v4, 7, v20
	v_lshlrev_b32_e32 v2, 7, v21
	v_lshlrev_b32_e32 v171, 5, v21
	v_mad_u32_u24 v175, v1, s0, v5
	v_mov_b32_e32 v5, s3
	v_add_co_u32_e32 v51, vcc, s2, v22
	v_mov_b32_e32 v21, v18
	buffer_store_dword v27, off, s[24:27], 0 offset:8 ; 4-byte Folded Spill
	v_lshlrev_b32_e32 v165, 5, v14
	v_lshlrev_b32_e32 v166, 5, v15
	;; [unrolled: 1-line block ×6, first 2 shown]
	v_addc_co_u32_e32 v52, vcc, 0, v5, vcc
	v_mov_b32_e32 v19, v18
	v_mov_b32_e32 v20, v18
	v_add_u32_e32 v176, v23, v24
	v_add_u32_e32 v177, v23, v0
	;; [unrolled: 1-line block ×8, first 2 shown]
	v_lshlrev_b32_e32 v185, 2, v8
	v_lshlrev_b32_e32 v186, 2, v9
	;; [unrolled: 1-line block ×3, first 2 shown]
	v_mov_b32_e32 v14, v18
	v_mov_b32_e32 v33, v21
	;; [unrolled: 1-line block ×7, first 2 shown]
	s_movk_i32 s5, 0xd2
	s_mov_b32 s14, 0
	v_lshrrev_b32_e32 v149, 3, v1
	v_mul_u32_u24_e32 v172, 0x104, v1
	s_mov_b32 s15, 0x30303030
	s_movk_i32 s16, 0x3f00
	s_movk_i32 s17, 0xe000
	v_mov_b32_e32 v184, 8
	v_mov_b32_e32 v15, v19
	;; [unrolled: 1-line block ×22, first 2 shown]
	buffer_store_dword v34, off, s[24:27], 0 offset:108 ; 4-byte Folded Spill
	buffer_store_dword v1, off, s[24:27], 0 offset:104 ; 4-byte Folded Spill
.LBB135_5:                              ; =>This Loop Header: Depth=1
                                        ;     Child Loop BB135_6 Depth 2
                                        ;     Child Loop BB135_8 Depth 2
	buffer_load_dword v0, off, s[24:27], 0 offset:8 ; 4-byte Folded Reload
	s_mul_i32 s0, s14, 0xd2
	s_mul_hi_u32 s1, s14, 0xd2
	s_add_u32 s0, s7, s0
	s_addc_u32 s1, s9, s1
	v_mov_b32_e32 v35, s1
	v_mov_b32_e32 v34, s0
	;; [unrolled: 1-line block ×3, first 2 shown]
	s_lshl_b32 s18, s14, 3
	v_mov_b32_e32 v152, v254
	v_mov_b32_e32 v153, v255
	;; [unrolled: 1-line block ×3, first 2 shown]
	s_mov_b32 s20, 0
	s_waitcnt vmcnt(0)
	v_mad_u64_u32 v[36:37], s[0:1], v0, s5, v[34:35]
	v_mul_i32_i24_e32 v0, s4, v38
	v_mad_u64_u32 v[38:39], s[0:1], v0, s5, v[36:37]
	buffer_load_dword v0, off, s[24:27], 0 offset:12 ; 4-byte Folded Reload
	v_add_co_u32_e32 v40, vcc, v38, v119
	v_addc_co_u32_e32 v41, vcc, 0, v39, vcc
	v_add_co_u32_e32 v38, vcc, v38, v120
	v_addc_co_u32_e32 v39, vcc, 0, v39, vcc
	s_waitcnt vmcnt(0)
	v_mad_u64_u32 v[42:43], s[0:1], v0, s5, v[36:37]
	v_add_co_u32_e32 v44, vcc, v42, v119
	v_addc_co_u32_e32 v45, vcc, 0, v43, vcc
	global_load_dword v0, v[40:41], off
	global_load_dword v46, v[38:39], off offset:128
	global_load_dword v47, v[44:45], off
	buffer_load_dword v1, off, s[24:27], 0 offset:16 ; 4-byte Folded Reload
	v_add_co_u32_e32 v38, vcc, v42, v120
	v_addc_co_u32_e32 v39, vcc, 0, v43, vcc
	global_load_dword v42, v[38:39], off offset:128
	s_waitcnt vmcnt(1)
	v_mad_u64_u32 v[38:39], s[0:1], v1, s5, v[36:37]
	buffer_load_dword v1, off, s[24:27], 0 offset:20 ; 4-byte Folded Reload
	v_add_co_u32_e32 v40, vcc, v38, v119
	v_addc_co_u32_e32 v41, vcc, 0, v39, vcc
	v_add_co_u32_e32 v38, vcc, v38, v120
	v_addc_co_u32_e32 v39, vcc, 0, v39, vcc
	global_load_dword v43, v[40:41], off
	global_load_dword v44, v[38:39], off offset:128
	s_waitcnt vmcnt(3)
	v_ashrrev_i32_e32 v42, v121, v42
	s_waitcnt vmcnt(2)
	v_mad_u64_u32 v[38:39], s[0:1], v1, s5, v[36:37]
	v_add_co_u32_e32 v40, vcc, v38, v119
	v_addc_co_u32_e32 v41, vcc, 0, v39, vcc
	v_add_co_u32_e32 v38, vcc, v38, v120
	v_addc_co_u32_e32 v39, vcc, 0, v39, vcc
	global_load_dword v45, v[40:41], off
	global_load_dword v48, v[38:39], off offset:128
	buffer_load_dword v1, off, s[24:27], 0 offset:24 ; 4-byte Folded Reload
	v_and_b32_e32 v38, 0xf0f0f0f, v0
	v_lshrrev_b32_e32 v0, 4, v0
	v_ashrrev_i32_e32 v39, v121, v46
	v_and_b32_e32 v0, 0xf0f0f0f, v0
	v_lshlrev_b32_e32 v46, 4, v39
	v_and_b32_e32 v40, 0xf0f0f0f, v47
	v_lshrrev_b32_e32 v41, 4, v47
	v_lshlrev_b32_e32 v47, 4, v42
	v_and_or_b32 v38, v46, s15, v38
	v_and_or_b32 v0, v39, s15, v0
	;; [unrolled: 1-line block ×3, first 2 shown]
	v_and_b32_e32 v40, 0x3f00, v38
	v_lshlrev_b16_e32 v46, 8, v38
	v_and_b32_sdwa v47, v38, s16 dst_sel:DWORD dst_unused:UNUSED_PAD src0_sel:WORD_1 src1_sel:DWORD
	v_lshlrev_b16_sdwa v38, v184, v38 dst_sel:DWORD dst_unused:UNUSED_PAD src0_sel:DWORD src1_sel:WORD_1
	v_and_b32_e32 v49, 0x3f00, v0
	v_lshlrev_b16_e32 v50, 8, v0
	v_and_b32_sdwa v53, v0, s16 dst_sel:DWORD dst_unused:UNUSED_PAD src0_sel:WORD_1 src1_sel:DWORD
	v_lshlrev_b16_sdwa v0, v184, v0 dst_sel:DWORD dst_unused:UNUSED_PAD src0_sel:DWORD src1_sel:WORD_1
	v_add_u16_e32 v46, 0xe000, v46
	v_add_u16_e32 v38, 0xe000, v38
	;; [unrolled: 1-line block ×4, first 2 shown]
	v_or_b32_sdwa v40, v40, v46 dst_sel:DWORD dst_unused:UNUSED_PAD src0_sel:DWORD src1_sel:BYTE_1
	v_or_b32_sdwa v38, v47, v38 dst_sel:DWORD dst_unused:UNUSED_PAD src0_sel:DWORD src1_sel:BYTE_1
	;; [unrolled: 1-line block ×4, first 2 shown]
	v_add_u16_e32 v40, 0xe000, v40
	v_add_u16_sdwa v38, v38, s17 dst_sel:WORD_1 dst_unused:UNUSED_PAD src0_sel:DWORD src1_sel:DWORD
	v_add_u16_e32 v46, 0xe000, v46
	v_add_u16_sdwa v0, v0, s17 dst_sel:WORD_1 dst_unused:UNUSED_PAD src0_sel:DWORD src1_sel:DWORD
	v_and_b32_e32 v41, 0xf0f0f0f, v41
	v_or_b32_e32 v38, v40, v38
	v_or_b32_e32 v0, v46, v0
	ds_write2_b32 v122, v38, v0 offset1:16
	v_and_or_b32 v0, v42, s15, v41
	v_lshlrev_b16_e32 v40, 8, v0
	v_and_b32_e32 v38, 0x3f00, v0
	v_add_u16_e32 v40, 0xe000, v40
	v_and_b32_e32 v54, 0x3f00, v39
	v_lshlrev_b16_e32 v55, 8, v39
	v_and_b32_sdwa v56, v39, s16 dst_sel:DWORD dst_unused:UNUSED_PAD src0_sel:WORD_1 src1_sel:DWORD
	v_lshlrev_b16_sdwa v39, v184, v39 dst_sel:DWORD dst_unused:UNUSED_PAD src0_sel:DWORD src1_sel:WORD_1
	v_or_b32_sdwa v38, v38, v40 dst_sel:DWORD dst_unused:UNUSED_PAD src0_sel:DWORD src1_sel:BYTE_1
	v_and_b32_sdwa v40, v0, s16 dst_sel:DWORD dst_unused:UNUSED_PAD src0_sel:WORD_1 src1_sel:DWORD
	v_lshlrev_b16_sdwa v0, v184, v0 dst_sel:DWORD dst_unused:UNUSED_PAD src0_sel:DWORD src1_sel:WORD_1
	v_add_u16_e32 v55, 0xe000, v55
	v_add_u16_e32 v39, 0xe000, v39
	;; [unrolled: 1-line block ×3, first 2 shown]
	v_or_b32_sdwa v47, v54, v55 dst_sel:DWORD dst_unused:UNUSED_PAD src0_sel:DWORD src1_sel:BYTE_1
	v_or_b32_sdwa v39, v56, v39 dst_sel:DWORD dst_unused:UNUSED_PAD src0_sel:DWORD src1_sel:BYTE_1
	;; [unrolled: 1-line block ×3, first 2 shown]
	v_add_u16_e32 v47, 0xe000, v47
	v_add_u16_sdwa v39, v39, s17 dst_sel:WORD_1 dst_unused:UNUSED_PAD src0_sel:DWORD src1_sel:DWORD
	v_add_u16_e32 v38, 0xe000, v38
	v_add_u16_sdwa v0, v0, s17 dst_sel:WORD_1 dst_unused:UNUSED_PAD src0_sel:DWORD src1_sel:DWORD
	v_or_b32_e32 v39, v47, v39
	v_or_b32_e32 v0, v38, v0
	v_add_u32_e32 v38, 0x800, v122
	ds_write2_b32 v38, v39, v0 offset0:8 offset1:24
	s_waitcnt vmcnt(3)
	v_ashrrev_i32_e32 v39, v121, v44
	v_and_b32_e32 v0, 0xf0f0f0f, v43
	v_lshlrev_b32_e32 v40, 4, v39
	v_and_or_b32 v0, v40, s15, v0
	v_lshrrev_b32_e32 v38, 4, v43
	v_lshlrev_b16_e32 v41, 8, v0
	v_and_b32_e32 v38, 0xf0f0f0f, v38
	v_and_b32_e32 v40, 0x3f00, v0
	v_add_u16_e32 v41, 0xe000, v41
	v_or_b32_sdwa v40, v40, v41 dst_sel:DWORD dst_unused:UNUSED_PAD src0_sel:DWORD src1_sel:BYTE_1
	v_and_b32_sdwa v41, v0, s16 dst_sel:DWORD dst_unused:UNUSED_PAD src0_sel:WORD_1 src1_sel:DWORD
	v_lshlrev_b16_sdwa v0, v184, v0 dst_sel:DWORD dst_unused:UNUSED_PAD src0_sel:DWORD src1_sel:WORD_1
	v_and_or_b32 v42, v39, s15, v38
	v_add_u16_e32 v0, 0xe000, v0
	v_or_b32_sdwa v0, v41, v0 dst_sel:DWORD dst_unused:UNUSED_PAD src0_sel:DWORD src1_sel:BYTE_1
	v_add_u16_e32 v40, 0xe000, v40
	v_add_u16_sdwa v0, v0, s17 dst_sel:WORD_1 dst_unused:UNUSED_PAD src0_sel:DWORD src1_sel:DWORD
	v_or_b32_e32 v0, v40, v0
	v_lshlrev_b16_e32 v44, 8, v42
	s_waitcnt vmcnt(0)
	v_mad_u64_u32 v[38:39], s[0:1], v1, s5, v[36:37]
	v_and_b32_e32 v43, 0x3f00, v42
	v_add_u32_e32 v53, s18, v149
	v_add_co_u32_e32 v40, vcc, v38, v119
	v_addc_co_u32_e32 v41, vcc, 0, v39, vcc
	v_add_co_u32_e32 v38, vcc, v38, v120
	v_addc_co_u32_e32 v39, vcc, 0, v39, vcc
	global_load_dword v46, v[40:41], off
	global_load_dword v47, v[38:39], off offset:128
	buffer_load_dword v1, off, s[24:27], 0 offset:28 ; 4-byte Folded Reload
	v_lshlrev_b16_sdwa v40, v184, v42 dst_sel:DWORD dst_unused:UNUSED_PAD src0_sel:DWORD src1_sel:WORD_1
	v_add_u16_e32 v38, 0xe000, v44
	v_and_b32_sdwa v39, v42, s16 dst_sel:DWORD dst_unused:UNUSED_PAD src0_sel:WORD_1 src1_sel:DWORD
	v_add_u16_e32 v40, 0xe000, v40
	v_or_b32_sdwa v38, v43, v38 dst_sel:DWORD dst_unused:UNUSED_PAD src0_sel:DWORD src1_sel:BYTE_1
	v_or_b32_sdwa v39, v39, v40 dst_sel:DWORD dst_unused:UNUSED_PAD src0_sel:DWORD src1_sel:BYTE_1
	v_add_u16_e32 v38, 0xe000, v38
	v_add_u16_sdwa v39, v39, s17 dst_sel:WORD_1 dst_unused:UNUSED_PAD src0_sel:DWORD src1_sel:DWORD
	v_or_b32_e32 v38, v38, v39
	v_add_u32_e32 v39, 0x1000, v122
	ds_write2_b32 v39, v0, v38 offset0:16 offset1:32
	v_lshrrev_b32_e32 v38, 4, v45
	v_ashrrev_i32_e32 v43, v121, v48
	v_and_b32_e32 v0, 0xf0f0f0f, v45
	v_and_b32_e32 v42, 0xf0f0f0f, v38
	v_lshlrev_b32_e32 v38, 4, v43
	v_and_or_b32 v0, v38, s15, v0
	v_and_b32_e32 v44, 0x3f00, v0
	v_lshlrev_b16_e32 v45, 8, v0
	s_waitcnt vmcnt(0)
	v_mad_u64_u32 v[38:39], s[0:1], v1, s5, v[36:37]
	v_add_co_u32_e32 v40, vcc, v38, v119
	v_addc_co_u32_e32 v41, vcc, 0, v39, vcc
	v_add_co_u32_e32 v38, vcc, v38, v120
	v_addc_co_u32_e32 v39, vcc, 0, v39, vcc
	global_load_dword v48, v[40:41], off
	global_load_dword v49, v[38:39], off offset:128
	buffer_load_dword v1, off, s[24:27], 0 offset:32 ; 4-byte Folded Reload
	v_and_b32_sdwa v39, v0, s16 dst_sel:DWORD dst_unused:UNUSED_PAD src0_sel:WORD_1 src1_sel:DWORD
	v_lshlrev_b16_sdwa v0, v184, v0 dst_sel:DWORD dst_unused:UNUSED_PAD src0_sel:DWORD src1_sel:WORD_1
	v_add_u16_e32 v38, 0xe000, v45
	v_add_u16_e32 v0, 0xe000, v0
	v_or_b32_sdwa v38, v44, v38 dst_sel:DWORD dst_unused:UNUSED_PAD src0_sel:DWORD src1_sel:BYTE_1
	v_or_b32_sdwa v0, v39, v0 dst_sel:DWORD dst_unused:UNUSED_PAD src0_sel:DWORD src1_sel:BYTE_1
	v_and_or_b32 v40, v43, s15, v42
	v_add_u16_e32 v38, 0xe000, v38
	v_add_u16_sdwa v0, v0, s17 dst_sel:WORD_1 dst_unused:UNUSED_PAD src0_sel:DWORD src1_sel:DWORD
	v_lshlrev_b16_e32 v39, 8, v40
	v_or_b32_e32 v0, v38, v0
	v_and_b32_e32 v38, 0x3f00, v40
	v_add_u16_e32 v39, 0xe000, v39
	v_or_b32_sdwa v38, v38, v39 dst_sel:DWORD dst_unused:UNUSED_PAD src0_sel:DWORD src1_sel:BYTE_1
	v_add_u16_e32 v42, 0xe000, v38
	v_and_b32_sdwa v43, v40, s16 dst_sel:DWORD dst_unused:UNUSED_PAD src0_sel:WORD_1 src1_sel:DWORD
	v_lshlrev_b16_sdwa v40, v184, v40 dst_sel:DWORD dst_unused:UNUSED_PAD src0_sel:DWORD src1_sel:WORD_1
	v_add_u16_e32 v44, 0xe000, v40
	s_waitcnt vmcnt(0)
	v_mad_u64_u32 v[38:39], s[0:1], v1, s5, v[36:37]
	v_add_co_u32_e32 v40, vcc, v38, v119
	v_addc_co_u32_e32 v41, vcc, 0, v39, vcc
	v_add_co_u32_e32 v38, vcc, v38, v120
	v_addc_co_u32_e32 v39, vcc, 0, v39, vcc
	global_load_dword v45, v[40:41], off
	global_load_dword v50, v[38:39], off offset:128
	buffer_load_dword v1, off, s[24:27], 0 offset:36 ; 4-byte Folded Reload
	v_or_b32_sdwa v38, v43, v44 dst_sel:DWORD dst_unused:UNUSED_PAD src0_sel:DWORD src1_sel:BYTE_1
	v_add_u16_sdwa v40, v38, s17 dst_sel:WORD_1 dst_unused:UNUSED_PAD src0_sel:DWORD src1_sel:DWORD
	v_or_b32_e32 v40, v42, v40
	v_add_u32_e32 v41, 0x1800, v122
	ds_write2_b32 v41, v0, v40 offset0:24 offset1:40
	s_waitcnt vmcnt(0)
	v_mad_u64_u32 v[38:39], s[0:1], v1, s5, v[36:37]
	v_add_co_u32_e32 v40, vcc, v38, v119
	v_addc_co_u32_e32 v41, vcc, 0, v39, vcc
	v_add_co_u32_e32 v38, vcc, v38, v120
	v_addc_co_u32_e32 v39, vcc, 0, v39, vcc
	global_load_dword v0, v[40:41], off
	global_load_dword v42, v[38:39], off offset:128
	buffer_load_dword v1, off, s[24:27], 0 offset:40 ; 4-byte Folded Reload
	v_ashrrev_i32_e32 v40, v121, v47
	v_and_b32_e32 v38, 0xf0f0f0f, v46
	v_lshlrev_b32_e32 v41, 4, v40
	v_and_or_b32 v38, v41, s15, v38
	v_lshlrev_b16_e32 v43, 8, v38
	v_and_b32_e32 v41, 0x3f00, v38
	v_add_u16_e32 v43, 0xe000, v43
	v_or_b32_sdwa v41, v41, v43 dst_sel:DWORD dst_unused:UNUSED_PAD src0_sel:DWORD src1_sel:BYTE_1
	v_and_b32_sdwa v43, v38, s16 dst_sel:DWORD dst_unused:UNUSED_PAD src0_sel:WORD_1 src1_sel:DWORD
	v_lshlrev_b16_sdwa v38, v184, v38 dst_sel:DWORD dst_unused:UNUSED_PAD src0_sel:DWORD src1_sel:WORD_1
	v_lshrrev_b32_e32 v39, 4, v46
	v_add_u16_e32 v38, 0xe000, v38
	v_and_b32_e32 v39, 0xf0f0f0f, v39
	v_or_b32_sdwa v38, v43, v38 dst_sel:DWORD dst_unused:UNUSED_PAD src0_sel:DWORD src1_sel:BYTE_1
	v_add_u16_e32 v41, 0xe000, v41
	v_add_u16_sdwa v38, v38, s17 dst_sel:WORD_1 dst_unused:UNUSED_PAD src0_sel:DWORD src1_sel:DWORD
	v_and_or_b32 v39, v40, s15, v39
	v_or_b32_e32 v38, v41, v38
	v_lshlrev_b16_e32 v41, 8, v39
	v_and_b32_e32 v40, 0x3f00, v39
	v_add_u16_e32 v41, 0xe000, v41
	v_or_b32_sdwa v40, v40, v41 dst_sel:DWORD dst_unused:UNUSED_PAD src0_sel:DWORD src1_sel:BYTE_1
	v_and_b32_sdwa v41, v39, s16 dst_sel:DWORD dst_unused:UNUSED_PAD src0_sel:WORD_1 src1_sel:DWORD
	v_lshlrev_b16_sdwa v39, v184, v39 dst_sel:DWORD dst_unused:UNUSED_PAD src0_sel:DWORD src1_sel:WORD_1
	v_add_u16_e32 v39, 0xe000, v39
	v_or_b32_sdwa v39, v41, v39 dst_sel:DWORD dst_unused:UNUSED_PAD src0_sel:DWORD src1_sel:BYTE_1
	v_add_u16_e32 v40, 0xe000, v40
	v_add_u16_sdwa v39, v39, s17 dst_sel:WORD_1 dst_unused:UNUSED_PAD src0_sel:DWORD src1_sel:DWORD
	v_or_b32_e32 v39, v40, v39
	v_add_u32_e32 v40, 0x2000, v122
	ds_write2_b32 v40, v38, v39 offset0:32 offset1:48
	v_ashrrev_i32_e32 v40, v121, v49
	v_and_b32_e32 v38, 0xf0f0f0f, v48
	v_lshlrev_b32_e32 v41, 4, v40
	v_and_or_b32 v38, v41, s15, v38
	v_lshlrev_b16_e32 v43, 8, v38
	v_and_b32_e32 v41, 0x3f00, v38
	v_add_u16_e32 v43, 0xe000, v43
	v_or_b32_sdwa v41, v41, v43 dst_sel:DWORD dst_unused:UNUSED_PAD src0_sel:DWORD src1_sel:BYTE_1
	v_and_b32_sdwa v43, v38, s16 dst_sel:DWORD dst_unused:UNUSED_PAD src0_sel:WORD_1 src1_sel:DWORD
	v_lshlrev_b16_sdwa v38, v184, v38 dst_sel:DWORD dst_unused:UNUSED_PAD src0_sel:DWORD src1_sel:WORD_1
	v_lshrrev_b32_e32 v39, 4, v48
	v_add_u16_e32 v38, 0xe000, v38
	v_and_b32_e32 v39, 0xf0f0f0f, v39
	v_or_b32_sdwa v38, v43, v38 dst_sel:DWORD dst_unused:UNUSED_PAD src0_sel:DWORD src1_sel:BYTE_1
	v_add_u16_e32 v41, 0xe000, v41
	v_add_u16_sdwa v38, v38, s17 dst_sel:WORD_1 dst_unused:UNUSED_PAD src0_sel:DWORD src1_sel:DWORD
	v_and_or_b32 v39, v40, s15, v39
	v_or_b32_e32 v38, v41, v38
	v_lshlrev_b16_e32 v41, 8, v39
	v_and_b32_e32 v40, 0x3f00, v39
	v_add_u16_e32 v41, 0xe000, v41
	v_or_b32_sdwa v40, v40, v41 dst_sel:DWORD dst_unused:UNUSED_PAD src0_sel:DWORD src1_sel:BYTE_1
	v_and_b32_sdwa v41, v39, s16 dst_sel:DWORD dst_unused:UNUSED_PAD src0_sel:WORD_1 src1_sel:DWORD
	v_lshlrev_b16_sdwa v39, v184, v39 dst_sel:DWORD dst_unused:UNUSED_PAD src0_sel:DWORD src1_sel:WORD_1
	v_add_u16_e32 v39, 0xe000, v39
	v_or_b32_sdwa v39, v41, v39 dst_sel:DWORD dst_unused:UNUSED_PAD src0_sel:DWORD src1_sel:BYTE_1
	v_add_u16_e32 v40, 0xe000, v40
	v_add_u16_sdwa v39, v39, s17 dst_sel:WORD_1 dst_unused:UNUSED_PAD src0_sel:DWORD src1_sel:DWORD
	v_or_b32_e32 v39, v40, v39
	v_add_u32_e32 v40, 0x2800, v122
	ds_write2_b32 v40, v38, v39 offset0:40 offset1:56
	v_ashrrev_i32_e32 v40, v121, v50
	v_and_b32_e32 v38, 0xf0f0f0f, v45
	v_lshlrev_b32_e32 v41, 4, v40
	v_and_or_b32 v38, v41, s15, v38
	v_lshlrev_b16_e32 v43, 8, v38
	v_and_b32_e32 v41, 0x3f00, v38
	v_add_u16_e32 v43, 0xe000, v43
	v_or_b32_sdwa v41, v41, v43 dst_sel:DWORD dst_unused:UNUSED_PAD src0_sel:DWORD src1_sel:BYTE_1
	v_and_b32_sdwa v43, v38, s16 dst_sel:DWORD dst_unused:UNUSED_PAD src0_sel:WORD_1 src1_sel:DWORD
	v_lshlrev_b16_sdwa v38, v184, v38 dst_sel:DWORD dst_unused:UNUSED_PAD src0_sel:DWORD src1_sel:WORD_1
	v_add_u16_e32 v38, 0xe000, v38
	v_lshrrev_b32_e32 v39, 4, v45
	v_or_b32_sdwa v38, v43, v38 dst_sel:DWORD dst_unused:UNUSED_PAD src0_sel:DWORD src1_sel:BYTE_1
	v_and_b32_e32 v39, 0xf0f0f0f, v39
	v_add_u16_e32 v41, 0xe000, v41
	v_add_u16_sdwa v38, v38, s17 dst_sel:WORD_1 dst_unused:UNUSED_PAD src0_sel:DWORD src1_sel:DWORD
	v_or_b32_e32 v43, v41, v38
	v_and_or_b32 v44, v40, s15, v39
	s_waitcnt vmcnt(0)
	v_mad_u64_u32 v[38:39], s[0:1], v1, s5, v[36:37]
	v_lshlrev_b16_e32 v46, 8, v44
	v_and_b32_e32 v45, 0x3f00, v44
	v_add_co_u32_e32 v40, vcc, v38, v119
	v_addc_co_u32_e32 v41, vcc, 0, v39, vcc
	v_add_co_u32_e32 v38, vcc, v38, v120
	v_addc_co_u32_e32 v39, vcc, 0, v39, vcc
	global_load_dword v47, v[40:41], off
	global_load_dword v48, v[38:39], off offset:128
	v_lshlrev_b16_sdwa v40, v184, v44 dst_sel:DWORD dst_unused:UNUSED_PAD src0_sel:DWORD src1_sel:WORD_1
	v_add_u16_e32 v38, 0xe000, v46
	v_and_b32_sdwa v39, v44, s16 dst_sel:DWORD dst_unused:UNUSED_PAD src0_sel:WORD_1 src1_sel:DWORD
	v_add_u16_e32 v40, 0xe000, v40
	v_or_b32_sdwa v38, v45, v38 dst_sel:DWORD dst_unused:UNUSED_PAD src0_sel:DWORD src1_sel:BYTE_1
	v_or_b32_sdwa v39, v39, v40 dst_sel:DWORD dst_unused:UNUSED_PAD src0_sel:DWORD src1_sel:BYTE_1
	v_add_u16_e32 v38, 0xe000, v38
	v_add_u16_sdwa v39, v39, s17 dst_sel:WORD_1 dst_unused:UNUSED_PAD src0_sel:DWORD src1_sel:DWORD
	v_or_b32_e32 v38, v38, v39
	v_add_u32_e32 v1, 0x30c0, v122
	v_ashrrev_i32_e32 v42, v121, v42
	ds_write2_b32 v1, v43, v38 offset1:16
	v_and_b32_e32 v38, 0xf0f0f0f, v0
	v_lshlrev_b32_e32 v39, 4, v42
	v_and_or_b32 v43, v39, s15, v38
	buffer_load_dword v38, off, s[24:27], 0 offset:44 ; 4-byte Folded Reload
	v_lshlrev_b16_e32 v45, 8, v43
	v_lshrrev_b32_e32 v0, 4, v0
	v_and_b32_e32 v44, 0x3f00, v43
	v_and_b32_e32 v0, 0xf0f0f0f, v0
	v_and_or_b32 v0, v42, s15, v0
	s_waitcnt vmcnt(0)
	v_mad_u64_u32 v[38:39], s[0:1], v38, s5, v[36:37]
	v_add_co_u32_e32 v40, vcc, v38, v119
	v_addc_co_u32_e32 v41, vcc, 0, v39, vcc
	v_add_co_u32_e32 v38, vcc, v38, v120
	v_addc_co_u32_e32 v39, vcc, 0, v39, vcc
	global_load_dword v46, v[40:41], off
	global_load_dword v49, v[38:39], off offset:128
	v_lshlrev_b16_sdwa v40, v184, v43 dst_sel:DWORD dst_unused:UNUSED_PAD src0_sel:DWORD src1_sel:WORD_1
	v_add_u16_e32 v38, 0xe000, v45
	v_and_b32_sdwa v39, v43, s16 dst_sel:DWORD dst_unused:UNUSED_PAD src0_sel:WORD_1 src1_sel:DWORD
	v_add_u16_e32 v40, 0xe000, v40
	v_or_b32_sdwa v38, v44, v38 dst_sel:DWORD dst_unused:UNUSED_PAD src0_sel:DWORD src1_sel:BYTE_1
	v_or_b32_sdwa v39, v39, v40 dst_sel:DWORD dst_unused:UNUSED_PAD src0_sel:DWORD src1_sel:BYTE_1
	v_add_u16_e32 v38, 0xe000, v38
	v_add_u16_sdwa v39, v39, s17 dst_sel:WORD_1 dst_unused:UNUSED_PAD src0_sel:DWORD src1_sel:DWORD
	v_or_b32_e32 v43, v38, v39
	v_lshlrev_b16_e32 v39, 8, v0
	v_and_b32_e32 v38, 0x3f00, v0
	v_add_u16_e32 v39, 0xe000, v39
	v_or_b32_sdwa v38, v38, v39 dst_sel:DWORD dst_unused:UNUSED_PAD src0_sel:DWORD src1_sel:BYTE_1
	v_add_u16_e32 v42, 0xe000, v38
	buffer_load_dword v38, off, s[24:27], 0 offset:48 ; 4-byte Folded Reload
	v_and_b32_sdwa v44, v0, s16 dst_sel:DWORD dst_unused:UNUSED_PAD src0_sel:WORD_1 src1_sel:DWORD
	v_lshlrev_b16_sdwa v0, v184, v0 dst_sel:DWORD dst_unused:UNUSED_PAD src0_sel:DWORD src1_sel:WORD_1
	v_add_u16_e32 v0, 0xe000, v0
	v_or_b32_sdwa v0, v44, v0 dst_sel:DWORD dst_unused:UNUSED_PAD src0_sel:DWORD src1_sel:BYTE_1
	v_add_u16_sdwa v0, v0, s17 dst_sel:WORD_1 dst_unused:UNUSED_PAD src0_sel:DWORD src1_sel:DWORD
	v_or_b32_e32 v0, v42, v0
	s_waitcnt vmcnt(0)
	v_mad_u64_u32 v[38:39], s[0:1], v38, s5, v[36:37]
	v_add_co_u32_e32 v40, vcc, v38, v119
	v_addc_co_u32_e32 v41, vcc, 0, v39, vcc
	v_add_co_u32_e32 v38, vcc, v38, v120
	v_addc_co_u32_e32 v39, vcc, 0, v39, vcc
	global_load_dword v45, v[40:41], off
	global_load_dword v50, v[38:39], off offset:128
	v_add_u32_e32 v40, 0x800, v1
	buffer_load_dword v38, off, s[24:27], 0 offset:52 ; 4-byte Folded Reload
	ds_write2_b32 v40, v43, v0 offset0:8 offset1:24
	s_waitcnt vmcnt(0)
	v_mad_u64_u32 v[38:39], s[0:1], v38, s5, v[36:37]
	v_add_co_u32_e32 v40, vcc, v38, v119
	v_addc_co_u32_e32 v41, vcc, 0, v39, vcc
	v_add_co_u32_e32 v38, vcc, v38, v120
	v_addc_co_u32_e32 v39, vcc, 0, v39, vcc
	global_load_dword v0, v[40:41], off
	global_load_dword v42, v[38:39], off offset:128
	v_ashrrev_i32_e32 v40, v121, v48
	v_and_b32_e32 v38, 0xf0f0f0f, v47
	v_lshlrev_b32_e32 v41, 4, v40
	v_and_or_b32 v38, v41, s15, v38
	v_lshlrev_b16_e32 v43, 8, v38
	v_and_b32_e32 v41, 0x3f00, v38
	v_add_u16_e32 v43, 0xe000, v43
	v_or_b32_sdwa v41, v41, v43 dst_sel:DWORD dst_unused:UNUSED_PAD src0_sel:DWORD src1_sel:BYTE_1
	v_and_b32_sdwa v43, v38, s16 dst_sel:DWORD dst_unused:UNUSED_PAD src0_sel:WORD_1 src1_sel:DWORD
	v_lshlrev_b16_sdwa v38, v184, v38 dst_sel:DWORD dst_unused:UNUSED_PAD src0_sel:DWORD src1_sel:WORD_1
	v_lshrrev_b32_e32 v39, 4, v47
	v_add_u16_e32 v38, 0xe000, v38
	v_and_b32_e32 v39, 0xf0f0f0f, v39
	v_or_b32_sdwa v38, v43, v38 dst_sel:DWORD dst_unused:UNUSED_PAD src0_sel:DWORD src1_sel:BYTE_1
	v_add_u16_e32 v41, 0xe000, v41
	v_add_u16_sdwa v38, v38, s17 dst_sel:WORD_1 dst_unused:UNUSED_PAD src0_sel:DWORD src1_sel:DWORD
	v_and_or_b32 v39, v40, s15, v39
	v_or_b32_e32 v38, v41, v38
	v_lshlrev_b16_e32 v41, 8, v39
	v_and_b32_e32 v40, 0x3f00, v39
	v_add_u16_e32 v41, 0xe000, v41
	v_or_b32_sdwa v40, v40, v41 dst_sel:DWORD dst_unused:UNUSED_PAD src0_sel:DWORD src1_sel:BYTE_1
	v_and_b32_sdwa v41, v39, s16 dst_sel:DWORD dst_unused:UNUSED_PAD src0_sel:WORD_1 src1_sel:DWORD
	v_lshlrev_b16_sdwa v39, v184, v39 dst_sel:DWORD dst_unused:UNUSED_PAD src0_sel:DWORD src1_sel:WORD_1
	v_add_u16_e32 v39, 0xe000, v39
	v_or_b32_sdwa v39, v41, v39 dst_sel:DWORD dst_unused:UNUSED_PAD src0_sel:DWORD src1_sel:BYTE_1
	v_add_u16_e32 v40, 0xe000, v40
	v_add_u16_sdwa v39, v39, s17 dst_sel:WORD_1 dst_unused:UNUSED_PAD src0_sel:DWORD src1_sel:DWORD
	v_or_b32_e32 v39, v40, v39
	v_add_u32_e32 v40, 0x1000, v1
	ds_write2_b32 v40, v38, v39 offset0:16 offset1:32
	v_ashrrev_i32_e32 v40, v121, v49
	v_and_b32_e32 v38, 0xf0f0f0f, v46
	v_lshlrev_b32_e32 v41, 4, v40
	v_and_or_b32 v38, v41, s15, v38
	v_lshlrev_b16_e32 v43, 8, v38
	v_and_b32_e32 v41, 0x3f00, v38
	v_add_u16_e32 v43, 0xe000, v43
	v_or_b32_sdwa v41, v41, v43 dst_sel:DWORD dst_unused:UNUSED_PAD src0_sel:DWORD src1_sel:BYTE_1
	v_and_b32_sdwa v43, v38, s16 dst_sel:DWORD dst_unused:UNUSED_PAD src0_sel:WORD_1 src1_sel:DWORD
	v_lshlrev_b16_sdwa v38, v184, v38 dst_sel:DWORD dst_unused:UNUSED_PAD src0_sel:DWORD src1_sel:WORD_1
	v_lshrrev_b32_e32 v39, 4, v46
	v_add_u16_e32 v38, 0xe000, v38
	v_and_b32_e32 v39, 0xf0f0f0f, v39
	v_or_b32_sdwa v38, v43, v38 dst_sel:DWORD dst_unused:UNUSED_PAD src0_sel:DWORD src1_sel:BYTE_1
	v_add_u16_e32 v41, 0xe000, v41
	v_add_u16_sdwa v38, v38, s17 dst_sel:WORD_1 dst_unused:UNUSED_PAD src0_sel:DWORD src1_sel:DWORD
	v_and_or_b32 v39, v40, s15, v39
	v_or_b32_e32 v38, v41, v38
	v_lshlrev_b16_e32 v41, 8, v39
	v_and_b32_e32 v40, 0x3f00, v39
	v_add_u16_e32 v41, 0xe000, v41
	v_or_b32_sdwa v40, v40, v41 dst_sel:DWORD dst_unused:UNUSED_PAD src0_sel:DWORD src1_sel:BYTE_1
	v_and_b32_sdwa v41, v39, s16 dst_sel:DWORD dst_unused:UNUSED_PAD src0_sel:WORD_1 src1_sel:DWORD
	v_lshlrev_b16_sdwa v39, v184, v39 dst_sel:DWORD dst_unused:UNUSED_PAD src0_sel:DWORD src1_sel:WORD_1
	v_add_u16_e32 v39, 0xe000, v39
	v_or_b32_sdwa v39, v41, v39 dst_sel:DWORD dst_unused:UNUSED_PAD src0_sel:DWORD src1_sel:BYTE_1
	v_add_u16_e32 v40, 0xe000, v40
	v_add_u16_sdwa v39, v39, s17 dst_sel:WORD_1 dst_unused:UNUSED_PAD src0_sel:DWORD src1_sel:DWORD
	v_or_b32_e32 v39, v40, v39
	v_add_u32_e32 v40, 0x1800, v1
	buffer_load_dword v1, off, s[24:27], 0 offset:56 ; 4-byte Folded Reload
	ds_write2_b32 v40, v38, v39 offset0:24 offset1:40
	v_ashrrev_i32_e32 v40, v121, v50
	v_and_b32_e32 v38, 0xf0f0f0f, v45
	v_lshlrev_b32_e32 v41, 4, v40
	v_and_or_b32 v38, v41, s15, v38
	v_lshlrev_b16_e32 v43, 8, v38
	v_and_b32_e32 v41, 0x3f00, v38
	v_add_u16_e32 v43, 0xe000, v43
	v_or_b32_sdwa v41, v41, v43 dst_sel:DWORD dst_unused:UNUSED_PAD src0_sel:DWORD src1_sel:BYTE_1
	v_and_b32_sdwa v43, v38, s16 dst_sel:DWORD dst_unused:UNUSED_PAD src0_sel:WORD_1 src1_sel:DWORD
	v_lshlrev_b16_sdwa v38, v184, v38 dst_sel:DWORD dst_unused:UNUSED_PAD src0_sel:DWORD src1_sel:WORD_1
	v_add_u16_e32 v38, 0xe000, v38
	v_lshrrev_b32_e32 v39, 4, v45
	v_or_b32_sdwa v38, v43, v38 dst_sel:DWORD dst_unused:UNUSED_PAD src0_sel:DWORD src1_sel:BYTE_1
	v_and_b32_e32 v39, 0xf0f0f0f, v39
	v_add_u16_e32 v41, 0xe000, v41
	v_add_u16_sdwa v38, v38, s17 dst_sel:WORD_1 dst_unused:UNUSED_PAD src0_sel:DWORD src1_sel:DWORD
	v_or_b32_e32 v43, v41, v38
	v_and_or_b32 v44, v40, s15, v39
	v_lshlrev_b16_e32 v46, 8, v44
	v_and_b32_e32 v45, 0x3f00, v44
	s_waitcnt vmcnt(1)
	v_ashrrev_i32_e32 v42, v121, v42
	s_waitcnt vmcnt(0)
	v_mad_u64_u32 v[38:39], s[0:1], v1, s5, v[36:37]
	v_add_co_u32_e32 v40, vcc, v38, v119
	v_addc_co_u32_e32 v41, vcc, 0, v39, vcc
	v_add_co_u32_e32 v38, vcc, v38, v120
	v_addc_co_u32_e32 v39, vcc, 0, v39, vcc
	global_load_dword v47, v[40:41], off
	global_load_dword v48, v[38:39], off offset:128
	buffer_load_dword v1, off, s[24:27], 0 offset:60 ; 4-byte Folded Reload
	v_lshlrev_b16_sdwa v40, v184, v44 dst_sel:DWORD dst_unused:UNUSED_PAD src0_sel:DWORD src1_sel:WORD_1
	v_add_u16_e32 v38, 0xe000, v46
	v_and_b32_sdwa v39, v44, s16 dst_sel:DWORD dst_unused:UNUSED_PAD src0_sel:WORD_1 src1_sel:DWORD
	v_add_u16_e32 v40, 0xe000, v40
	v_or_b32_sdwa v38, v45, v38 dst_sel:DWORD dst_unused:UNUSED_PAD src0_sel:DWORD src1_sel:BYTE_1
	v_or_b32_sdwa v39, v39, v40 dst_sel:DWORD dst_unused:UNUSED_PAD src0_sel:DWORD src1_sel:BYTE_1
	v_add_u16_e32 v38, 0xe000, v38
	v_add_u16_sdwa v39, v39, s17 dst_sel:WORD_1 dst_unused:UNUSED_PAD src0_sel:DWORD src1_sel:DWORD
	v_or_b32_e32 v38, v38, v39
	v_add_u32_e32 v39, 0x5140, v122
	ds_write2_b32 v39, v43, v38 offset1:16
	v_and_b32_e32 v38, 0xf0f0f0f, v0
	v_lshlrev_b32_e32 v39, 4, v42
	v_and_or_b32 v43, v39, s15, v38
	v_lshlrev_b16_e32 v45, 8, v43
	v_lshrrev_b32_e32 v0, 4, v0
	v_and_b32_e32 v44, 0x3f00, v43
	v_and_b32_e32 v0, 0xf0f0f0f, v0
	v_and_or_b32 v0, v42, s15, v0
	s_waitcnt vmcnt(0)
	v_mad_u64_u32 v[38:39], s[0:1], v1, s5, v[36:37]
	v_add_co_u32_e32 v40, vcc, v38, v119
	v_addc_co_u32_e32 v41, vcc, 0, v39, vcc
	v_add_co_u32_e32 v38, vcc, v38, v120
	v_addc_co_u32_e32 v39, vcc, 0, v39, vcc
	global_load_dword v46, v[40:41], off
	global_load_dword v49, v[38:39], off offset:128
	v_lshlrev_b16_sdwa v40, v184, v43 dst_sel:DWORD dst_unused:UNUSED_PAD src0_sel:DWORD src1_sel:WORD_1
	v_add_u16_e32 v38, 0xe000, v45
	v_and_b32_sdwa v39, v43, s16 dst_sel:DWORD dst_unused:UNUSED_PAD src0_sel:WORD_1 src1_sel:DWORD
	v_add_u16_e32 v40, 0xe000, v40
	v_or_b32_sdwa v38, v44, v38 dst_sel:DWORD dst_unused:UNUSED_PAD src0_sel:DWORD src1_sel:BYTE_1
	v_or_b32_sdwa v39, v39, v40 dst_sel:DWORD dst_unused:UNUSED_PAD src0_sel:DWORD src1_sel:BYTE_1
	v_add_u16_e32 v38, 0xe000, v38
	v_add_u16_sdwa v39, v39, s17 dst_sel:WORD_1 dst_unused:UNUSED_PAD src0_sel:DWORD src1_sel:DWORD
	v_or_b32_e32 v40, v38, v39
	v_lshlrev_b16_e32 v39, 8, v0
	v_and_b32_e32 v38, 0x3f00, v0
	v_add_u16_e32 v39, 0xe000, v39
	v_or_b32_sdwa v38, v38, v39 dst_sel:DWORD dst_unused:UNUSED_PAD src0_sel:DWORD src1_sel:BYTE_1
	v_add_u16_e32 v41, 0xe000, v38
	v_and_b32_sdwa v38, v0, s16 dst_sel:DWORD dst_unused:UNUSED_PAD src0_sel:WORD_1 src1_sel:DWORD
	v_lshlrev_b16_sdwa v0, v184, v0 dst_sel:DWORD dst_unused:UNUSED_PAD src0_sel:DWORD src1_sel:WORD_1
	v_add_u16_e32 v0, 0xe000, v0
	buffer_load_dword v1, off, s[24:27], 0 offset:64 ; 4-byte Folded Reload
	v_or_b32_sdwa v0, v38, v0 dst_sel:DWORD dst_unused:UNUSED_PAD src0_sel:DWORD src1_sel:BYTE_1
	v_add_u16_sdwa v0, v0, s17 dst_sel:WORD_1 dst_unused:UNUSED_PAD src0_sel:DWORD src1_sel:DWORD
	v_or_b32_e32 v0, v41, v0
	v_add_u32_e32 v41, 0x5960, v122
	ds_write2_b32 v41, v40, v0 offset1:16
	buffer_load_dword v0, off, s[24:27], 0 offset:68 ; 4-byte Folded Reload
	v_add_u32_e32 v44, v53, v155
	v_mad_i64_i32 v[44:45], s[0:1], v44, 36, v[51:52]
	s_waitcnt vmcnt(1)
	v_mad_u64_u32 v[38:39], s[0:1], v1, s5, v[36:37]
	v_add_co_u32_e32 v40, vcc, v38, v119
	s_waitcnt vmcnt(0)
	v_mad_u64_u32 v[36:37], s[0:1], v0, s5, v[36:37]
	v_addc_co_u32_e32 v41, vcc, 0, v39, vcc
	v_add_co_u32_e32 v38, vcc, v38, v120
	v_addc_co_u32_e32 v39, vcc, 0, v39, vcc
	v_add_co_u32_e32 v42, vcc, v36, v119
	;; [unrolled: 2-line block ×3, first 2 shown]
	v_addc_co_u32_e32 v37, vcc, 0, v37, vcc
	global_load_dword v0, v[40:41], off
	global_load_dword v50, v[38:39], off offset:128
	global_load_dword v55, v[42:43], off
	global_load_dword v56, v[36:37], off offset:128
	buffer_load_dword v1, off, s[24:27], 0 offset:72 ; 4-byte Folded Reload
	v_ashrrev_i32_e32 v38, v121, v48
	v_and_b32_e32 v36, 0xf0f0f0f, v47
	v_lshlrev_b32_e32 v39, 4, v38
	v_and_or_b32 v36, v39, s15, v36
	v_lshlrev_b16_e32 v40, 8, v36
	v_and_b32_e32 v39, 0x3f00, v36
	v_add_u16_e32 v40, 0xe000, v40
	v_or_b32_sdwa v39, v39, v40 dst_sel:DWORD dst_unused:UNUSED_PAD src0_sel:DWORD src1_sel:BYTE_1
	v_and_b32_sdwa v40, v36, s16 dst_sel:DWORD dst_unused:UNUSED_PAD src0_sel:WORD_1 src1_sel:DWORD
	v_lshlrev_b16_sdwa v36, v184, v36 dst_sel:DWORD dst_unused:UNUSED_PAD src0_sel:DWORD src1_sel:WORD_1
	v_lshrrev_b32_e32 v37, 4, v47
	v_add_u16_e32 v36, 0xe000, v36
	v_and_b32_e32 v37, 0xf0f0f0f, v37
	v_or_b32_sdwa v36, v40, v36 dst_sel:DWORD dst_unused:UNUSED_PAD src0_sel:DWORD src1_sel:BYTE_1
	v_add_u16_e32 v39, 0xe000, v39
	v_add_u16_sdwa v36, v36, s17 dst_sel:WORD_1 dst_unused:UNUSED_PAD src0_sel:DWORD src1_sel:DWORD
	v_and_or_b32 v37, v38, s15, v37
	v_or_b32_e32 v36, v39, v36
	v_lshlrev_b16_e32 v39, 8, v37
	v_and_b32_e32 v38, 0x3f00, v37
	v_add_u16_e32 v39, 0xe000, v39
	v_or_b32_sdwa v38, v38, v39 dst_sel:DWORD dst_unused:UNUSED_PAD src0_sel:DWORD src1_sel:BYTE_1
	v_and_b32_sdwa v39, v37, s16 dst_sel:DWORD dst_unused:UNUSED_PAD src0_sel:WORD_1 src1_sel:DWORD
	v_lshlrev_b16_sdwa v37, v184, v37 dst_sel:DWORD dst_unused:UNUSED_PAD src0_sel:DWORD src1_sel:WORD_1
	v_add_u16_e32 v37, 0xe000, v37
	v_or_b32_sdwa v37, v39, v37 dst_sel:DWORD dst_unused:UNUSED_PAD src0_sel:DWORD src1_sel:BYTE_1
	v_add_u16_e32 v38, 0xe000, v38
	v_add_u16_sdwa v37, v37, s17 dst_sel:WORD_1 dst_unused:UNUSED_PAD src0_sel:DWORD src1_sel:DWORD
	v_or_b32_e32 v37, v38, v37
	v_add_u32_e32 v38, 0x6180, v122
	ds_write2_b32 v38, v36, v37 offset1:16
	v_ashrrev_i32_e32 v38, v121, v49
	v_and_b32_e32 v36, 0xf0f0f0f, v46
	v_lshlrev_b32_e32 v39, 4, v38
	v_and_or_b32 v36, v39, s15, v36
	v_lshlrev_b16_e32 v40, 8, v36
	v_and_b32_e32 v39, 0x3f00, v36
	v_add_u16_e32 v40, 0xe000, v40
	v_lshrrev_b32_e32 v37, 4, v46
	v_or_b32_sdwa v39, v39, v40 dst_sel:DWORD dst_unused:UNUSED_PAD src0_sel:DWORD src1_sel:BYTE_1
	v_and_b32_sdwa v40, v36, s16 dst_sel:DWORD dst_unused:UNUSED_PAD src0_sel:WORD_1 src1_sel:DWORD
	v_lshlrev_b16_sdwa v36, v184, v36 dst_sel:DWORD dst_unused:UNUSED_PAD src0_sel:DWORD src1_sel:WORD_1
	v_and_b32_e32 v37, 0xf0f0f0f, v37
	v_add_u16_e32 v36, 0xe000, v36
	v_or_b32_sdwa v36, v40, v36 dst_sel:DWORD dst_unused:UNUSED_PAD src0_sel:DWORD src1_sel:BYTE_1
	v_and_or_b32 v58, v38, s15, v37
	v_add_u16_e32 v39, 0xe000, v39
	v_add_u16_sdwa v36, v36, s17 dst_sel:WORD_1 dst_unused:UNUSED_PAD src0_sel:DWORD src1_sel:DWORD
	v_lshlrev_b16_e32 v37, 8, v58
	v_or_b32_e32 v57, v39, v36
	v_and_b32_e32 v36, 0x3f00, v58
	v_add_u16_e32 v37, 0xe000, v37
	v_or_b32_sdwa v36, v36, v37 dst_sel:DWORD dst_unused:UNUSED_PAD src0_sel:DWORD src1_sel:BYTE_1
	v_add_u16_e32 v59, 0xe000, v36
	v_add_u32_e32 v42, v53, v154
	v_mad_i64_i32 v[42:43], s[0:1], v42, 36, v[51:52]
	v_add_u32_e32 v46, v53, v156
	v_mad_i64_i32 v[46:47], s[0:1], v46, 36, v[51:52]
	s_waitcnt vmcnt(0)
	v_mad_u64_u32 v[36:37], s[0:1], v1, s5, v[34:35]
	buffer_load_dword v1, off, s[24:27], 0 offset:80 ; 4-byte Folded Reload
	s_waitcnt vmcnt(0)
	v_mad_u64_u32 v[38:39], s[0:1], v1, s5, v[34:35]
	buffer_load_dword v1, off, s[24:27], 0 offset:88 ; 4-byte Folded Reload
	v_add_co_u32_e32 v38, vcc, v38, v142
	v_addc_co_u32_e32 v39, vcc, 0, v39, vcc
	s_waitcnt vmcnt(0)
	v_mad_u64_u32 v[34:35], s[0:1], v1, s5, v[34:35]
	v_add_co_u32_e32 v34, vcc, v34, v142
	v_addc_co_u32_e32 v35, vcc, 0, v35, vcc
	global_load_ushort v60, v[36:37], off offset:208
	global_load_dword v61, v[38:39], off offset:192
	global_load_dword v62, v[34:35], off offset:192
	s_nop 0
	buffer_load_dword v34, off, s[24:27], 0 offset:96 ; 4-byte Folded Reload
	buffer_load_dword v35, off, s[24:27], 0 offset:100 ; 4-byte Folded Reload
	buffer_load_dword v1, off, s[24:27], 0  ; 4-byte Folded Reload
	v_add_u32_e32 v36, v53, v255
	v_mad_i64_i32 v[36:37], s[0:1], v36, 36, v[51:52]
	s_waitcnt vmcnt(2)
	v_add_u32_e32 v193, s18, v34
	v_add_u32_e32 v34, v53, v254
	s_waitcnt vmcnt(0)
	v_add_u32_e32 v38, v53, v1
	buffer_load_dword v1, off, s[24:27], 0 offset:4 ; 4-byte Folded Reload
	v_mad_u64_u32 v[48:49], s[0:1], v193, 36, s[2:3]
	v_mad_i64_i32 v[34:35], s[0:1], v34, 36, v[51:52]
	v_mad_i64_i32 v[38:39], s[0:1], v38, 36, v[51:52]
	s_waitcnt vmcnt(0)
	v_add_u32_e32 v40, v53, v1
	v_mad_i64_i32 v[40:41], s[0:1], v40, 36, v[51:52]
	v_add_u32_e32 v53, v53, v157
	v_mad_i64_i32 v[53:54], s[0:1], v53, 36, v[51:52]
	global_load_dword v48, v[48:49], off
	s_nop 0
	global_load_dword v34, v[34:35], off offset:4
	s_nop 0
	global_load_dword v35, v[36:37], off offset:4
	;; [unrolled: 2-line block ×3, first 2 shown]
	global_load_dword v37, v[40:41], off offset:4
	s_nop 0
	global_load_dword v38, v[42:43], off offset:4
	global_load_dword v39, v[44:45], off offset:4
	;; [unrolled: 1-line block ×4, first 2 shown]
	v_lshlrev_b16_sdwa v43, v184, v58 dst_sel:DWORD dst_unused:UNUSED_PAD src0_sel:DWORD src1_sel:WORD_1
	v_and_b32_sdwa v42, v58, s16 dst_sel:DWORD dst_unused:UNUSED_PAD src0_sel:WORD_1 src1_sel:DWORD
	v_add_u16_e32 v43, 0xe000, v43
	v_or_b32_sdwa v42, v42, v43 dst_sel:DWORD dst_unused:UNUSED_PAD src0_sel:DWORD src1_sel:BYTE_1
	v_add_u16_sdwa v42, v42, s17 dst_sel:WORD_1 dst_unused:UNUSED_PAD src0_sel:DWORD src1_sel:DWORD
	v_or_b32_e32 v42, v59, v42
	v_add_u32_e32 v43, 0x69a0, v122
	ds_write2_b32 v43, v57, v42 offset1:16
	v_ashrrev_i32_e32 v43, v121, v50
	v_and_b32_e32 v42, 0xf0f0f0f, v0
	v_lshlrev_b32_e32 v44, 4, v43
	v_and_or_b32 v42, v44, s15, v42
	v_lshlrev_b16_e32 v45, 8, v42
	v_and_b32_e32 v44, 0x3f00, v42
	v_add_u16_e32 v45, 0xe000, v45
	v_or_b32_sdwa v44, v44, v45 dst_sel:DWORD dst_unused:UNUSED_PAD src0_sel:DWORD src1_sel:BYTE_1
	v_and_b32_sdwa v45, v42, s16 dst_sel:DWORD dst_unused:UNUSED_PAD src0_sel:WORD_1 src1_sel:DWORD
	v_lshlrev_b16_sdwa v42, v184, v42 dst_sel:DWORD dst_unused:UNUSED_PAD src0_sel:DWORD src1_sel:WORD_1
	v_lshrrev_b32_e32 v0, 4, v0
	v_add_u16_e32 v42, 0xe000, v42
	v_and_b32_e32 v0, 0xf0f0f0f, v0
	v_or_b32_sdwa v42, v45, v42 dst_sel:DWORD dst_unused:UNUSED_PAD src0_sel:DWORD src1_sel:BYTE_1
	v_add_u16_e32 v44, 0xe000, v44
	v_add_u16_sdwa v42, v42, s17 dst_sel:WORD_1 dst_unused:UNUSED_PAD src0_sel:DWORD src1_sel:DWORD
	v_and_or_b32 v0, v43, s15, v0
	v_or_b32_e32 v42, v44, v42
	v_lshlrev_b16_e32 v44, 8, v0
	v_and_b32_e32 v43, 0x3f00, v0
	v_add_u16_e32 v44, 0xe000, v44
	v_or_b32_sdwa v43, v43, v44 dst_sel:DWORD dst_unused:UNUSED_PAD src0_sel:DWORD src1_sel:BYTE_1
	v_and_b32_sdwa v44, v0, s16 dst_sel:DWORD dst_unused:UNUSED_PAD src0_sel:WORD_1 src1_sel:DWORD
	v_lshlrev_b16_sdwa v0, v184, v0 dst_sel:DWORD dst_unused:UNUSED_PAD src0_sel:DWORD src1_sel:WORD_1
	v_add_u16_e32 v0, 0xe000, v0
	v_or_b32_sdwa v0, v44, v0 dst_sel:DWORD dst_unused:UNUSED_PAD src0_sel:DWORD src1_sel:BYTE_1
	v_add_u16_e32 v43, 0xe000, v43
	v_add_u16_sdwa v0, v0, s17 dst_sel:WORD_1 dst_unused:UNUSED_PAD src0_sel:DWORD src1_sel:DWORD
	v_or_b32_e32 v0, v43, v0
	v_add_u32_e32 v43, 0x71c0, v122
	ds_write2_b32 v43, v42, v0 offset1:16
	v_ashrrev_i32_e32 v43, v121, v56
	v_and_b32_e32 v0, 0xf0f0f0f, v55
	v_lshlrev_b32_e32 v44, 4, v43
	v_and_or_b32 v0, v44, s15, v0
	v_lshlrev_b16_e32 v45, 8, v0
	v_and_b32_e32 v44, 0x3f00, v0
	v_add_u16_e32 v45, 0xe000, v45
	v_or_b32_sdwa v44, v44, v45 dst_sel:DWORD dst_unused:UNUSED_PAD src0_sel:DWORD src1_sel:BYTE_1
	v_and_b32_sdwa v45, v0, s16 dst_sel:DWORD dst_unused:UNUSED_PAD src0_sel:WORD_1 src1_sel:DWORD
	v_lshlrev_b16_sdwa v0, v184, v0 dst_sel:DWORD dst_unused:UNUSED_PAD src0_sel:DWORD src1_sel:WORD_1
	v_lshrrev_b32_e32 v42, 4, v55
	v_add_u16_e32 v0, 0xe000, v0
	v_and_b32_e32 v42, 0xf0f0f0f, v42
	v_or_b32_sdwa v0, v45, v0 dst_sel:DWORD dst_unused:UNUSED_PAD src0_sel:DWORD src1_sel:BYTE_1
	v_add_u16_e32 v44, 0xe000, v44
	v_add_u16_sdwa v0, v0, s17 dst_sel:WORD_1 dst_unused:UNUSED_PAD src0_sel:DWORD src1_sel:DWORD
	v_and_or_b32 v42, v43, s15, v42
	v_or_b32_e32 v0, v44, v0
	v_lshlrev_b16_e32 v44, 8, v42
	v_and_b32_e32 v43, 0x3f00, v42
	v_add_u16_e32 v44, 0xe000, v44
	v_or_b32_sdwa v43, v43, v44 dst_sel:DWORD dst_unused:UNUSED_PAD src0_sel:DWORD src1_sel:BYTE_1
	v_and_b32_sdwa v44, v42, s16 dst_sel:DWORD dst_unused:UNUSED_PAD src0_sel:WORD_1 src1_sel:DWORD
	v_lshlrev_b16_sdwa v42, v184, v42 dst_sel:DWORD dst_unused:UNUSED_PAD src0_sel:DWORD src1_sel:WORD_1
	v_add_u16_e32 v42, 0xe000, v42
	v_or_b32_sdwa v42, v44, v42 dst_sel:DWORD dst_unused:UNUSED_PAD src0_sel:DWORD src1_sel:BYTE_1
	v_add_u16_e32 v43, 0xe000, v43
	v_add_u16_sdwa v42, v42, s17 dst_sel:WORD_1 dst_unused:UNUSED_PAD src0_sel:DWORD src1_sel:DWORD
	v_or_b32_e32 v42, v43, v42
	v_add_u32_e32 v43, 0x79e0, v122
	ds_write2_b32 v43, v0, v42 offset1:16
	buffer_load_dword v0, off, s[24:27], 0 offset:76 ; 4-byte Folded Reload
	v_cvt_f32_f16_e32 v44, v60
	s_mov_b64 s[0:1], -1
	s_waitcnt vmcnt(0)
	ds_write_b32 v0, v44
	buffer_load_dword v0, off, s[24:27], 0 offset:84 ; 4-byte Folded Reload
	s_waitcnt vmcnt(0)
	ds_write_b32 v0, v61
	buffer_load_dword v0, off, s[24:27], 0 offset:92 ; 4-byte Folded Reload
	s_waitcnt vmcnt(0)
	ds_write_b32 v0, v62
	ds_write_b32 v176, v34
	;; [unrolled: 1-line block ×6, first 2 shown]
	v_cvt_f32_f16_e32 v0, v48
	ds_write_b32 v181, v39
	ds_write_b32 v182, v40
	;; [unrolled: 1-line block ×4, first 2 shown]
	s_waitcnt lgkmcnt(0)
	s_barrier
	ds_read_b32 v194, v158
	ds_read_b32 v195, v160 offset:128
	ds_read_b32 v196, v162 offset:256
	;; [unrolled: 1-line block ×3, first 2 shown]
	s_waitcnt lgkmcnt(3)
	v_mov_b32_e32 v198, v194
	v_mov_b32_e32 v199, v194
	v_mov_b32_e32 v200, v194
	s_waitcnt lgkmcnt(2)
	v_mov_b32_e32 v201, v195
	v_mov_b32_e32 v202, v195
	v_mov_b32_e32 v203, v195
	;; [unrolled: 4-line block ×4, first 2 shown]
.LBB135_6:                              ;   Parent Loop BB135_5 Depth=1
                                        ; =>  This Inner Loop Header: Depth=2
	s_lshl_b32 s19, s20, 1
	v_or_b32_e32 v0, s19, v139
	s_lshr_b32 s21, s20, 1
	s_lshl_b32 s20, s20, 3
	v_lshlrev_b32_e32 v35, 2, v0
	v_lshrrev_b32_e32 v34, 1, v0
	v_add_u32_e32 v0, s20, v172
	ds_read_b128 v[123:126], v35 offset:33280
	ds_read_b128 v[130:133], v35 offset:33296
	;; [unrolled: 1-line block ×4, first 2 shown]
	ds_read2_b32 v[103:104], v0 offset0:6 offset1:7
	ds_read2_b32 v[107:108], v0 offset0:4 offset1:5
	;; [unrolled: 1-line block ×3, first 2 shown]
	ds_read2_b32 v[105:106], v0 offset1:1
	ds_read2_b32 v[109:110], v0 offset0:14 offset1:15
	ds_read2_b32 v[113:114], v0 offset0:12 offset1:13
	;; [unrolled: 1-line block ×4, first 2 shown]
	v_add_u32_e32 v36, s20, v173
	v_add_u32_e32 v45, s20, v174
	;; [unrolled: 1-line block ×3, first 2 shown]
	ds_read2_b32 v[87:88], v36 offset0:6 offset1:7
	ds_read2_b32 v[91:92], v36 offset0:4 offset1:5
	;; [unrolled: 1-line block ×3, first 2 shown]
	ds_read2_b32 v[89:90], v36 offset1:1
	ds_read2_b32 v[93:94], v36 offset0:14 offset1:15
	ds_read2_b32 v[97:98], v36 offset0:12 offset1:13
	s_waitcnt lgkmcnt(6)
	v_dot4_i32_i8 v0, v115, v143, 0
	v_dot4_i32_i8 v0, v116, v144, v0
	v_dot4_i32_i8 v0, v111, v145, v0
	v_dot4_i32_i8 v37, v112, v146, v0
	v_dot4_i32_i8 v0, v107, v130, 0
	v_dot4_i32_i8 v0, v108, v131, v0
	ds_read2_b32 v[95:96], v36 offset0:10 offset1:11
	ds_read2_b32 v[99:100], v36 offset0:8 offset1:9
	ds_read2_b32 v[71:72], v45 offset0:6 offset1:7
	ds_read2_b32 v[75:76], v45 offset0:4 offset1:5
	ds_read2_b32 v[69:70], v45 offset0:2 offset1:3
	ds_read2_b32 v[73:74], v45 offset1:1
	ds_read2_b32 v[77:78], v45 offset0:14 offset1:15
	ds_read2_b32 v[81:82], v45 offset0:12 offset1:13
	;; [unrolled: 1-line block ×7, first 2 shown]
	ds_read2_b32 v[55:56], v117 offset1:1
	ds_read2_b32 v[65:66], v117 offset0:14 offset1:15
	ds_read2_b32 v[67:68], v117 offset0:12 offset1:13
	v_dot4_i32_i8 v0, v103, v132, v0
	v_dot4_i32_i8 v40, v104, v133, v0
	;; [unrolled: 1-line block ×7, first 2 shown]
	s_waitcnt lgkmcnt(14)
	v_dot4_i32_i8 v0, v97, v61, 0
	s_waitcnt lgkmcnt(8)
	v_dot4_i32_i8 v44, v81, v61, 0
	;; [unrolled: 2-line block ×3, first 2 shown]
	v_dot4_i32_i8 v35, v114, v62, v35
	v_dot4_i32_i8 v0, v98, v62, v0
	v_dot4_i32_i8 v44, v82, v62, v44
	v_dot4_i32_i8 v50, v68, v62, v50
	v_dot4_i32_i8 v35, v109, v63, v35
	v_dot4_i32_i8 v0, v93, v63, v0
	v_dot4_i32_i8 v44, v77, v63, v44
	v_dot4_i32_i8 v50, v65, v63, v50
	v_dot4_i32_i8 v35, v110, v64, v35
	v_dot4_i32_i8 v0, v94, v64, v0
	v_dot4_i32_i8 v44, v78, v64, v44
	v_dot4_i32_i8 v50, v66, v64, v50
	ds_read2_b32 v[61:62], v117 offset0:10 offset1:11
	ds_read2_b32 v[63:64], v117 offset0:8 offset1:9
	v_dot4_i32_i8 v42, v89, v123, 0
	v_dot4_i32_i8 v48, v73, v123, 0
	;; [unrolled: 1-line block ×7, first 2 shown]
	s_waitcnt lgkmcnt(0)
	v_dot4_i32_i8 v117, v63, v143, 0
	v_dot4_i32_i8 v123, v56, v124, v123
	v_or_b32_e32 v124, s19, v165
	v_dot4_i32_i8 v36, v100, v144, v36
	v_dot4_i32_i8 v42, v85, v125, v42
	;; [unrolled: 1-line block ×6, first 2 shown]
	v_lshlrev_b32_e32 v125, 2, v124
	v_dot4_i32_i8 v36, v95, v145, v36
	v_dot4_i32_i8 v42, v86, v126, v42
	;; [unrolled: 1-line block ×6, first 2 shown]
	v_lshrrev_b32_e32 v145, 1, v124
	ds_read_b128 v[210:213], v125 offset:33280
	ds_read_b128 v[214:217], v125 offset:33296
	;; [unrolled: 1-line block ×4, first 2 shown]
	v_dot4_i32_i8 v36, v96, v146, v36
	v_dot4_i32_i8 v45, v80, v146, v45
	;; [unrolled: 1-line block ×4, first 2 shown]
	s_waitcnt lgkmcnt(0)
	v_dot4_i32_i8 v128, v113, v124, 0
	v_dot4_i32_i8 v128, v114, v125, v128
	;; [unrolled: 1-line block ×67, first 2 shown]
	v_or_b32_e32 v210, s19, v166
	v_dot4_i32_i8 v130, v79, v220, v130
	v_dot4_i32_i8 v131, v69, v212, v131
	;; [unrolled: 1-line block ×4, first 2 shown]
	v_lshlrev_b32_e32 v222, 2, v210
	v_dot4_i32_i8 v130, v80, v221, v130
	v_dot4_i32_i8 v131, v70, v213, v131
	;; [unrolled: 1-line block ×4, first 2 shown]
	v_lshrrev_b32_e32 v242, 1, v210
	ds_read_b128 v[210:213], v222 offset:33280
	ds_read_b128 v[214:217], v222 offset:33296
	;; [unrolled: 1-line block ×4, first 2 shown]
	s_add_i32 s21, s21, 0xa200
	v_lshlrev_b32_e32 v188, 2, v149
	v_lshlrev_b32_e32 v189, 2, v147
	v_add3_u32 v41, s21, v188, v189
	s_waitcnt lgkmcnt(0)
	v_dot4_i32_i8 v226, v113, v222, 0
	v_dot4_i32_i8 v226, v114, v223, v226
	;; [unrolled: 1-line block ×55, first 2 shown]
	v_or_b32_e32 v210, s19, v167
	v_dot4_i32_i8 v226, v69, v212, v226
	v_dot4_i32_i8 v222, v65, v224, v222
	;; [unrolled: 1-line block ×3, first 2 shown]
	v_lshlrev_b32_e32 v214, 2, v210
	v_dot4_i32_i8 v136, v70, v213, v226
	v_dot4_i32_i8 v137, v66, v225, v222
	v_lshrrev_b32_e32 v215, 1, v210
	ds_read_b128 v[210:213], v214 offset:33280
	ds_read_b128 v[222:225], v214 offset:33296
	;; [unrolled: 1-line block ×4, first 2 shown]
	ds_read_b64 v[238:239], v34 offset:43584
	ds_read_b32 v34, v41
	v_dot4_i32_i8 v218, v63, v218, 0
	v_dot4_i32_i8 v218, v64, v219, v218
	v_dot4_i32_i8 v218, v61, v220, v218
	v_dot4_i32_i8 v129, v62, v221, v218
	s_waitcnt lgkmcnt(0)
	v_bfe_i32 v228, v34, 0, 8
	v_bfe_i32 v229, v34, 8, 8
	v_ashrrev_i32_e32 v226, 24, v34
	v_bfe_i32 v227, v34, 16, 8
	v_dot4_i32_i8 v34, v113, v234, 0
	v_dot4_i32_i8 v34, v114, v235, v34
	;; [unrolled: 1-line block ×11, first 2 shown]
	ds_read_b64 v[240:241], v145 offset:43584
	ds_read_b64 v[242:243], v242 offset:43584
	;; [unrolled: 1-line block ×3, first 2 shown]
	v_dot4_i32_i8 v145, v104, v225, v34
	v_mul_lo_u32 v34, v146, v229
	v_mul_lo_u32 v41, v43, v228
	;; [unrolled: 1-line block ×3, first 2 shown]
	v_dot4_i32_i8 v146, v105, v210, 0
	v_dot4_i32_i8 v146, v106, v211, v146
	;; [unrolled: 1-line block ×3, first 2 shown]
	v_lshlrev_b32_e32 v190, 2, v159
	v_lshlrev_b32_e32 v191, 2, v161
	;; [unrolled: 1-line block ×3, first 2 shown]
	v_dot4_i32_i8 v214, v102, v213, v146
	v_add3_u32 v38, s21, v190, v185
	v_add3_u32 v46, s21, v191, v186
	;; [unrolled: 1-line block ×3, first 2 shown]
	v_mad_u64_u32 v[214:215], s[20:21], v214, v228, v[43:44]
	v_mad_u64_u32 v[215:216], s[20:21], v144, v228, v[34:35]
	v_mul_lo_u32 v145, v249, v228
	v_mad_u64_u32 v[40:41], s[20:21], v40, v229, v[41:42]
	v_cvt_f32_i32_e32 v41, v214
	v_cvt_f32_i32_e32 v34, v215
	v_mad_u64_u32 v[145:146], s[20:21], v248, v229, v[145:146]
	s_waitcnt lgkmcnt(0)
	v_fma_f32 v146, v244, v41, 0
	v_mul_lo_u32 v41, v134, v226
	v_fma_f32 v215, v240, v34, 0
	v_mul_lo_u32 v34, v247, v227
	v_mul_lo_u32 v37, v37, v227
	v_mad_u64_u32 v[143:144], s[20:21], v143, v227, v[41:42]
	v_cvt_f32_i32_e32 v43, v145
	v_mad_u64_u32 v[144:145], s[20:21], v35, v226, v[37:38]
	v_mad_u64_u32 v[34:35], s[20:21], v246, v226, v[34:35]
	v_fma_f32 v43, v242, v43, 0
	v_cvt_f32_i32_e32 v40, v40
	v_cvt_f32_i32_e32 v34, v34
	;; [unrolled: 1-line block ×3, first 2 shown]
	s_and_b64 vcc, exec, s[0:1]
	v_fma_f32 v214, v238, v40, 0
	v_fmac_f32_e32 v43, v243, v34
	v_dot4_i32_i8 v34, v97, v234, 0
	v_dot4_i32_i8 v34, v98, v235, v34
	;; [unrolled: 1-line block ×3, first 2 shown]
	v_fma_f32 v21, v200, v43, v21
	v_dot4_i32_i8 v43, v94, v237, v34
	v_dot4_i32_i8 v34, v99, v230, 0
	v_mul_lo_u32 v40, v217, v226
	v_dot4_i32_i8 v34, v100, v231, v34
	v_dot4_i32_i8 v34, v95, v232, v34
	;; [unrolled: 1-line block ×5, first 2 shown]
	v_mad_u64_u32 v[40:41], s[20:21], v218, v227, v[40:41]
	v_dot4_i32_i8 v34, v87, v224, v34
	v_fmac_f32_e32 v214, v239, v37
	v_dot4_i32_i8 v37, v88, v225, v34
	v_dot4_i32_i8 v34, v89, v210, 0
	;; [unrolled: 1-line block ×4, first 2 shown]
	v_cvt_f32_i32_e32 v35, v40
	v_cvt_f32_i32_e32 v40, v143
	v_dot4_i32_i8 v143, v86, v213, v34
	ds_read_b32 v34, v38
	v_fmac_f32_e32 v146, v245, v35
	v_fmac_f32_e32 v215, v241, v40
	v_fma_f32 v19, v198, v214, v19
	v_fmac_f32_e32 v18, v194, v215
	s_waitcnt lgkmcnt(0)
	v_bfe_i32 v220, v34, 0, 8
	v_bfe_i32 v221, v34, 8, 8
	v_mul_lo_u32 v37, v37, v221
	v_mul_lo_u32 v38, v253, v220
	;; [unrolled: 1-line block ×3, first 2 shown]
	v_ashrrev_i32_e32 v218, 24, v34
	v_bfe_i32 v219, v34, 16, 8
	v_mad_u64_u32 v[40:41], s[20:21], v252, v221, v[38:39]
	v_mad_u64_u32 v[37:38], s[20:21], v143, v220, v[37:38]
	v_mul_lo_u32 v34, v141, v221
	v_mad_u64_u32 v[38:39], s[20:21], v39, v221, v[35:36]
	v_cvt_f32_i32_e32 v37, v37
	v_mad_u64_u32 v[34:35], s[20:21], v140, v220, v[34:35]
	v_cvt_f32_i32_e32 v35, v38
	v_cvt_f32_i32_e32 v38, v40
	v_fma_f32 v42, v244, v37, 0
	v_mul_lo_u32 v37, v133, v218
	v_cvt_f32_i32_e32 v34, v34
	v_fma_f32 v41, v242, v38, 0
	v_fma_f32 v140, v238, v35, 0
	v_mul_lo_u32 v35, v43, v218
	v_mul_lo_u32 v36, v36, v219
	v_mad_u64_u32 v[37:38], s[20:21], v138, v219, v[37:38]
	v_fma_f32 v141, v240, v34, 0
	v_mul_lo_u32 v34, v251, v219
	v_mad_u64_u32 v[38:39], s[20:21], v0, v218, v[36:37]
	v_mad_u64_u32 v[35:36], s[20:21], v134, v219, v[35:36]
	v_cvt_f32_i32_e32 v36, v37
	v_fma_f32 v20, v199, v146, v20
	v_mad_u64_u32 v[39:40], s[20:21], v250, v218, v[34:35]
	v_cvt_f32_i32_e32 v34, v35
	v_cvt_f32_i32_e32 v35, v38
	;; [unrolled: 1-line block ×3, first 2 shown]
	v_fmac_f32_e32 v141, v241, v36
	v_fmac_f32_e32 v42, v245, v34
	;; [unrolled: 1-line block ×4, first 2 shown]
	v_dot4_i32_i8 v0, v81, v234, 0
	v_dot4_i32_i8 v0, v82, v235, v0
	;; [unrolled: 1-line block ×7, first 2 shown]
	v_fma_f32 v33, v203, v41, v33
	v_dot4_i32_i8 v41, v80, v233, v0
	v_dot4_i32_i8 v0, v75, v222, 0
	;; [unrolled: 1-line block ×9, first 2 shown]
	ds_read_b32 v0, v46
	v_fma_f32 v32, v202, v42, v32
	v_fma_f32 v31, v201, v140, v31
	v_fmac_f32_e32 v30, v195, v141
	s_mov_b64 s[0:1], 0
	s_waitcnt lgkmcnt(0)
	v_bfe_i32 v216, v0, 0, 8
	v_mul_lo_u32 v36, v136, v216
	v_bfe_i32 v217, v0, 8, 8
	v_mul_lo_u32 v35, v35, v217
	v_ashrrev_i32_e32 v214, 24, v0
	v_mad_u64_u32 v[36:37], s[20:21], v135, v217, v[36:37]
	v_bfe_i32 v215, v0, 16, 8
	v_mul_lo_u32 v0, v132, v217
	v_mul_lo_u32 v34, v48, v216
	v_mad_u64_u32 v[37:38], s[20:21], v38, v216, v[35:36]
	v_cvt_f32_i32_e32 v36, v36
	v_mad_u64_u32 v[38:39], s[20:21], v131, v216, v[0:1]
	v_mad_u64_u32 v[34:35], s[20:21], v47, v217, v[34:35]
	v_cvt_f32_i32_e32 v35, v37
	v_fma_f32 v42, v242, v36, 0
	v_mul_lo_u32 v36, v128, v214
	v_cvt_f32_i32_e32 v0, v38
	v_fma_f32 v43, v244, v35, 0
	v_mul_lo_u32 v35, v45, v215
	v_mad_u64_u32 v[36:37], s[20:21], v130, v215, v[36:37]
	v_fma_f32 v47, v240, v0, 0
	v_mul_lo_u32 v0, v255, v215
	v_mad_u64_u32 v[37:38], s[20:21], v44, v214, v[35:36]
	v_cvt_f32_i32_e32 v34, v34
	v_mad_u64_u32 v[38:39], s[20:21], v254, v214, v[0:1]
	v_cvt_f32_i32_e32 v36, v36
	v_fma_f32 v46, v238, v34, 0
	v_cvt_f32_i32_e32 v0, v38
	v_mul_lo_u32 v34, v40, v214
	v_fmac_f32_e32 v47, v241, v36
	v_fmac_f32_e32 v26, v196, v47
	;; [unrolled: 1-line block ×3, first 2 shown]
	v_dot4_i32_i8 v0, v67, v234, 0
	v_dot4_i32_i8 v0, v68, v235, v0
	v_dot4_i32_i8 v0, v65, v236, v0
	v_dot4_i32_i8 v40, v66, v237, v0
	v_dot4_i32_i8 v0, v63, v230, 0
	v_mad_u64_u32 v[34:35], s[20:21], v41, v215, v[34:35]
	v_dot4_i32_i8 v0, v64, v231, v0
	v_cvt_f32_i32_e32 v35, v37
	v_dot4_i32_i8 v0, v61, v232, v0
	v_dot4_i32_i8 v41, v62, v233, v0
	;; [unrolled: 1-line block ×5, first 2 shown]
	v_fmac_f32_e32 v46, v239, v35
	v_dot4_i32_i8 v35, v58, v225, v0
	v_dot4_i32_i8 v0, v55, v210, 0
	;; [unrolled: 1-line block ×5, first 2 shown]
	ds_read_b32 v0, v49
	v_cvt_f32_i32_e32 v34, v34
	v_fma_f32 v29, v206, v42, v29
	v_fma_f32 v27, v204, v46, v27
	s_waitcnt lgkmcnt(0)
	v_bfe_i32 v212, v0, 0, 8
	v_mul_lo_u32 v36, v148, v212
	v_bfe_i32 v213, v0, 8, 8
	v_mul_lo_u32 v35, v35, v213
	v_ashrrev_i32_e32 v210, 24, v0
	v_mad_u64_u32 v[36:37], s[20:21], v1, v213, v[36:37]
	v_bfe_i32 v211, v0, 16, 8
	v_mul_lo_u32 v0, v127, v213
	v_fmac_f32_e32 v43, v245, v34
	v_mul_lo_u32 v34, v123, v212
	v_mad_u64_u32 v[37:38], s[20:21], v38, v212, v[35:36]
	v_mad_u64_u32 v[38:39], s[20:21], v126, v212, v[0:1]
	;; [unrolled: 1-line block ×3, first 2 shown]
	v_cvt_f32_i32_e32 v35, v36
	v_mul_lo_u32 v36, v124, v210
	v_cvt_f32_i32_e32 v0, v38
	v_cvt_f32_i32_e32 v1, v34
	;; [unrolled: 1-line block ×3, first 2 shown]
	v_fma_f32 v42, v242, v35, 0
	v_mul_lo_u32 v35, v117, v211
	v_mad_u64_u32 v[36:37], s[20:21], v125, v211, v[36:37]
	v_fma_f32 v44, v240, v0, 0
	v_mul_lo_u32 v0, v129, v211
	v_fma_f32 v28, v205, v43, v28
	v_fma_f32 v43, v244, v34, 0
	v_mul_lo_u32 v34, v40, v210
	v_fma_f32 v1, v238, v1, 0
	v_mad_u64_u32 v[37:38], s[20:21], v50, v210, v[35:36]
	v_mad_u64_u32 v[38:39], s[20:21], v137, v210, v[0:1]
	;; [unrolled: 1-line block ×3, first 2 shown]
	v_cvt_f32_i32_e32 v0, v38
	v_cvt_f32_i32_e32 v35, v37
	;; [unrolled: 1-line block ×4, first 2 shown]
	v_fmac_f32_e32 v42, v243, v0
	v_fmac_f32_e32 v1, v239, v35
	v_or_b32_e32 v0, s19, v168
	v_fmac_f32_e32 v44, v241, v36
	v_fmac_f32_e32 v43, v245, v34
	v_fma_f32 v23, v207, v1, v23
	v_lshlrev_b32_e32 v1, 2, v0
	v_fma_f32 v25, v209, v42, v25
	v_fma_f32 v24, v208, v43, v24
	v_fmac_f32_e32 v22, v197, v44
	ds_read_b128 v[34:37], v1 offset:33280
	ds_read_b128 v[38:41], v1 offset:33296
	;; [unrolled: 1-line block ×4, first 2 shown]
	v_lshrrev_b32_e32 v127, 1, v0
	s_waitcnt lgkmcnt(0)
	v_dot4_i32_i8 v0, v113, v46, 0
	v_dot4_i32_i8 v0, v114, v47, v0
	;; [unrolled: 1-line block ×64, first 2 shown]
	v_or_b32_e32 v0, s19, v169
	v_lshlrev_b32_e32 v1, 2, v0
	ds_read_b128 v[34:37], v1 offset:33280
	ds_read_b128 v[38:41], v1 offset:33296
	;; [unrolled: 1-line block ×4, first 2 shown]
	v_lshrrev_b32_e32 v133, 1, v0
	s_waitcnt lgkmcnt(0)
	v_dot4_i32_i8 v0, v113, v46, 0
	v_dot4_i32_i8 v0, v114, v47, v0
	;; [unrolled: 1-line block ×64, first 2 shown]
	v_or_b32_e32 v0, s19, v170
	v_lshlrev_b32_e32 v1, 2, v0
	ds_read_b128 v[34:37], v1 offset:33280
	ds_read_b128 v[38:41], v1 offset:33296
	;; [unrolled: 1-line block ×4, first 2 shown]
	v_lshrrev_b32_e32 v134, 1, v0
	v_mul_lo_u32 v50, v50, v226
	s_waitcnt lgkmcnt(2)
	v_dot4_i32_i8 v1, v91, v38, 0
	v_dot4_i32_i8 v1, v92, v39, v1
	;; [unrolled: 1-line block ×8, first 2 shown]
	s_waitcnt lgkmcnt(0)
	v_dot4_i32_i8 v1, v81, v46, 0
	v_dot4_i32_i8 v1, v82, v47, v1
	;; [unrolled: 1-line block ×54, first 2 shown]
	v_or_b32_e32 v1, s19, v171
	v_dot4_i32_i8 v0, v95, v44, v0
	v_lshlrev_b32_e32 v46, 2, v1
	v_dot4_i32_i8 v0, v96, v45, v0
	ds_read_b128 v[34:37], v46 offset:33280
	ds_read_b128 v[38:41], v46 offset:33296
	;; [unrolled: 1-line block ×4, first 2 shown]
	v_lshrrev_b32_e32 v132, 1, v1
	v_mul_lo_u32 v0, v0, v219
	s_waitcnt lgkmcnt(0)
	v_dot4_i32_i8 v1, v113, v46, 0
	v_dot4_i32_i8 v1, v114, v47, v1
	;; [unrolled: 1-line block ×10, first 2 shown]
	v_mul_lo_u32 v115, v131, v228
	v_dot4_i32_i8 v1, v103, v40, v1
	v_dot4_i32_i8 v111, v104, v41, v1
	;; [unrolled: 1-line block ×3, first 2 shown]
	v_mul_lo_u32 v111, v111, v229
	v_dot4_i32_i8 v1, v106, v35, v1
	v_mul_lo_u32 v113, v125, v229
	v_mul_lo_u32 v114, v146, v228
	v_mad_u64_u32 v[115:116], s[20:21], v130, v229, v[115:116]
	v_dot4_i32_i8 v1, v101, v36, v1
	v_dot4_i32_i8 v112, v102, v37, v1
	v_mad_u64_u32 v[111:112], s[20:21], v112, v228, v[111:112]
	v_mad_u64_u32 v[130:131], s[20:21], v145, v229, v[114:115]
	;; [unrolled: 1-line block ×3, first 2 shown]
	ds_read_b64 v[101:102], v127 offset:43584
	ds_read_b64 v[105:106], v133 offset:43584
	ds_read_b64 v[103:104], v134 offset:43584
	ds_read_b64 v[107:108], v132 offset:43584
	v_cvt_f32_i32_e32 v111, v111
	v_cvt_f32_i32_e32 v1, v112
	;; [unrolled: 1-line block ×3, first 2 shown]
	v_mul_lo_u32 v110, v110, v226
	s_waitcnt lgkmcnt(0)
	v_fma_f32 v124, v107, v111, 0
	v_mul_lo_u32 v111, v128, v227
	v_cvt_f32_i32_e32 v113, v115
	v_fma_f32 v125, v101, v112, 0
	v_mul_lo_u32 v112, v144, v227
	v_mad_u64_u32 v[109:110], s[20:21], v109, v227, v[110:111]
	v_fma_f32 v116, v103, v113, 0
	v_mad_u64_u32 v[113:114], s[20:21], v123, v227, v[50:51]
	v_mad_u64_u32 v[110:111], s[20:21], v126, v226, v[111:112]
	v_cvt_f32_i32_e32 v111, v113
	v_fma_f32 v1, v105, v1, 0
	v_cvt_f32_i32_e32 v50, v110
	v_mad_u64_u32 v[114:115], s[20:21], v143, v226, v[112:113]
	v_fmac_f32_e32 v1, v106, v111
	v_fmac_f32_e32 v116, v104, v50
	v_dot4_i32_i8 v50, v99, v42, 0
	v_fmac_f32_e32 v14, v194, v1
	v_dot4_i32_i8 v1, v97, v46, 0
	v_dot4_i32_i8 v50, v100, v43, v50
	;; [unrolled: 1-line block ×14, first 2 shown]
	v_mul_lo_u32 v86, v87, v221
	v_mul_lo_u32 v87, v141, v220
	;; [unrolled: 1-line block ×4, first 2 shown]
	v_dot4_i32_i8 v1, v94, v49, v1
	v_mad_u64_u32 v[87:88], s[20:21], v140, v221, v[87:88]
	v_cvt_f32_i32_e32 v109, v109
	v_cvt_f32_i32_e32 v110, v114
	v_mad_u64_u32 v[88:89], s[20:21], v89, v220, v[86:87]
	v_mad_u64_u32 v[85:86], s[20:21], v244, v221, v[85:86]
	v_cvt_f32_i32_e32 v86, v88
	v_mad_u64_u32 v[89:90], s[20:21], v117, v220, v[50:51]
	v_cvt_f32_i32_e32 v85, v85
	v_cvt_f32_i32_e32 v87, v87
	v_fma_f32 v92, v107, v86, 0
	v_mul_lo_u32 v86, v254, v218
	v_cvt_f32_i32_e32 v50, v89
	v_fma_f32 v91, v103, v87, 0
	v_fma_f32 v94, v101, v85, 0
	v_mul_lo_u32 v85, v243, v219
	v_mad_u64_u32 v[86:87], s[20:21], v255, v219, v[86:87]
	v_fma_f32 v95, v105, v50, 0
	v_mul_lo_u32 v50, v1, v218
	v_mad_u64_u32 v[87:88], s[20:21], v242, v218, v[85:86]
	v_cvt_f32_i32_e32 v85, v86
	v_mad_u64_u32 v[88:89], s[20:21], v93, v219, v[50:51]
	v_mad_u64_u32 v[89:90], s[20:21], v138, v218, v[0:1]
	v_cvt_f32_i32_e32 v1, v88
	v_cvt_f32_i32_e32 v50, v87
	;; [unrolled: 1-line block ×3, first 2 shown]
	v_fmac_f32_e32 v125, v102, v110
	v_fmac_f32_e32 v92, v108, v1
	;; [unrolled: 1-line block ×4, first 2 shown]
	v_dot4_i32_i8 v0, v81, v46, 0
	v_dot4_i32_i8 v0, v82, v47, v0
	;; [unrolled: 1-line block ×16, first 2 shown]
	v_mul_lo_u32 v70, v253, v216
	v_mul_lo_u32 v69, v71, v217
	;; [unrolled: 1-line block ×4, first 2 shown]
	v_mad_u64_u32 v[70:71], s[20:21], v252, v217, v[70:71]
	v_fmac_f32_e32 v124, v108, v109
	v_fmac_f32_e32 v95, v106, v85
	v_mad_u64_u32 v[71:72], s[20:21], v72, v216, v[69:70]
	v_cvt_f32_i32_e32 v70, v70
	v_mad_u64_u32 v[72:73], s[20:21], v232, v217, v[50:51]
	v_mad_u64_u32 v[73:74], s[20:21], v248, v216, v[0:1]
	v_cvt_f32_i32_e32 v69, v71
	v_fma_f32 v75, v103, v70, 0
	v_mul_lo_u32 v70, v246, v214
	v_cvt_f32_i32_e32 v50, v72
	v_cvt_f32_i32_e32 v0, v73
	v_fma_f32 v76, v107, v69, 0
	v_mul_lo_u32 v69, v231, v215
	v_mad_u64_u32 v[70:71], s[20:21], v247, v215, v[70:71]
	v_fma_f32 v78, v101, v50, 0
	v_mul_lo_u32 v50, v1, v214
	v_fma_f32 v79, v105, v0, 0
	v_mul_lo_u32 v0, v251, v215
	v_mad_u64_u32 v[71:72], s[20:21], v230, v214, v[69:70]
	v_mad_u64_u32 v[72:73], s[20:21], v77, v215, v[50:51]
	;; [unrolled: 1-line block ×3, first 2 shown]
	v_cvt_f32_i32_e32 v1, v72
	v_cvt_f32_i32_e32 v50, v71
	v_cvt_f32_i32_e32 v0, v73
	v_cvt_f32_i32_e32 v69, v70
	v_fmac_f32_e32 v76, v108, v1
	v_fmac_f32_e32 v78, v102, v50
	v_fmac_f32_e32 v75, v104, v0
	v_dot4_i32_i8 v0, v67, v46, 0
	v_dot4_i32_i8 v0, v68, v47, v0
	;; [unrolled: 1-line block ×15, first 2 shown]
	v_mul_lo_u32 v36, v241, v212
	v_dot4_i32_i8 v39, v54, v37, v0
	v_mul_lo_u32 v35, v38, v213
	v_mul_lo_u32 v0, v237, v213
	v_mad_u64_u32 v[36:37], s[20:21], v240, v213, v[36:37]
	v_mul_lo_u32 v34, v225, v212
	v_fmac_f32_e32 v79, v106, v69
	v_mad_u64_u32 v[37:38], s[20:21], v39, v212, v[35:36]
	v_cvt_f32_i32_e32 v36, v36
	v_mad_u64_u32 v[34:35], s[20:21], v224, v213, v[34:35]
	v_mad_u64_u32 v[38:39], s[20:21], v236, v212, v[0:1]
	v_cvt_f32_i32_e32 v35, v37
	v_fma_f32 v40, v103, v36, 0
	v_mul_lo_u32 v36, v233, v210
	v_cvt_f32_i32_e32 v0, v38
	v_cvt_f32_i32_e32 v34, v34
	v_fma_f32 v41, v107, v35, 0
	v_mul_lo_u32 v35, v223, v211
	v_mad_u64_u32 v[36:37], s[20:21], v234, v211, v[36:37]
	v_fma_f32 v43, v101, v34, 0
	v_fma_f32 v44, v105, v0, 0
	v_mul_lo_u32 v0, v239, v211
	v_mul_lo_u32 v34, v1, v210
	v_mad_u64_u32 v[37:38], s[20:21], v222, v210, v[35:36]
	v_mad_u64_u32 v[38:39], s[20:21], v238, v210, v[0:1]
	;; [unrolled: 1-line block ×3, first 2 shown]
	v_cvt_f32_i32_e32 v0, v38
	v_cvt_f32_i32_e32 v35, v36
	;; [unrolled: 1-line block ×4, first 2 shown]
	v_fmac_f32_e32 v40, v104, v0
	v_fmac_f32_e32 v44, v106, v35
	;; [unrolled: 1-line block ×4, first 2 shown]
	v_fma_f32 v17, v200, v116, v17
	v_fma_f32 v16, v199, v124, v16
	;; [unrolled: 1-line block ×6, first 2 shown]
	v_fmac_f32_e32 v10, v195, v95
	v_fma_f32 v9, v206, v75, v9
	v_fma_f32 v8, v205, v76, v8
	;; [unrolled: 1-line block ×3, first 2 shown]
	v_fmac_f32_e32 v6, v196, v79
	v_fma_f32 v5, v209, v40, v5
	v_fma_f32 v4, v208, v41, v4
	;; [unrolled: 1-line block ×3, first 2 shown]
	v_fmac_f32_e32 v2, v197, v44
	s_mov_b32 s20, 8
	s_cbranch_vccnz .LBB135_6
; %bb.7:                                ;   in Loop: Header=BB135_5 Depth=1
	v_add_u32_e32 v0, s18, v159
	v_mov_b32_e32 v254, v152
	v_add_u32_e32 v1, v0, v254
	v_mov_b32_e32 v255, v153
	v_mad_i64_i32 v[34:35], s[0:1], v1, 36, v[51:52]
	v_add_u32_e32 v1, v0, v255
	s_barrier
	v_mad_i64_i32 v[36:37], s[0:1], v1, 36, v[51:52]
	buffer_load_dword v1, off, s[24:27], 0  ; 4-byte Folded Reload
	v_mov_b32_e32 v253, v151
	s_waitcnt vmcnt(0)
	v_add_u32_e32 v1, v0, v1
	v_mad_i64_i32 v[38:39], s[0:1], v1, 36, v[51:52]
	buffer_load_dword v1, off, s[24:27], 0 offset:4 ; 4-byte Folded Reload
	s_waitcnt vmcnt(0)
	v_add_u32_e32 v1, v0, v1
	v_mad_i64_i32 v[40:41], s[0:1], v1, 36, v[51:52]
	v_add_u32_e32 v1, v0, v154
	v_mad_i64_i32 v[42:43], s[0:1], v1, 36, v[51:52]
	;; [unrolled: 2-line block ×4, first 2 shown]
	v_add_u32_e32 v1, 4, v193
	v_mad_u64_u32 v[48:49], s[0:1], v1, 36, s[2:3]
	v_add_u32_e32 v0, v0, v157
	v_mad_i64_i32 v[53:54], s[0:1], v0, 36, v[51:52]
	global_load_dword v0, v[48:49], off
	global_load_dword v1, v[34:35], off offset:4
	s_nop 0
	global_load_dword v34, v[36:37], off offset:4
	global_load_dword v35, v[38:39], off offset:4
	s_nop 0
	global_load_dword v36, v[40:41], off offset:4
	global_load_dword v37, v[42:43], off offset:4
	global_load_dword v38, v[44:45], off offset:4
                                        ; kill: killed $vgpr42_vgpr43
                                        ; kill: killed $vgpr44_vgpr45
	global_load_dword v39, v[46:47], off offset:4
	s_nop 0
	global_load_dword v40, v[53:54], off offset:4
	s_mov_b32 s0, 16
	s_waitcnt vmcnt(7)
	ds_write_b32 v176, v1
	s_waitcnt vmcnt(6)
	ds_write_b32 v177, v34
	;; [unrolled: 2-line block ×8, first 2 shown]
	v_cvt_f32_f16_e32 v0, v0
	ds_write_b32 v151, v0
	s_waitcnt lgkmcnt(0)
	s_barrier
	ds_read_b32 v193, v158
	ds_read_b32 v194, v160 offset:128
	ds_read_b32 v195, v162 offset:256
	;; [unrolled: 1-line block ×3, first 2 shown]
	s_waitcnt lgkmcnt(3)
	v_mov_b32_e32 v197, v193
	v_mov_b32_e32 v198, v193
	v_mov_b32_e32 v199, v193
	s_waitcnt lgkmcnt(2)
	v_mov_b32_e32 v200, v194
	v_mov_b32_e32 v201, v194
	v_mov_b32_e32 v202, v194
	;; [unrolled: 4-line block ×4, first 2 shown]
.LBB135_8:                              ;   Parent Loop BB135_5 Depth=1
                                        ; =>  This Inner Loop Header: Depth=2
	s_lshl_b32 s1, s0, 1
	s_and_b32 s1, s1, 16
	v_or_b32_e32 v0, s1, v139
	s_lshl_b32 s19, s0, 3
	v_lshlrev_b32_e32 v1, 2, v0
	v_lshrrev_b32_e32 v38, 1, v0
	v_add_u32_e32 v0, s19, v172
	ds_read_b128 v[123:126], v1 offset:33280
	ds_read_b128 v[130:133], v1 offset:33296
	;; [unrolled: 1-line block ×4, first 2 shown]
	ds_read2_b32 v[103:104], v0 offset0:6 offset1:7
	ds_read2_b32 v[107:108], v0 offset0:4 offset1:5
	;; [unrolled: 1-line block ×3, first 2 shown]
	ds_read2_b32 v[105:106], v0 offset1:1
	ds_read2_b32 v[109:110], v0 offset0:14 offset1:15
	ds_read2_b32 v[113:114], v0 offset0:12 offset1:13
	;; [unrolled: 1-line block ×4, first 2 shown]
	v_add_u32_e32 v47, s19, v175
	s_lshr_b32 s18, s0, 1
	s_add_i32 s18, s18, 0xa200
	s_waitcnt lgkmcnt(2)
	v_dot4_i32_i8 v1, v113, v73, 0
	s_waitcnt lgkmcnt(0)
	v_dot4_i32_i8 v0, v115, v143, 0
	v_dot4_i32_i8 v0, v116, v144, v0
	;; [unrolled: 1-line block ×15, first 2 shown]
	v_add_u32_e32 v0, s19, v173
	ds_read2_b32 v[89:90], v0 offset0:6 offset1:7
	ds_read2_b32 v[91:92], v0 offset0:4 offset1:5
	;; [unrolled: 1-line block ×3, first 2 shown]
	ds_read2_b32 v[87:88], v0 offset1:1
	ds_read2_b32 v[93:94], v0 offset0:14 offset1:15
	ds_read2_b32 v[97:98], v0 offset0:12 offset1:13
	;; [unrolled: 1-line block ×4, first 2 shown]
	v_add3_u32 v48, s18, v188, v189
	v_add3_u32 v35, s18, v190, v185
	s_waitcnt lgkmcnt(2)
	v_dot4_i32_i8 v34, v97, v73, 0
	s_waitcnt lgkmcnt(0)
	v_dot4_i32_i8 v0, v99, v143, 0
	v_dot4_i32_i8 v0, v100, v144, v0
	;; [unrolled: 1-line block ×12, first 2 shown]
	v_add_u32_e32 v0, s19, v174
	ds_read2_b32 v[67:68], v0 offset0:6 offset1:7
	ds_read2_b32 v[71:72], v0 offset0:4 offset1:5
	;; [unrolled: 1-line block ×3, first 2 shown]
	ds_read2_b32 v[65:66], v0 offset1:1
	ds_read2_b32 v[77:78], v0 offset0:14 offset1:15
	ds_read2_b32 v[81:82], v0 offset0:12 offset1:13
	;; [unrolled: 1-line block ×7, first 2 shown]
	ds_read2_b32 v[57:58], v47 offset1:1
	ds_read2_b32 v[63:64], v47 offset0:14 offset1:15
	ds_read2_b32 v[69:70], v47 offset0:12 offset1:13
	v_dot4_i32_i8 v34, v98, v74, v34
	v_dot4_i32_i8 v34, v93, v75, v34
	s_waitcnt lgkmcnt(8)
	v_dot4_i32_i8 v36, v81, v73, 0
	v_dot4_i32_i8 v36, v82, v74, v36
	s_waitcnt lgkmcnt(0)
	v_dot4_i32_i8 v43, v69, v73, 0
	v_dot4_i32_i8 v43, v70, v74, v43
	;; [unrolled: 1-line block ×9, first 2 shown]
	ds_read2_b32 v[73:74], v47 offset0:10 offset1:11
	ds_read2_b32 v[75:76], v47 offset0:8 offset1:9
	v_dot4_i32_i8 v117, v59, v130, 0
	v_dot4_i32_i8 v0, v79, v145, v0
	;; [unrolled: 1-line block ×13, first 2 shown]
	s_waitcnt lgkmcnt(0)
	v_dot4_i32_i8 v47, v75, v143, 0
	v_dot4_i32_i8 v117, v55, v125, v117
	;; [unrolled: 1-line block ×5, first 2 shown]
	v_or_b32_e32 v117, s1, v165
	v_dot4_i32_i8 v0, v61, v125, v0
	v_dot4_i32_i8 v47, v73, v145, v47
	v_lshlrev_b32_e32 v118, 2, v117
	v_dot4_i32_i8 v46, v62, v126, v0
	v_dot4_i32_i8 v47, v74, v146, v47
	ds_read_b128 v[123:126], v118 offset:33280
	ds_read_b128 v[130:133], v118 offset:33296
	;; [unrolled: 1-line block ×4, first 2 shown]
	v_lshrrev_b32_e32 v117, 1, v117
	s_waitcnt lgkmcnt(3)
	v_dot4_i32_i8 v127, v105, v123, 0
	v_dot4_i32_i8 v127, v106, v124, v127
	;; [unrolled: 1-line block ×4, first 2 shown]
	s_waitcnt lgkmcnt(0)
	v_dot4_i32_i8 v127, v97, v209, 0
	v_dot4_i32_i8 v127, v98, v210, v127
	;; [unrolled: 1-line block ×57, first 2 shown]
	v_or_b32_e32 v123, s1, v166
	v_dot4_i32_i8 v118, v103, v132, v118
	v_dot4_i32_i8 v237, v54, v133, v127
	v_lshlrev_b32_e32 v127, 2, v123
	v_dot4_i32_i8 v118, v104, v133, v118
	v_lshrrev_b32_e32 v140, 1, v123
	ds_read_b128 v[123:126], v127 offset:33280
	ds_read_b128 v[130:133], v127 offset:33296
	;; [unrolled: 1-line block ×4, first 2 shown]
	v_add3_u32 v34, s18, v191, v186
	v_add3_u32 v0, s18, v192, v187
	s_waitcnt lgkmcnt(0)
	v_dot4_i32_i8 v127, v113, v209, 0
	v_dot4_i32_i8 v127, v114, v210, v127
	;; [unrolled: 1-line block ×63, first 2 shown]
	v_or_b32_e32 v123, s1, v167
	v_dot4_i32_i8 v250, v54, v133, v127
	v_lshlrev_b32_e32 v127, 2, v123
	v_lshrrev_b32_e32 v209, 1, v123
	ds_read_b128 v[123:126], v127 offset:33280
	ds_read_b128 v[130:133], v127 offset:33296
	;; [unrolled: 1-line block ×4, first 2 shown]
	ds_read_b64 v[127:128], v38 offset:43584
	ds_read_b32 v38, v48
	ds_read_b64 v[145:146], v117 offset:43584
	ds_read_b64 v[225:226], v140 offset:43584
	;; [unrolled: 1-line block ×3, first 2 shown]
	ds_read_b32 v35, v35
	ds_read_b32 v34, v34
	s_waitcnt lgkmcnt(5)
	v_bfe_i32 v143, v38, 0, 8
	v_bfe_i32 v144, v38, 8, 8
	v_ashrrev_i32_e32 v215, 24, v38
	v_bfe_i32 v216, v38, 16, 8
	v_dot4_i32_i8 v38, v113, v221, 0
	v_dot4_i32_i8 v38, v114, v222, v38
	;; [unrolled: 1-line block ×7, first 2 shown]
	v_mul_lo_u32 v48, v1, v143
	v_dot4_i32_i8 v212, v112, v220, v38
	v_dot4_i32_i8 v38, v107, v130, 0
	;; [unrolled: 1-line block ×5, first 2 shown]
	v_mul_lo_u32 v38, v118, v144
	v_mad_u64_u32 v[48:49], s[18:19], v49, v144, v[48:49]
	v_mul_lo_u32 v117, v117, v144
	v_mul_lo_u32 v118, v239, v143
	v_dot4_i32_i8 v1, v105, v123, 0
	v_dot4_i32_i8 v1, v106, v124, v1
	v_dot4_i32_i8 v1, v101, v125, v1
	v_mad_u64_u32 v[209:210], s[18:19], v137, v143, v[38:39]
	v_cvt_f32_i32_e32 v38, v48
	v_dot4_i32_i8 v1, v102, v126, v1
	v_mad_u64_u32 v[140:141], s[18:19], v141, v144, v[118:119]
	v_mad_u64_u32 v[117:118], s[18:19], v1, v143, v[117:118]
	v_fma_f32 v252, v127, v38, 0
	v_mul_lo_u32 v38, v214, v216
	v_cvt_f32_i32_e32 v48, v117
	v_cvt_f32_i32_e32 v49, v140
	;; [unrolled: 1-line block ×3, first 2 shown]
	v_mad_u64_u32 v[209:210], s[18:19], v213, v215, v[38:39]
	s_waitcnt lgkmcnt(3)
	v_fma_f32 v137, v225, v49, 0
	s_waitcnt lgkmcnt(2)
	v_fma_f32 v239, v227, v48, 0
	v_mul_lo_u32 v48, v211, v215
	v_mul_lo_u32 v42, v42, v216
	;; [unrolled: 1-line block ×3, first 2 shown]
	v_cvt_f32_i32_e32 v38, v209
	s_waitcnt lgkmcnt(1)
	v_bfe_i32 v213, v35, 0, 8
	v_mad_u64_u32 v[140:141], s[18:19], v40, v215, v[42:43]
	v_mad_u64_u32 v[117:118], s[18:19], v136, v216, v[49:50]
	;; [unrolled: 1-line block ×3, first 2 shown]
	v_fmac_f32_e32 v137, v226, v38
	v_dot4_i32_i8 v38, v99, v217, 0
	v_dot4_i32_i8 v38, v100, v218, v38
	v_cvt_f32_i32_e32 v40, v48
	v_cvt_f32_i32_e32 v42, v140
	v_dot4_i32_i8 v38, v95, v219, v38
	v_dot4_i32_i8 v135, v96, v220, v38
	;; [unrolled: 1-line block ×5, first 2 shown]
	v_cvt_f32_i32_e32 v48, v117
	v_fmac_f32_e32 v252, v128, v42
	v_fmac_f32_e32 v239, v228, v40
	v_dot4_i32_i8 v40, v90, v133, v38
	v_bfe_i32 v214, v35, 8, 8
	v_mul_lo_u32 v42, v243, v213
	v_dot4_i32_i8 v38, v87, v123, 0
	v_mul_lo_u32 v40, v40, v214
	v_dot4_i32_i8 v38, v88, v124, v38
	v_fma_f32 v1, v145, v1, 0
	v_dot4_i32_i8 v38, v85, v125, v38
	v_fmac_f32_e32 v1, v146, v48
	v_dot4_i32_i8 v117, v86, v126, v38
	v_mad_u64_u32 v[48:49], s[18:19], v242, v214, v[42:43]
	v_mul_lo_u32 v38, v50, v213
	v_mad_u64_u32 v[49:50], s[18:19], v117, v213, v[40:41]
	v_ashrrev_i32_e32 v211, 24, v35
	v_bfe_i32 v212, v35, 16, 8
	v_mul_lo_u32 v35, v229, v214
	v_mad_u64_u32 v[117:118], s[18:19], v45, v214, v[38:39]
	v_cvt_f32_i32_e32 v40, v49
	v_mad_u64_u32 v[140:141], s[18:19], v230, v213, v[35:36]
	v_fmac_f32_e32 v18, v193, v1
	v_dot4_i32_i8 v1, v97, v221, 0
	v_cvt_f32_i32_e32 v38, v117
	v_cvt_f32_i32_e32 v42, v48
	v_fma_f32 v117, v227, v40, 0
	v_mul_lo_u32 v40, v41, v212
	v_mul_lo_u32 v41, v138, v211
	v_dot4_i32_i8 v1, v98, v222, v1
	v_dot4_i32_i8 v1, v93, v223, v1
	v_cvt_f32_i32_e32 v35, v140
	v_dot4_i32_i8 v1, v94, v224, v1
	v_fma_f32 v45, v225, v42, 0
	v_fma_f32 v118, v127, v38, 0
	v_mul_lo_u32 v38, v1, v211
	v_mad_u64_u32 v[41:42], s[18:19], v148, v212, v[41:42]
	v_fma_f32 v136, v145, v35, 0
	v_mul_lo_u32 v35, v241, v212
	v_mad_u64_u32 v[48:49], s[18:19], v37, v211, v[40:41]
	v_mad_u64_u32 v[37:38], s[18:19], v135, v212, v[38:39]
	;; [unrolled: 1-line block ×3, first 2 shown]
	v_cvt_f32_i32_e32 v35, v37
	v_cvt_f32_i32_e32 v38, v41
	;; [unrolled: 1-line block ×4, first 2 shown]
	v_fmac_f32_e32 v117, v228, v35
	v_dot4_i32_i8 v35, v83, v217, 0
	v_dot4_i32_i8 v35, v84, v218, v35
	v_fmac_f32_e32 v45, v226, v1
	v_dot4_i32_i8 v35, v79, v219, v35
	v_fma_f32 v33, v202, v45, v33
	v_dot4_i32_i8 v45, v80, v220, v35
	v_dot4_i32_i8 v35, v71, v130, 0
	;; [unrolled: 1-line block ×3, first 2 shown]
	s_waitcnt lgkmcnt(0)
	v_bfe_i32 v209, v34, 0, 8
	v_fmac_f32_e32 v136, v146, v38
	v_dot4_i32_i8 v35, v67, v132, v35
	v_mul_lo_u32 v38, v247, v209
	v_fmac_f32_e32 v118, v128, v37
	v_dot4_i32_i8 v37, v68, v133, v35
	v_dot4_i32_i8 v35, v65, v123, 0
	;; [unrolled: 1-line block ×3, first 2 shown]
	v_bfe_i32 v210, v34, 8, 8
	v_dot4_i32_i8 v35, v61, v125, v35
	v_mul_lo_u32 v37, v37, v210
	v_dot4_i32_i8 v42, v62, v126, v35
	v_mul_lo_u32 v35, v46, v209
	v_mad_u64_u32 v[40:41], s[18:19], v246, v210, v[38:39]
	v_ashrrev_i32_e32 v140, 24, v34
	v_bfe_i32 v141, v34, 16, 8
	v_mul_lo_u32 v34, v233, v210
	v_mad_u64_u32 v[37:38], s[18:19], v42, v209, v[37:38]
	v_mad_u64_u32 v[41:42], s[18:19], v44, v210, v[35:36]
	v_cvt_f32_i32_e32 v38, v40
	v_mad_u64_u32 v[34:35], s[18:19], v234, v209, v[34:35]
	v_cvt_f32_i32_e32 v35, v41
	v_cvt_f32_i32_e32 v37, v37
	v_fma_f32 v41, v225, v38, 0
	v_mul_lo_u32 v38, v231, v140
	v_dot4_i32_i8 v1, v81, v221, 0
	v_cvt_f32_i32_e32 v34, v34
	v_fma_f32 v42, v227, v37, 0
	v_mul_lo_u32 v37, v39, v141
	v_mad_u64_u32 v[38:39], s[18:19], v232, v141, v[38:39]
	v_dot4_i32_i8 v1, v82, v222, v1
	v_dot4_i32_i8 v1, v77, v223, v1
	;; [unrolled: 1-line block ×3, first 2 shown]
	v_fma_f32 v44, v127, v35, 0
	v_fma_f32 v46, v145, v34, 0
	v_mul_lo_u32 v34, v245, v141
	v_mul_lo_u32 v35, v1, v140
	v_mad_u64_u32 v[36:37], s[18:19], v36, v140, v[37:38]
	v_fma_f32 v31, v200, v118, v31
	v_fma_f32 v32, v201, v117, v32
	v_mad_u64_u32 v[39:40], s[18:19], v45, v141, v[35:36]
	v_mad_u64_u32 v[34:35], s[18:19], v244, v140, v[34:35]
	v_cvt_f32_i32_e32 v35, v36
	v_cvt_f32_i32_e32 v36, v38
	;; [unrolled: 1-line block ×4, first 2 shown]
	v_fmac_f32_e32 v44, v128, v35
	v_fmac_f32_e32 v46, v146, v36
	;; [unrolled: 1-line block ×4, first 2 shown]
	v_dot4_i32_i8 v34, v75, v217, 0
	v_dot4_i32_i8 v34, v76, v218, v34
	;; [unrolled: 1-line block ×3, first 2 shown]
	v_fma_f32 v29, v205, v41, v29
	v_dot4_i32_i8 v41, v74, v220, v34
	v_dot4_i32_i8 v34, v59, v130, 0
	;; [unrolled: 1-line block ×9, first 2 shown]
	ds_read_b32 v34, v0
	v_fma_f32 v28, v204, v42, v28
	v_dot4_i32_i8 v1, v69, v221, 0
	v_dot4_i32_i8 v1, v70, v222, v1
	;; [unrolled: 1-line block ×3, first 2 shown]
	s_waitcnt lgkmcnt(0)
	v_bfe_i32 v118, v34, 0, 8
	v_mul_lo_u32 v37, v251, v118
	v_bfe_i32 v138, v34, 8, 8
	v_mul_lo_u32 v35, v134, v118
	v_mul_lo_u32 v36, v36, v138
	v_mad_u64_u32 v[37:38], s[18:19], v250, v138, v[37:38]
	v_ashrrev_i32_e32 v0, 24, v34
	v_bfe_i32 v117, v34, 16, 8
	v_mul_lo_u32 v34, v237, v138
	v_mad_u64_u32 v[38:39], s[18:19], v39, v118, v[36:37]
	v_mad_u64_u32 v[35:36], s[18:19], v129, v138, v[35:36]
	v_cvt_f32_i32_e32 v37, v37
	v_cvt_f32_i32_e32 v36, v38
	v_mad_u64_u32 v[39:40], s[18:19], v238, v118, v[34:35]
	v_cvt_f32_i32_e32 v35, v35
	v_fma_f32 v42, v225, v37, 0
	v_mul_lo_u32 v37, v235, v0
	v_dot4_i32_i8 v1, v64, v224, v1
	v_fma_f32 v27, v203, v44, v27
	v_cvt_f32_i32_e32 v34, v39
	v_fma_f32 v44, v227, v36, 0
	v_fma_f32 v45, v127, v35, 0
	v_mul_lo_u32 v35, v1, v0
	v_mul_lo_u32 v36, v47, v117
	v_mad_u64_u32 v[37:38], s[18:19], v236, v117, v[37:38]
	v_fmac_f32_e32 v26, v195, v46
	v_fma_f32 v46, v145, v34, 0
	v_mul_lo_u32 v34, v249, v117
	v_mad_u64_u32 v[38:39], s[18:19], v43, v0, v[36:37]
	v_mad_u64_u32 v[35:36], s[18:19], v41, v117, v[35:36]
	v_cvt_f32_i32_e32 v36, v37
	v_fma_f32 v20, v198, v239, v20
	v_mad_u64_u32 v[39:40], s[18:19], v248, v0, v[34:35]
	v_cvt_f32_i32_e32 v34, v35
	v_cvt_f32_i32_e32 v35, v38
	;; [unrolled: 1-line block ×3, first 2 shown]
	v_fmac_f32_e32 v46, v146, v36
	v_fmac_f32_e32 v44, v228, v34
	;; [unrolled: 1-line block ×4, first 2 shown]
	v_or_b32_e32 v1, s1, v168
	v_fmac_f32_e32 v22, v196, v46
	v_lshlrev_b32_e32 v46, 2, v1
	v_fma_f32 v25, v208, v42, v25
	v_fma_f32 v24, v207, v44, v24
	;; [unrolled: 1-line block ×3, first 2 shown]
	ds_read_b128 v[34:37], v46 offset:33280
	ds_read_b128 v[38:41], v46 offset:33296
	;; [unrolled: 1-line block ×4, first 2 shown]
	v_lshrrev_b32_e32 v1, 1, v1
	v_fma_f32 v21, v199, v137, v21
	v_fma_f32 v19, v197, v252, v19
	v_fmac_f32_e32 v30, v194, v136
	s_waitcnt lgkmcnt(0)
	v_dot4_i32_i8 v50, v113, v46, 0
	v_dot4_i32_i8 v50, v114, v47, v50
	;; [unrolled: 1-line block ×57, first 2 shown]
	v_or_b32_e32 v34, s1, v169
	v_dot4_i32_i8 v50, v61, v36, v50
	v_dot4_i32_i8 v145, v64, v49, v46
	;; [unrolled: 1-line block ×4, first 2 shown]
	v_lshlrev_b32_e32 v46, 2, v34
	v_dot4_i32_i8 v222, v62, v37, v50
	v_dot4_i32_i8 v146, v74, v45, v42
	v_dot4_i32_i8 v217, v54, v41, v38
	v_lshrrev_b32_e32 v129, 1, v34
	ds_read_b128 v[34:37], v46 offset:33280
	ds_read_b128 v[38:41], v46 offset:33296
	;; [unrolled: 1-line block ×4, first 2 shown]
	s_waitcnt lgkmcnt(0)
	v_dot4_i32_i8 v50, v113, v46, 0
	v_dot4_i32_i8 v50, v114, v47, v50
	;; [unrolled: 1-line block ×58, first 2 shown]
	v_or_b32_e32 v34, s1, v170
	v_dot4_i32_i8 v128, v62, v37, v50
	v_dot4_i32_i8 v50, v64, v49, v46
	;; [unrolled: 1-line block ×4, first 2 shown]
	v_lshlrev_b32_e32 v46, 2, v34
	v_dot4_i32_i8 v123, v74, v45, v42
	v_dot4_i32_i8 v224, v54, v41, v38
	v_lshrrev_b32_e32 v135, 1, v34
	ds_read_b128 v[34:37], v46 offset:33280
	ds_read_b128 v[38:41], v46 offset:33296
	;; [unrolled: 1-line block ×4, first 2 shown]
	s_waitcnt lgkmcnt(0)
	v_dot4_i32_i8 v132, v113, v46, 0
	v_dot4_i32_i8 v132, v114, v47, v132
	;; [unrolled: 1-line block ×58, first 2 shown]
	v_or_b32_e32 v34, s1, v171
	v_dot4_i32_i8 v242, v62, v37, v132
	v_dot4_i32_i8 v132, v64, v49, v46
	;; [unrolled: 1-line block ×4, first 2 shown]
	v_lshlrev_b32_e32 v46, 2, v34
	v_dot4_i32_i8 v232, v74, v45, v42
	v_dot4_i32_i8 v233, v54, v41, v38
	v_lshrrev_b32_e32 v134, 1, v34
	ds_read_b128 v[34:37], v46 offset:33280
	ds_read_b128 v[38:41], v46 offset:33296
	;; [unrolled: 1-line block ×4, first 2 shown]
	s_add_i32 s1, s0, 8
	s_waitcnt lgkmcnt(3)
	v_dot4_i32_i8 v87, v87, v34, 0
	s_waitcnt lgkmcnt(2)
	v_dot4_i32_i8 v107, v107, v38, 0
	v_dot4_i32_i8 v107, v108, v39, v107
	s_waitcnt lgkmcnt(0)
	v_dot4_i32_i8 v113, v113, v46, 0
	v_dot4_i32_i8 v113, v114, v47, v113
	;; [unrolled: 1-line block ×5, first 2 shown]
	v_mul_lo_u32 v115, v251, v143
	v_dot4_i32_i8 v109, v116, v43, v109
	v_mul_lo_u32 v114, v229, v143
	v_dot4_i32_i8 v103, v103, v40, v107
	v_mad_u64_u32 v[115:116], s[18:19], v250, v144, v[115:116]
	v_mul_lo_u32 v113, v244, v144
	v_dot4_i32_i8 v107, v104, v41, v103
	v_dot4_i32_i8 v103, v105, v34, 0
	v_mul_lo_u32 v107, v107, v144
	v_dot4_i32_i8 v103, v106, v35, v103
	v_mad_u64_u32 v[228:229], s[18:19], v228, v144, v[114:115]
	v_dot4_i32_i8 v101, v101, v36, v103
	v_mad_u64_u32 v[113:114], s[18:19], v243, v143, v[113:114]
	;; [unrolled: 2-line block ×3, first 2 shown]
	v_dot4_i32_i8 v109, v111, v44, v109
	v_cvt_f32_i32_e32 v108, v228
	v_dot4_i32_i8 v109, v112, v45, v109
	ds_read_b64 v[101:102], v1 offset:43584
	ds_read_b64 v[105:106], v129 offset:43584
	;; [unrolled: 1-line block ×4, first 2 shown]
	v_cvt_f32_i32_e32 v1, v113
	v_cvt_f32_i32_e32 v113, v115
	;; [unrolled: 1-line block ×3, first 2 shown]
	s_waitcnt lgkmcnt(3)
	v_fma_f32 v134, v101, v108, 0
	v_mul_lo_u32 v108, v110, v215
	s_waitcnt lgkmcnt(1)
	v_fma_f32 v116, v103, v113, 0
	v_mul_lo_u32 v113, v239, v215
	v_dot4_i32_i8 v91, v91, v38, 0
	v_dot4_i32_i8 v87, v88, v35, v87
	v_mul_lo_u32 v88, v248, v213
	v_dot4_i32_i8 v91, v92, v39, v91
	s_waitcnt lgkmcnt(0)
	v_fma_f32 v129, v111, v107, 0
	v_mul_lo_u32 v107, v249, v216
	v_mul_lo_u32 v110, v227, v216
	v_mad_u64_u32 v[108:109], s[18:19], v109, v216, v[108:109]
	v_dot4_i32_i8 v89, v89, v40, v91
	v_mad_u64_u32 v[113:114], s[18:19], v240, v216, v[113:114]
	v_dot4_i32_i8 v89, v90, v41, v89
	v_dot4_i32_i8 v85, v85, v36, v87
	;; [unrolled: 1-line block ×3, first 2 shown]
	v_mul_lo_u32 v86, v226, v213
	v_mul_lo_u32 v87, v89, v214
	v_mad_u64_u32 v[88:89], s[18:19], v247, v214, v[88:89]
	v_mad_u64_u32 v[114:115], s[18:19], v131, v215, v[110:111]
	;; [unrolled: 1-line block ×3, first 2 shown]
	v_cvt_f32_i32_e32 v110, v113
	v_mul_lo_u32 v85, v236, v214
	v_mad_u64_u32 v[89:90], s[18:19], v90, v213, v[87:88]
	v_mad_u64_u32 v[86:87], s[18:19], v225, v214, v[86:87]
	v_cvt_f32_i32_e32 v88, v88
	v_fma_f32 v1, v105, v1, 0
	v_fmac_f32_e32 v1, v106, v110
	v_fmac_f32_e32 v14, v193, v1
	v_dot4_i32_i8 v1, v97, v46, 0
	v_mad_u64_u32 v[90:91], s[18:19], v234, v213, v[85:86]
	v_cvt_f32_i32_e32 v86, v86
	v_cvt_f32_i32_e32 v87, v89
	v_fma_f32 v92, v103, v88, 0
	v_mul_lo_u32 v88, v230, v211
	v_dot4_i32_i8 v1, v98, v47, v1
	v_dot4_i32_i8 v1, v93, v48, v1
	;; [unrolled: 1-line block ×6, first 2 shown]
	v_cvt_f32_i32_e32 v85, v90
	v_fma_f32 v94, v111, v87, 0
	v_fma_f32 v95, v101, v86, 0
	v_mul_lo_u32 v86, v1, v211
	v_mul_lo_u32 v87, v125, v212
	v_mad_u64_u32 v[88:89], s[18:19], v231, v212, v[88:89]
	v_dot4_i32_i8 v93, v96, v45, v93
	v_fma_f32 v96, v105, v85, 0
	v_mul_lo_u32 v85, v246, v212
	v_mad_u64_u32 v[89:90], s[18:19], v124, v211, v[87:88]
	v_mad_u64_u32 v[86:87], s[18:19], v93, v212, v[86:87]
	v_dot4_i32_i8 v71, v71, v38, 0
	v_dot4_i32_i8 v65, v65, v34, 0
	;; [unrolled: 1-line block ×4, first 2 shown]
	v_mad_u64_u32 v[90:91], s[18:19], v245, v211, v[85:86]
	v_dot4_i32_i8 v67, v67, v40, v71
	v_dot4_i32_i8 v61, v61, v36, v65
	;; [unrolled: 1-line block ×4, first 2 shown]
	v_mul_lo_u32 v61, v130, v210
	v_mul_lo_u32 v62, v222, v209
	v_cvt_f32_i32_e32 v1, v90
	v_dot4_i32_i8 v34, v57, v34, 0
	v_dot4_i32_i8 v34, v58, v35, v34
	v_mad_u64_u32 v[71:72], s[18:19], v221, v210, v[62:63]
	v_mad_u64_u32 v[61:62], s[18:19], v128, v209, v[61:62]
	v_fmac_f32_e32 v92, v104, v1
	v_dot4_i32_i8 v1, v81, v46, 0
	v_dot4_i32_i8 v1, v82, v47, v1
	v_cvt_f32_i32_e32 v61, v61
	v_cvt_f32_i32_e32 v62, v71
	v_dot4_i32_i8 v1, v77, v48, v1
	v_dot4_i32_i8 v77, v83, v42, 0
	;; [unrolled: 1-line block ×5, first 2 shown]
	v_mul_lo_u32 v66, v242, v209
	v_dot4_i32_i8 v38, v59, v38, 0
	v_dot4_i32_i8 v34, v55, v36, v34
	;; [unrolled: 1-line block ×3, first 2 shown]
	v_fma_f32 v80, v101, v62, 0
	v_fma_f32 v81, v105, v61, 0
	v_mul_lo_u32 v61, v238, v141
	v_mul_lo_u32 v62, v1, v140
	v_dot4_i32_i8 v38, v60, v39, v38
	v_dot4_i32_i8 v39, v56, v37, v34
	v_mul_lo_u32 v37, v235, v118
	v_dot4_i32_i8 v38, v53, v40, v38
	v_mul_lo_u32 v65, v67, v210
	v_mad_u64_u32 v[66:67], s[18:19], v241, v210, v[66:67]
	v_dot4_i32_i8 v38, v54, v41, v38
	v_mad_u64_u32 v[71:72], s[18:19], v77, v141, v[62:63]
	v_mad_u64_u32 v[61:62], s[18:19], v237, v140, v[61:62]
	v_mul_lo_u32 v35, v218, v118
	v_mul_lo_u32 v36, v38, v138
	v_mad_u64_u32 v[37:38], s[18:19], v233, v138, v[37:38]
	v_mad_u64_u32 v[67:68], s[18:19], v68, v209, v[65:66]
	v_cvt_f32_i32_e32 v66, v66
	v_cvt_f32_i32_e32 v1, v61
	v_mul_lo_u32 v34, v224, v138
	v_mad_u64_u32 v[38:39], s[18:19], v39, v118, v[36:37]
	v_mad_u64_u32 v[35:36], s[18:19], v217, v138, v[35:36]
	v_cvt_f32_i32_e32 v37, v37
	v_fma_f32 v78, v103, v66, 0
	v_fmac_f32_e32 v78, v104, v1
	v_dot4_i32_i8 v1, v69, v46, 0
	v_mad_u64_u32 v[39:40], s[18:19], v223, v118, v[34:35]
	v_cvt_f32_i32_e32 v35, v35
	v_cvt_f32_i32_e32 v36, v38
	v_fma_f32 v41, v103, v37, 0
	v_mul_lo_u32 v37, v50, v0
	v_dot4_i32_i8 v1, v70, v47, v1
	v_dot4_i32_i8 v1, v63, v48, v1
	;; [unrolled: 1-line block ×5, first 2 shown]
	v_cvt_f32_i32_e32 v65, v67
	v_mul_lo_u32 v66, v126, v140
	v_dot4_i32_i8 v42, v73, v44, v42
	v_cvt_f32_i32_e32 v34, v39
	v_fma_f32 v43, v111, v36, 0
	v_fma_f32 v44, v101, v35, 0
	v_mul_lo_u32 v35, v1, v0
	v_mul_lo_u32 v36, v146, v117
	v_mad_u64_u32 v[37:38], s[18:19], v123, v117, v[37:38]
	v_dot4_i32_i8 v42, v74, v45, v42
	v_fma_f32 v79, v111, v65, 0
	v_mul_lo_u32 v65, v220, v141
	v_mad_u64_u32 v[66:67], s[18:19], v127, v141, v[66:67]
	v_fma_f32 v45, v105, v34, 0
	v_mul_lo_u32 v34, v232, v117
	v_mad_u64_u32 v[38:39], s[18:19], v145, v0, v[36:37]
	v_mad_u64_u32 v[35:36], s[18:19], v42, v117, v[35:36]
	;; [unrolled: 1-line block ×4, first 2 shown]
	v_cvt_f32_i32_e32 v107, v109
	v_cvt_f32_i32_e32 v108, v108
	;; [unrolled: 1-line block ×13, first 2 shown]
	v_fmac_f32_e32 v134, v102, v109
	v_fmac_f32_e32 v129, v112, v108
	;; [unrolled: 1-line block ×13, first 2 shown]
	v_fma_f32 v17, v199, v116, v17
	v_fma_f32 v16, v198, v129, v16
	;; [unrolled: 1-line block ×6, first 2 shown]
	v_fmac_f32_e32 v10, v194, v96
	v_fma_f32 v9, v205, v78, v9
	v_fma_f32 v8, v204, v79, v8
	;; [unrolled: 1-line block ×3, first 2 shown]
	v_fmac_f32_e32 v6, v195, v81
	v_fma_f32 v5, v208, v41, v5
	v_fma_f32 v4, v207, v43, v4
	v_fma_f32 v3, v206, v44, v3
	v_fmac_f32_e32 v2, v196, v45
	s_cmp_lt_u32 s0, 24
	s_mov_b32 s0, s1
	s_cbranch_scc1 .LBB135_8
; %bb.9:                                ;   in Loop: Header=BB135_5 Depth=1
	s_add_i32 s14, s14, 1
	s_cmp_eq_u32 s14, s4
	v_mov_b32_e32 v38, v150
	s_barrier
	s_cbranch_scc0 .LBB135_5
; %bb.10:
	buffer_load_dword v0, off, s[24:27], 0 offset:108 ; 4-byte Folded Reload
	buffer_load_dword v1, off, s[24:27], 0 offset:104 ; 4-byte Folded Reload
.LBB135_11:
	s_waitcnt vmcnt(1)
	v_cmp_gt_u32_e32 vcc, s8, v0
	s_and_saveexec_b64 s[0:1], vcc
	s_cbranch_execz .LBB135_62
; %bb.12:
	v_mul_lo_u32 v34, v0, s10
	s_waitcnt vmcnt(0)
	v_add_u32_e32 v0, s6, v1
	v_cmp_gt_u32_e32 vcc, s10, v0
	s_and_saveexec_b64 s[2:3], vcc
	s_cbranch_execz .LBB135_14
; %bb.13:
	v_add_u32_e32 v35, v0, v34
	v_mov_b32_e32 v36, 0
	v_lshlrev_b64 v[35:36], 2, v[35:36]
	s_waitcnt lgkmcnt(0)
	v_mov_b32_e32 v1, s13
	v_add_co_u32_e64 v35, s[0:1], s12, v35
	v_addc_co_u32_e64 v36, s[0:1], v1, v36, s[0:1]
	global_store_dword v[35:36], v19, off
.LBB135_14:
	s_or_b64 exec, exec, s[2:3]
	v_add_u32_e32 v19, 32, v0
	v_cmp_gt_u32_e64 s[0:1], s10, v19
	s_and_saveexec_b64 s[4:5], s[0:1]
	s_cbranch_execz .LBB135_16
; %bb.15:
	v_add_u32_e32 v35, v19, v34
	v_mov_b32_e32 v36, 0
	v_lshlrev_b64 v[35:36], 2, v[35:36]
	s_waitcnt lgkmcnt(0)
	v_mov_b32_e32 v1, s13
	v_add_co_u32_e64 v35, s[2:3], s12, v35
	v_addc_co_u32_e64 v36, s[2:3], v1, v36, s[2:3]
	global_store_dword v[35:36], v31, off
.LBB135_16:
	s_or_b64 exec, exec, s[4:5]
	v_add_u32_e32 v31, 64, v0
	v_cmp_gt_u32_e64 s[2:3], s10, v31
	s_and_saveexec_b64 s[6:7], s[2:3]
	;; [unrolled: 15-line block ×3, first 2 shown]
	s_cbranch_execz .LBB135_20
; %bb.19:
	v_add_u32_e32 v34, v27, v34
	v_mov_b32_e32 v35, 0
	v_lshlrev_b64 v[34:35], 2, v[34:35]
	s_waitcnt lgkmcnt(0)
	v_mov_b32_e32 v1, s13
	v_add_co_u32_e64 v34, s[6:7], s12, v34
	v_addc_co_u32_e64 v35, s[6:7], v1, v35, s[6:7]
	global_store_dword v[34:35], v23, off
.LBB135_20:
	s_or_b64 exec, exec, s[14:15]
	v_add3_u32 v23, v38, s11, 8
	v_cmp_gt_u32_e64 s[6:7], s8, v23
	s_and_b64 exec, exec, s[6:7]
	s_cbranch_execz .LBB135_62
; %bb.21:
	v_mul_lo_u32 v23, v23, s10
	s_and_saveexec_b64 s[14:15], vcc
	s_cbranch_execnz .LBB135_63
; %bb.22:
	s_or_b64 exec, exec, s[14:15]
	s_and_saveexec_b64 s[14:15], s[0:1]
	s_cbranch_execnz .LBB135_64
.LBB135_23:
	s_or_b64 exec, exec, s[14:15]
	s_and_saveexec_b64 s[14:15], s[2:3]
	s_cbranch_execnz .LBB135_65
.LBB135_24:
	s_or_b64 exec, exec, s[14:15]
	s_and_saveexec_b64 s[14:15], s[4:5]
	s_cbranch_execz .LBB135_26
.LBB135_25:
	v_add_u32_e32 v34, v23, v27
	v_mov_b32_e32 v35, 0
	v_lshlrev_b64 v[34:35], 2, v[34:35]
	s_waitcnt lgkmcnt(0)
	v_mov_b32_e32 v1, s13
	v_add_co_u32_e64 v34, s[6:7], s12, v34
	v_addc_co_u32_e64 v35, s[6:7], v1, v35, s[6:7]
	global_store_dword v[34:35], v22, off
.LBB135_26:
	s_or_b64 exec, exec, s[14:15]
	v_add3_u32 v18, v38, s11, 16
	v_cmp_gt_u32_e64 s[6:7], s8, v18
	s_and_b64 exec, exec, s[6:7]
	s_cbranch_execz .LBB135_62
; %bb.27:
	v_mul_lo_u32 v18, v18, s10
	s_and_saveexec_b64 s[14:15], vcc
	s_cbranch_execnz .LBB135_66
; %bb.28:
	s_or_b64 exec, exec, s[14:15]
	s_and_saveexec_b64 s[14:15], s[0:1]
	s_cbranch_execnz .LBB135_67
.LBB135_29:
	s_or_b64 exec, exec, s[14:15]
	s_and_saveexec_b64 s[14:15], s[2:3]
	s_cbranch_execnz .LBB135_68
.LBB135_30:
	s_or_b64 exec, exec, s[14:15]
	s_and_saveexec_b64 s[14:15], s[4:5]
	s_cbranch_execz .LBB135_32
.LBB135_31:
	v_add_u32_e32 v21, v18, v27
	v_mov_b32_e32 v22, 0
	v_lshlrev_b64 v[21:22], 2, v[21:22]
	s_waitcnt lgkmcnt(0)
	v_mov_b32_e32 v1, s13
	v_add_co_u32_e64 v21, s[6:7], s12, v21
	v_addc_co_u32_e64 v22, s[6:7], v1, v22, s[6:7]
	global_store_dword v[21:22], v25, off
.LBB135_32:
	s_or_b64 exec, exec, s[14:15]
	v_add3_u32 v18, v38, s11, 24
	v_cmp_gt_u32_e64 s[6:7], s8, v18
	s_and_b64 exec, exec, s[6:7]
	s_cbranch_execz .LBB135_62
; %bb.33:
	v_mul_lo_u32 v18, v18, s10
	s_and_saveexec_b64 s[14:15], vcc
	s_cbranch_execnz .LBB135_69
; %bb.34:
	s_or_b64 exec, exec, s[14:15]
	s_and_saveexec_b64 s[14:15], s[0:1]
	s_cbranch_execnz .LBB135_70
.LBB135_35:
	s_or_b64 exec, exec, s[14:15]
	s_and_saveexec_b64 s[14:15], s[2:3]
	s_cbranch_execnz .LBB135_71
.LBB135_36:
	s_or_b64 exec, exec, s[14:15]
	s_and_saveexec_b64 s[14:15], s[4:5]
	s_cbranch_execz .LBB135_38
.LBB135_37:
	v_add_u32_e32 v20, v18, v27
	v_mov_b32_e32 v21, 0
	v_lshlrev_b64 v[20:21], 2, v[20:21]
	s_waitcnt lgkmcnt(0)
	v_mov_b32_e32 v1, s13
	v_add_co_u32_e64 v20, s[6:7], s12, v20
	v_addc_co_u32_e64 v21, s[6:7], v1, v21, s[6:7]
	global_store_dword v[20:21], v24, off
.LBB135_38:
	s_or_b64 exec, exec, s[14:15]
	v_add3_u32 v18, v38, s11, 32
	v_cmp_gt_u32_e64 s[6:7], s8, v18
	s_and_b64 exec, exec, s[6:7]
	s_cbranch_execz .LBB135_62
; %bb.39:
	v_mul_lo_u32 v18, v18, s10
	s_and_saveexec_b64 s[14:15], vcc
	s_cbranch_execnz .LBB135_72
; %bb.40:
	s_or_b64 exec, exec, s[14:15]
	s_and_saveexec_b64 s[14:15], s[0:1]
	s_cbranch_execnz .LBB135_73
.LBB135_41:
	s_or_b64 exec, exec, s[14:15]
	s_and_saveexec_b64 s[14:15], s[2:3]
	s_cbranch_execnz .LBB135_74
.LBB135_42:
	s_or_b64 exec, exec, s[14:15]
	s_and_saveexec_b64 s[14:15], s[4:5]
	s_cbranch_execz .LBB135_44
.LBB135_43:
	v_add_u32_e32 v20, v18, v27
	v_mov_b32_e32 v21, 0
	v_lshlrev_b64 v[20:21], 2, v[20:21]
	s_waitcnt lgkmcnt(0)
	v_mov_b32_e32 v1, s13
	v_add_co_u32_e64 v20, s[6:7], s12, v20
	v_addc_co_u32_e64 v21, s[6:7], v1, v21, s[6:7]
	global_store_dword v[20:21], v3, off
.LBB135_44:
	s_or_b64 exec, exec, s[14:15]
	v_add3_u32 v3, v38, s11, 40
	v_cmp_gt_u32_e64 s[6:7], s8, v3
	s_and_b64 exec, exec, s[6:7]
	s_cbranch_execz .LBB135_62
; %bb.45:
	v_mul_lo_u32 v3, v3, s10
	s_and_saveexec_b64 s[14:15], vcc
	s_cbranch_execnz .LBB135_75
; %bb.46:
	s_or_b64 exec, exec, s[14:15]
	s_and_saveexec_b64 s[14:15], s[0:1]
	s_cbranch_execnz .LBB135_76
.LBB135_47:
	s_or_b64 exec, exec, s[14:15]
	s_and_saveexec_b64 s[14:15], s[2:3]
	s_cbranch_execnz .LBB135_77
.LBB135_48:
	s_or_b64 exec, exec, s[14:15]
	s_and_saveexec_b64 s[14:15], s[4:5]
	s_cbranch_execz .LBB135_50
.LBB135_49:
	v_add_u32_e32 v6, v3, v27
	v_mov_b32_e32 v7, 0
	v_lshlrev_b64 v[6:7], 2, v[6:7]
	s_waitcnt lgkmcnt(0)
	v_mov_b32_e32 v1, s13
	v_add_co_u32_e64 v6, s[6:7], s12, v6
	v_addc_co_u32_e64 v7, s[6:7], v1, v7, s[6:7]
	global_store_dword v[6:7], v2, off
.LBB135_50:
	s_or_b64 exec, exec, s[14:15]
	v_add3_u32 v2, v38, s11, 48
	v_cmp_gt_u32_e64 s[6:7], s8, v2
	s_and_b64 exec, exec, s[6:7]
	s_cbranch_execz .LBB135_62
; %bb.51:
	v_mul_lo_u32 v2, v2, s10
	s_and_saveexec_b64 s[14:15], vcc
	s_cbranch_execnz .LBB135_78
; %bb.52:
	s_or_b64 exec, exec, s[14:15]
	s_and_saveexec_b64 s[14:15], s[0:1]
	s_cbranch_execnz .LBB135_79
.LBB135_53:
	s_or_b64 exec, exec, s[14:15]
	s_and_saveexec_b64 s[14:15], s[2:3]
	s_cbranch_execnz .LBB135_80
.LBB135_54:
	s_or_b64 exec, exec, s[14:15]
	s_and_saveexec_b64 s[14:15], s[4:5]
	s_cbranch_execz .LBB135_56
.LBB135_55:
	v_add_u32_e32 v2, v2, v27
	v_mov_b32_e32 v3, 0
	v_lshlrev_b64 v[2:3], 2, v[2:3]
	s_waitcnt lgkmcnt(0)
	v_mov_b32_e32 v1, s13
	v_add_co_u32_e64 v2, s[6:7], s12, v2
	v_addc_co_u32_e64 v3, s[6:7], v1, v3, s[6:7]
	global_store_dword v[2:3], v5, off
.LBB135_56:
	s_or_b64 exec, exec, s[14:15]
	v_add3_u32 v1, v38, s11, 56
	v_cmp_gt_u32_e64 s[6:7], s8, v1
	s_and_b64 exec, exec, s[6:7]
	s_cbranch_execz .LBB135_62
; %bb.57:
	v_mul_lo_u32 v1, v1, s10
	s_and_saveexec_b64 s[6:7], vcc
	s_cbranch_execnz .LBB135_81
; %bb.58:
	s_or_b64 exec, exec, s[6:7]
	s_and_saveexec_b64 s[6:7], s[0:1]
	s_cbranch_execnz .LBB135_82
.LBB135_59:
	s_or_b64 exec, exec, s[6:7]
	s_and_saveexec_b64 s[0:1], s[2:3]
	s_cbranch_execnz .LBB135_83
.LBB135_60:
	s_or_b64 exec, exec, s[0:1]
	s_and_b64 exec, exec, s[4:5]
	s_cbranch_execz .LBB135_62
.LBB135_61:
	v_add_u32_e32 v0, v1, v27
	v_mov_b32_e32 v1, 0
	v_lshlrev_b64 v[0:1], 2, v[0:1]
	s_waitcnt lgkmcnt(0)
	v_mov_b32_e32 v2, s13
	v_add_co_u32_e32 v0, vcc, s12, v0
	v_addc_co_u32_e32 v1, vcc, v2, v1, vcc
	global_store_dword v[0:1], v4, off
.LBB135_62:
	s_endpgm
.LBB135_63:
	v_add_u32_e32 v34, v23, v0
	v_mov_b32_e32 v35, 0
	v_lshlrev_b64 v[34:35], 2, v[34:35]
	s_waitcnt lgkmcnt(0)
	v_mov_b32_e32 v1, s13
	v_add_co_u32_e64 v34, s[6:7], s12, v34
	v_addc_co_u32_e64 v35, s[6:7], v1, v35, s[6:7]
	global_store_dword v[34:35], v18, off
	s_or_b64 exec, exec, s[14:15]
	s_and_saveexec_b64 s[14:15], s[0:1]
	s_cbranch_execz .LBB135_23
.LBB135_64:
	v_add_u32_e32 v34, v23, v19
	v_mov_b32_e32 v35, 0
	v_lshlrev_b64 v[34:35], 2, v[34:35]
	s_waitcnt lgkmcnt(0)
	v_mov_b32_e32 v1, s13
	v_add_co_u32_e64 v34, s[6:7], s12, v34
	v_addc_co_u32_e64 v35, s[6:7], v1, v35, s[6:7]
	global_store_dword v[34:35], v30, off
	s_or_b64 exec, exec, s[14:15]
	s_and_saveexec_b64 s[14:15], s[2:3]
	s_cbranch_execz .LBB135_24
.LBB135_65:
	v_add_u32_e32 v34, v23, v31
	v_mov_b32_e32 v35, 0
	v_lshlrev_b64 v[34:35], 2, v[34:35]
	s_waitcnt lgkmcnt(0)
	v_mov_b32_e32 v1, s13
	v_add_co_u32_e64 v34, s[6:7], s12, v34
	v_addc_co_u32_e64 v35, s[6:7], v1, v35, s[6:7]
	global_store_dword v[34:35], v26, off
	s_or_b64 exec, exec, s[14:15]
	s_and_saveexec_b64 s[14:15], s[4:5]
	s_cbranch_execnz .LBB135_25
	s_branch .LBB135_26
.LBB135_66:
	v_add_u32_e32 v22, v18, v0
	v_mov_b32_e32 v23, 0
	v_lshlrev_b64 v[22:23], 2, v[22:23]
	s_waitcnt lgkmcnt(0)
	v_mov_b32_e32 v1, s13
	v_add_co_u32_e64 v22, s[6:7], s12, v22
	v_addc_co_u32_e64 v23, s[6:7], v1, v23, s[6:7]
	global_store_dword v[22:23], v21, off
	s_or_b64 exec, exec, s[14:15]
	s_and_saveexec_b64 s[14:15], s[0:1]
	s_cbranch_execz .LBB135_29
.LBB135_67:
	v_add_u32_e32 v21, v18, v19
	v_mov_b32_e32 v22, 0
	v_lshlrev_b64 v[21:22], 2, v[21:22]
	s_waitcnt lgkmcnt(0)
	v_mov_b32_e32 v1, s13
	v_add_co_u32_e64 v21, s[6:7], s12, v21
	v_addc_co_u32_e64 v22, s[6:7], v1, v22, s[6:7]
	global_store_dword v[21:22], v33, off
	s_or_b64 exec, exec, s[14:15]
	s_and_saveexec_b64 s[14:15], s[2:3]
	s_cbranch_execz .LBB135_30
.LBB135_68:
	v_add_u32_e32 v21, v18, v31
	v_mov_b32_e32 v22, 0
	v_lshlrev_b64 v[21:22], 2, v[21:22]
	s_waitcnt lgkmcnt(0)
	v_mov_b32_e32 v1, s13
	v_add_co_u32_e64 v21, s[6:7], s12, v21
	v_addc_co_u32_e64 v22, s[6:7], v1, v22, s[6:7]
	global_store_dword v[21:22], v29, off
	s_or_b64 exec, exec, s[14:15]
	s_and_saveexec_b64 s[14:15], s[4:5]
	s_cbranch_execnz .LBB135_31
	s_branch .LBB135_32
.LBB135_69:
	v_add_u32_e32 v21, v18, v0
	v_mov_b32_e32 v22, 0
	v_lshlrev_b64 v[21:22], 2, v[21:22]
	s_waitcnt lgkmcnt(0)
	v_mov_b32_e32 v1, s13
	v_add_co_u32_e64 v21, s[6:7], s12, v21
	v_addc_co_u32_e64 v22, s[6:7], v1, v22, s[6:7]
	global_store_dword v[21:22], v20, off
	s_or_b64 exec, exec, s[14:15]
	s_and_saveexec_b64 s[14:15], s[0:1]
	s_cbranch_execz .LBB135_35
.LBB135_70:
	v_add_u32_e32 v20, v18, v19
	v_mov_b32_e32 v21, 0
	v_lshlrev_b64 v[20:21], 2, v[20:21]
	s_waitcnt lgkmcnt(0)
	v_mov_b32_e32 v1, s13
	v_add_co_u32_e64 v20, s[6:7], s12, v20
	v_addc_co_u32_e64 v21, s[6:7], v1, v21, s[6:7]
	global_store_dword v[20:21], v32, off
	s_or_b64 exec, exec, s[14:15]
	s_and_saveexec_b64 s[14:15], s[2:3]
	s_cbranch_execz .LBB135_36
.LBB135_71:
	v_add_u32_e32 v20, v18, v31
	v_mov_b32_e32 v21, 0
	v_lshlrev_b64 v[20:21], 2, v[20:21]
	s_waitcnt lgkmcnt(0)
	v_mov_b32_e32 v1, s13
	v_add_co_u32_e64 v20, s[6:7], s12, v20
	v_addc_co_u32_e64 v21, s[6:7], v1, v21, s[6:7]
	global_store_dword v[20:21], v28, off
	s_or_b64 exec, exec, s[14:15]
	s_and_saveexec_b64 s[14:15], s[4:5]
	s_cbranch_execnz .LBB135_37
	s_branch .LBB135_38
.LBB135_72:
	v_add_u32_e32 v20, v18, v0
	v_mov_b32_e32 v21, 0
	v_lshlrev_b64 v[20:21], 2, v[20:21]
	s_waitcnt lgkmcnt(0)
	v_mov_b32_e32 v1, s13
	v_add_co_u32_e64 v20, s[6:7], s12, v20
	v_addc_co_u32_e64 v21, s[6:7], v1, v21, s[6:7]
	global_store_dword v[20:21], v15, off
	s_or_b64 exec, exec, s[14:15]
	s_and_saveexec_b64 s[14:15], s[0:1]
	s_cbranch_execz .LBB135_41
.LBB135_73:
	v_add_u32_e32 v20, v18, v19
	v_mov_b32_e32 v21, 0
	v_lshlrev_b64 v[20:21], 2, v[20:21]
	s_waitcnt lgkmcnt(0)
	v_mov_b32_e32 v1, s13
	v_add_co_u32_e64 v20, s[6:7], s12, v20
	v_addc_co_u32_e64 v21, s[6:7], v1, v21, s[6:7]
	global_store_dword v[20:21], v11, off
	s_or_b64 exec, exec, s[14:15]
	s_and_saveexec_b64 s[14:15], s[2:3]
	s_cbranch_execz .LBB135_42
.LBB135_74:
	v_add_u32_e32 v20, v18, v31
	v_mov_b32_e32 v21, 0
	v_lshlrev_b64 v[20:21], 2, v[20:21]
	s_waitcnt lgkmcnt(0)
	v_mov_b32_e32 v1, s13
	v_add_co_u32_e64 v20, s[6:7], s12, v20
	v_addc_co_u32_e64 v21, s[6:7], v1, v21, s[6:7]
	global_store_dword v[20:21], v7, off
	s_or_b64 exec, exec, s[14:15]
	s_and_saveexec_b64 s[14:15], s[4:5]
	s_cbranch_execnz .LBB135_43
	s_branch .LBB135_44
.LBB135_75:
	v_add_u32_e32 v20, v3, v0
	v_mov_b32_e32 v21, 0
	v_lshlrev_b64 v[20:21], 2, v[20:21]
	s_waitcnt lgkmcnt(0)
	v_mov_b32_e32 v1, s13
	v_add_co_u32_e64 v20, s[6:7], s12, v20
	v_addc_co_u32_e64 v21, s[6:7], v1, v21, s[6:7]
	global_store_dword v[20:21], v14, off
	s_or_b64 exec, exec, s[14:15]
	s_and_saveexec_b64 s[14:15], s[0:1]
	s_cbranch_execz .LBB135_47
.LBB135_76:
	v_add_u32_e32 v14, v3, v19
	v_mov_b32_e32 v15, 0
	v_lshlrev_b64 v[14:15], 2, v[14:15]
	s_waitcnt lgkmcnt(0)
	v_mov_b32_e32 v1, s13
	v_add_co_u32_e64 v14, s[6:7], s12, v14
	v_addc_co_u32_e64 v15, s[6:7], v1, v15, s[6:7]
	global_store_dword v[14:15], v10, off
	s_or_b64 exec, exec, s[14:15]
	s_and_saveexec_b64 s[14:15], s[2:3]
	s_cbranch_execz .LBB135_48
.LBB135_77:
	v_add_u32_e32 v10, v3, v31
	v_mov_b32_e32 v11, 0
	v_lshlrev_b64 v[10:11], 2, v[10:11]
	s_waitcnt lgkmcnt(0)
	v_mov_b32_e32 v1, s13
	v_add_co_u32_e64 v10, s[6:7], s12, v10
	v_addc_co_u32_e64 v11, s[6:7], v1, v11, s[6:7]
	global_store_dword v[10:11], v6, off
	s_or_b64 exec, exec, s[14:15]
	s_and_saveexec_b64 s[14:15], s[4:5]
	s_cbranch_execnz .LBB135_49
	s_branch .LBB135_50
.LBB135_78:
	v_add_u32_e32 v6, v2, v0
	v_mov_b32_e32 v7, 0
	v_lshlrev_b64 v[6:7], 2, v[6:7]
	s_waitcnt lgkmcnt(0)
	v_mov_b32_e32 v1, s13
	v_add_co_u32_e64 v6, s[6:7], s12, v6
	v_addc_co_u32_e64 v7, s[6:7], v1, v7, s[6:7]
	global_store_dword v[6:7], v17, off
	s_or_b64 exec, exec, s[14:15]
	s_and_saveexec_b64 s[14:15], s[0:1]
	s_cbranch_execz .LBB135_53
.LBB135_79:
	v_add_u32_e32 v6, v2, v19
	v_mov_b32_e32 v7, 0
	v_lshlrev_b64 v[6:7], 2, v[6:7]
	s_waitcnt lgkmcnt(0)
	v_mov_b32_e32 v1, s13
	v_add_co_u32_e64 v6, s[6:7], s12, v6
	v_addc_co_u32_e64 v7, s[6:7], v1, v7, s[6:7]
	global_store_dword v[6:7], v13, off
	s_or_b64 exec, exec, s[14:15]
	s_and_saveexec_b64 s[14:15], s[2:3]
	s_cbranch_execz .LBB135_54
.LBB135_80:
	v_add_u32_e32 v6, v2, v31
	v_mov_b32_e32 v7, 0
	v_lshlrev_b64 v[6:7], 2, v[6:7]
	s_waitcnt lgkmcnt(0)
	v_mov_b32_e32 v1, s13
	v_add_co_u32_e64 v6, s[6:7], s12, v6
	v_addc_co_u32_e64 v7, s[6:7], v1, v7, s[6:7]
	global_store_dword v[6:7], v9, off
	s_or_b64 exec, exec, s[14:15]
	s_and_saveexec_b64 s[14:15], s[4:5]
	s_cbranch_execnz .LBB135_55
	s_branch .LBB135_56
.LBB135_81:
	v_add_u32_e32 v2, v1, v0
	v_mov_b32_e32 v3, 0
	v_lshlrev_b64 v[2:3], 2, v[2:3]
	s_waitcnt lgkmcnt(0)
	v_mov_b32_e32 v0, s13
	v_add_co_u32_e32 v2, vcc, s12, v2
	v_addc_co_u32_e32 v3, vcc, v0, v3, vcc
	global_store_dword v[2:3], v16, off
	s_or_b64 exec, exec, s[6:7]
	s_and_saveexec_b64 s[6:7], s[0:1]
	s_cbranch_execz .LBB135_59
.LBB135_82:
	v_add_u32_e32 v2, v1, v19
	v_mov_b32_e32 v3, 0
	v_lshlrev_b64 v[2:3], 2, v[2:3]
	s_waitcnt lgkmcnt(0)
	v_mov_b32_e32 v0, s13
	v_add_co_u32_e32 v2, vcc, s12, v2
	v_addc_co_u32_e32 v3, vcc, v0, v3, vcc
	global_store_dword v[2:3], v12, off
	s_or_b64 exec, exec, s[6:7]
	s_and_saveexec_b64 s[0:1], s[2:3]
	s_cbranch_execz .LBB135_60
.LBB135_83:
	v_add_u32_e32 v2, v1, v31
	v_mov_b32_e32 v3, 0
	v_lshlrev_b64 v[2:3], 2, v[2:3]
	s_waitcnt lgkmcnt(0)
	v_mov_b32_e32 v0, s13
	v_add_co_u32_e32 v2, vcc, s12, v2
	v_addc_co_u32_e32 v3, vcc, v0, v3, vcc
	global_store_dword v[2:3], v8, off
	s_or_b64 exec, exec, s[0:1]
	s_and_b64 exec, exec, s[4:5]
	s_cbranch_execnz .LBB135_61
	s_branch .LBB135_62
	.section	.rodata,"a",@progbits
	.p2align	6, 0x0
	.amdhsa_kernel _ZL12mul_mat_q6_KIfLb0EEvPKvS1_PT_iiiii
		.amdhsa_group_segment_fixed_size 45136
		.amdhsa_private_segment_fixed_size 116
		.amdhsa_kernarg_size 44
		.amdhsa_user_sgpr_count 6
		.amdhsa_user_sgpr_private_segment_buffer 1
		.amdhsa_user_sgpr_dispatch_ptr 0
		.amdhsa_user_sgpr_queue_ptr 0
		.amdhsa_user_sgpr_kernarg_segment_ptr 1
		.amdhsa_user_sgpr_dispatch_id 0
		.amdhsa_user_sgpr_flat_scratch_init 0
		.amdhsa_user_sgpr_private_segment_size 0
		.amdhsa_uses_dynamic_stack 0
		.amdhsa_system_sgpr_private_segment_wavefront_offset 1
		.amdhsa_system_sgpr_workgroup_id_x 1
		.amdhsa_system_sgpr_workgroup_id_y 1
		.amdhsa_system_sgpr_workgroup_id_z 0
		.amdhsa_system_sgpr_workgroup_info 0
		.amdhsa_system_vgpr_workitem_id 1
		.amdhsa_next_free_vgpr 256
		.amdhsa_next_free_sgpr 98
		.amdhsa_reserve_vcc 1
		.amdhsa_reserve_flat_scratch 0
		.amdhsa_float_round_mode_32 0
		.amdhsa_float_round_mode_16_64 0
		.amdhsa_float_denorm_mode_32 3
		.amdhsa_float_denorm_mode_16_64 3
		.amdhsa_dx10_clamp 1
		.amdhsa_ieee_mode 1
		.amdhsa_fp16_overflow 0
		.amdhsa_exception_fp_ieee_invalid_op 0
		.amdhsa_exception_fp_denorm_src 0
		.amdhsa_exception_fp_ieee_div_zero 0
		.amdhsa_exception_fp_ieee_overflow 0
		.amdhsa_exception_fp_ieee_underflow 0
		.amdhsa_exception_fp_ieee_inexact 0
		.amdhsa_exception_int_div_zero 0
	.end_amdhsa_kernel
	.section	.text._ZL12mul_mat_q6_KIfLb0EEvPKvS1_PT_iiiii,"axG",@progbits,_ZL12mul_mat_q6_KIfLb0EEvPKvS1_PT_iiiii,comdat
.Lfunc_end135:
	.size	_ZL12mul_mat_q6_KIfLb0EEvPKvS1_PT_iiiii, .Lfunc_end135-_ZL12mul_mat_q6_KIfLb0EEvPKvS1_PT_iiiii
                                        ; -- End function
	.set _ZL12mul_mat_q6_KIfLb0EEvPKvS1_PT_iiiii.num_vgpr, 256
	.set _ZL12mul_mat_q6_KIfLb0EEvPKvS1_PT_iiiii.num_agpr, 0
	.set _ZL12mul_mat_q6_KIfLb0EEvPKvS1_PT_iiiii.numbered_sgpr, 28
	.set _ZL12mul_mat_q6_KIfLb0EEvPKvS1_PT_iiiii.num_named_barrier, 0
	.set _ZL12mul_mat_q6_KIfLb0EEvPKvS1_PT_iiiii.private_seg_size, 116
	.set _ZL12mul_mat_q6_KIfLb0EEvPKvS1_PT_iiiii.uses_vcc, 1
	.set _ZL12mul_mat_q6_KIfLb0EEvPKvS1_PT_iiiii.uses_flat_scratch, 0
	.set _ZL12mul_mat_q6_KIfLb0EEvPKvS1_PT_iiiii.has_dyn_sized_stack, 0
	.set _ZL12mul_mat_q6_KIfLb0EEvPKvS1_PT_iiiii.has_recursion, 0
	.set _ZL12mul_mat_q6_KIfLb0EEvPKvS1_PT_iiiii.has_indirect_call, 0
	.section	.AMDGPU.csdata,"",@progbits
; Kernel info:
; codeLenInByte = 23532
; TotalNumSgprs: 32
; NumVgprs: 256
; ScratchSize: 116
; MemoryBound: 0
; FloatMode: 240
; IeeeMode: 1
; LDSByteSize: 45136 bytes/workgroup (compile time only)
; SGPRBlocks: 12
; VGPRBlocks: 63
; NumSGPRsForWavesPerEU: 102
; NumVGPRsForWavesPerEU: 256
; Occupancy: 1
; WaveLimiterHint : 0
; COMPUTE_PGM_RSRC2:SCRATCH_EN: 1
; COMPUTE_PGM_RSRC2:USER_SGPR: 6
; COMPUTE_PGM_RSRC2:TRAP_HANDLER: 0
; COMPUTE_PGM_RSRC2:TGID_X_EN: 1
; COMPUTE_PGM_RSRC2:TGID_Y_EN: 1
; COMPUTE_PGM_RSRC2:TGID_Z_EN: 0
; COMPUTE_PGM_RSRC2:TIDIG_COMP_CNT: 1
	.section	.text._ZL12mul_mat_q6_KIfLb1EEvPKvS1_PT_iiiii,"axG",@progbits,_ZL12mul_mat_q6_KIfLb1EEvPKvS1_PT_iiiii,comdat
	.globl	_ZL12mul_mat_q6_KIfLb1EEvPKvS1_PT_iiiii ; -- Begin function _ZL12mul_mat_q6_KIfLb1EEvPKvS1_PT_iiiii
	.p2align	8
	.type	_ZL12mul_mat_q6_KIfLb1EEvPKvS1_PT_iiiii,@function
_ZL12mul_mat_q6_KIfLb1EEvPKvS1_PT_iiiii: ; @_ZL12mul_mat_q6_KIfLb1EEvPKvS1_PT_iiiii
; %bb.0:
	s_mov_b64 s[26:27], s[2:3]
	s_mov_b64 s[24:25], s[0:1]
	s_add_u32 s24, s24, s8
	s_load_dwordx4 s[8:11], s[4:5], 0x18
	s_load_dword s14, s[4:5], 0x28
	s_addc_u32 s25, s25, 0
	v_mov_b32_e32 v37, v1
	s_lshl_b32 s15, s7, 6
	v_mov_b32_e32 v35, v0
	s_waitcnt lgkmcnt(0)
	s_cmpk_gt_i32 s8, 0xff
	v_add_u32_e32 v34, s15, v37
	s_cbranch_scc1 .LBB136_2
; %bb.1:
	v_add_u32_e32 v0, s15, v37
	s_mov_b64 s[0:1], 0
	s_branch .LBB136_3
.LBB136_2:
	s_mov_b64 s[0:1], -1
                                        ; implicit-def: $vgpr0
.LBB136_3:
	s_load_dwordx2 s[12:13], s[4:5], 0x10
	s_lshl_b32 s6, s6, 7
	v_mov_b32_e32 v5, 0
	s_andn2_b64 vcc, exec, s[0:1]
	v_mov_b32_e32 v4, 0
	v_mov_b32_e32 v3, 0
	;; [unrolled: 1-line block ×31, first 2 shown]
	s_cbranch_vccnz .LBB136_11
; %bb.4:
	s_load_dwordx4 s[0:3], s[4:5], 0x0
	s_ashr_i32 s4, s8, 31
	s_lshr_b32 s4, s4, 24
	s_add_i32 s4, s8, s4
	s_ashr_i32 s5, s11, 31
	s_ashr_i32 s4, s4, 8
	s_lshr_b32 s5, s5, 27
	s_add_i32 s5, s11, s5
	s_mul_i32 s7, s4, s6
	v_lshrrev_b32_e32 v2, 1, v35
	v_and_b32_e32 v3, 7, v35
	s_ashr_i32 s11, s5, 5
	s_mul_hi_i32 s8, s7, 0xd2
	s_mulk_i32 s7, 0xd2
	v_and_b32_e32 v0, 31, v35
	v_and_or_b32 v2, v2, 8, v3
	s_waitcnt lgkmcnt(0)
	s_add_u32 s7, s0, s7
	v_lshlrev_b32_e32 v136, 2, v2
	v_add_u16_e32 v2, -16, v0
	v_cmp_gt_u32_e32 vcc, 16, v0
	s_addc_u32 s8, s1, s8
	s_not_b32 s0, s6
	v_lshlrev_b32_e32 v1, 1, v0
	v_lshlrev_b32_e32 v135, 2, v0
	v_cndmask_b32_e32 v0, v2, v0, vcc
	s_add_i32 s18, s9, s0
	v_cmp_lt_u16_e64 s[0:1], 7, v0
	v_add_u32_e32 v0, 0xe0, v1
	v_cndmask_b32_e32 v0, v0, v1, vcc
	v_and_b32_e32 v0, 0xfe, v0
	v_sub_u32_e32 v0, v1, v0
	v_and_b32_e32 v1, 15, v35
	v_cndmask_b32_e64 v137, 0, 2, s[0:1]
	v_min_i32_e32 v2, s18, v37
	v_add_lshl_u32 v0, v0, v1, 2
	s_movk_i32 s0, 0x104
	v_mul_lo_u32 v3, v2, s4
	v_mad_u64_u32 v[1:2], s[16:17], v2, s0, v[0:1]
	v_add_u32_e32 v13, 8, v37
	buffer_store_dword v3, off, s[24:27], 0 ; 4-byte Folded Spill
	buffer_store_dword v1, off, s[24:27], 0 offset:4 ; 4-byte Folded Spill
	s_nop 0
	buffer_store_dword v2, off, s[24:27], 0 offset:8 ; 4-byte Folded Spill
	v_min_i32_e32 v1, s18, v13
	v_mul_lo_u32 v2, v1, s4
	v_add_u32_e32 v14, 16, v37
	v_add_u32_e32 v15, 24, v37
	;; [unrolled: 1-line block ×3, first 2 shown]
	buffer_store_dword v2, off, s[24:27], 0 offset:12 ; 4-byte Folded Spill
	v_mad_u64_u32 v[1:2], s[16:17], v1, s0, v[0:1]
	buffer_store_dword v1, off, s[24:27], 0 offset:16 ; 4-byte Folded Spill
	s_nop 0
	buffer_store_dword v2, off, s[24:27], 0 offset:20 ; 4-byte Folded Spill
	v_min_i32_e32 v1, s18, v14
	v_mul_lo_u32 v2, v1, s4
	v_add_u32_e32 v17, 40, v37
	v_add_u32_e32 v19, 48, v37
	;; [unrolled: 1-line block ×3, first 2 shown]
	buffer_store_dword v2, off, s[24:27], 0 offset:24 ; 4-byte Folded Spill
	v_mad_u64_u32 v[1:2], s[16:17], v1, s0, v[0:1]
	buffer_store_dword v1, off, s[24:27], 0 offset:28 ; 4-byte Folded Spill
	s_nop 0
	buffer_store_dword v2, off, s[24:27], 0 offset:32 ; 4-byte Folded Spill
	v_min_i32_e32 v1, s18, v15
	v_mul_lo_u32 v2, v1, s4
	v_lshlrev_b32_e32 v154, 5, v37
	s_mov_b32 s1, 0xae40
	v_add_u32_e32 v7, 16, v34
	buffer_store_dword v2, off, s[24:27], 0 offset:36 ; 4-byte Folded Spill
	v_mad_u64_u32 v[1:2], s[16:17], v1, s0, v[0:1]
	buffer_store_dword v1, off, s[24:27], 0 offset:40 ; 4-byte Folded Spill
	s_nop 0
	buffer_store_dword v2, off, s[24:27], 0 offset:44 ; 4-byte Folded Spill
	v_min_i32_e32 v1, s18, v16
	v_mul_lo_u32 v2, v1, s4
	v_cvt_f64_u32_e32 v[7:8], v7
	v_lshrrev_b32_e32 v31, 5, v35
	v_lshlrev_b32_e32 v160, 2, v35
	buffer_store_dword v2, off, s[24:27], 0 offset:48 ; 4-byte Folded Spill
	v_mad_u64_u32 v[1:2], s[16:17], v1, s0, v[0:1]
	buffer_store_dword v1, off, s[24:27], 0 offset:52 ; 4-byte Folded Spill
	s_nop 0
	buffer_store_dword v2, off, s[24:27], 0 offset:56 ; 4-byte Folded Spill
	v_min_i32_e32 v1, s18, v17
	v_mul_lo_u32 v2, v1, s4
	v_mov_b32_e32 v18, 0
	v_and_b32_e32 v21, 28, v160
	v_or_b32_e32 v26, 0x8200, v135
	buffer_store_dword v2, off, s[24:27], 0 offset:60 ; 4-byte Folded Spill
	v_mad_u64_u32 v[1:2], s[16:17], v1, s0, v[0:1]
	buffer_store_dword v1, off, s[24:27], 0 offset:64 ; 4-byte Folded Spill
	s_nop 0
	buffer_store_dword v2, off, s[24:27], 0 offset:68 ; 4-byte Folded Spill
	v_min_i32_e32 v1, s18, v19
	v_mul_lo_u32 v2, v1, s4
	v_lshlrev_b32_e32 v27, 7, v37
	v_lshlrev_b32_e32 v28, 7, v13
	;; [unrolled: 1-line block ×3, first 2 shown]
	buffer_store_dword v2, off, s[24:27], 0 offset:72 ; 4-byte Folded Spill
	v_mad_u64_u32 v[1:2], s[16:17], v1, s0, v[0:1]
	buffer_store_dword v1, off, s[24:27], 0 offset:76 ; 4-byte Folded Spill
	s_nop 0
	buffer_store_dword v2, off, s[24:27], 0 offset:80 ; 4-byte Folded Spill
	v_min_i32_e32 v1, s18, v20
	v_mul_lo_u32 v2, v1, s4
	v_add_co_u32_e32 v67, vcc, s2, v21
	v_mov_b32_e32 v21, v18
	buffer_store_dword v2, off, s[24:27], 0 offset:84 ; 4-byte Folded Spill
	v_mad_u64_u32 v[1:2], s[16:17], v1, s0, v[0:1]
	buffer_store_dword v1, off, s[24:27], 0 offset:88 ; 4-byte Folded Spill
	s_nop 0
	buffer_store_dword v2, off, s[24:27], 0 offset:92 ; 4-byte Folded Spill
	v_add_u32_e32 v1, 64, v37
	v_min_i32_e32 v1, s18, v1
	v_mul_lo_u32 v2, v1, s4
	v_mov_b32_e32 v66, v31
	v_lshlrev_b32_e32 v178, 5, v13
	v_lshlrev_b32_e32 v179, 5, v14
	buffer_store_dword v2, off, s[24:27], 0 offset:96 ; 4-byte Folded Spill
	v_mad_u64_u32 v[1:2], s[16:17], v1, s0, v[0:1]
	buffer_store_dword v1, off, s[24:27], 0 offset:100 ; 4-byte Folded Spill
	s_nop 0
	buffer_store_dword v2, off, s[24:27], 0 offset:104 ; 4-byte Folded Spill
	v_add_u32_e32 v1, 0x48, v37
	v_min_i32_e32 v1, s18, v1
	v_mul_lo_u32 v2, v1, s4
	v_lshlrev_b32_e32 v180, 5, v15
	v_lshlrev_b32_e32 v181, 5, v16
	;; [unrolled: 1-line block ×3, first 2 shown]
	buffer_store_dword v2, off, s[24:27], 0 offset:108 ; 4-byte Folded Spill
	v_mad_u64_u32 v[1:2], s[16:17], v1, s0, v[0:1]
	buffer_store_dword v1, off, s[24:27], 0 offset:112 ; 4-byte Folded Spill
	s_nop 0
	buffer_store_dword v2, off, s[24:27], 0 offset:116 ; 4-byte Folded Spill
	v_add_u32_e32 v1, 0x50, v37
	v_min_i32_e32 v1, s18, v1
	v_mul_lo_u32 v2, v1, s4
	v_lshlrev_b32_e32 v183, 5, v19
	v_lshlrev_b32_e32 v184, 5, v20
	v_add_u32_e32 v191, v26, v27
	buffer_store_dword v2, off, s[24:27], 0 offset:120 ; 4-byte Folded Spill
	v_mad_u64_u32 v[1:2], s[16:17], v1, s0, v[0:1]
	buffer_store_dword v1, off, s[24:27], 0 offset:124 ; 4-byte Folded Spill
	s_nop 0
	buffer_store_dword v2, off, s[24:27], 0 offset:128 ; 4-byte Folded Spill
	v_add_u32_e32 v1, 0x58, v37
	v_min_i32_e32 v1, s18, v1
	v_mul_lo_u32 v2, v1, s4
	v_add_u32_e32 v192, v26, v28
	v_add_u32_e32 v193, v26, v29
	s_movk_i32 s5, 0xd2
	buffer_store_dword v2, off, s[24:27], 0 offset:132 ; 4-byte Folded Spill
	v_mad_u64_u32 v[1:2], s[16:17], v1, s0, v[0:1]
	buffer_store_dword v1, off, s[24:27], 0 offset:136 ; 4-byte Folded Spill
	s_nop 0
	buffer_store_dword v2, off, s[24:27], 0 offset:140 ; 4-byte Folded Spill
	v_add_u32_e32 v1, 0x60, v37
	v_min_i32_e32 v1, s18, v1
	v_mul_lo_u32 v2, v1, s4
	s_mov_b32 s9, 0
	v_lshrrev_b32_e32 v162, 3, v35
	v_mul_u32_u24_e32 v185, 0x104, v35
	buffer_store_dword v2, off, s[24:27], 0 offset:144 ; 4-byte Folded Spill
	v_mad_u64_u32 v[1:2], s[16:17], v1, s0, v[0:1]
	buffer_store_dword v1, off, s[24:27], 0 offset:148 ; 4-byte Folded Spill
	s_nop 0
	buffer_store_dword v2, off, s[24:27], 0 offset:152 ; 4-byte Folded Spill
	v_add_u32_e32 v1, 0x68, v37
	v_min_i32_e32 v1, s18, v1
	v_mul_lo_u32 v2, v1, s4
	v_mov_b32_e32 v199, 8
	buffer_store_dword v2, off, s[24:27], 0 offset:156 ; 4-byte Folded Spill
	v_mad_u64_u32 v[1:2], s[16:17], v1, s0, v[0:1]
	buffer_store_dword v1, off, s[24:27], 0 offset:160 ; 4-byte Folded Spill
	s_nop 0
	buffer_store_dword v2, off, s[24:27], 0 offset:164 ; 4-byte Folded Spill
	v_add_u32_e32 v1, 0x70, v37
	v_min_i32_e32 v1, s18, v1
	v_mul_lo_u32 v2, v1, s4
	buffer_store_dword v2, off, s[24:27], 0 offset:168 ; 4-byte Folded Spill
	v_mad_u64_u32 v[1:2], s[16:17], v1, s0, v[0:1]
	buffer_store_dword v1, off, s[24:27], 0 offset:172 ; 4-byte Folded Spill
	s_nop 0
	buffer_store_dword v2, off, s[24:27], 0 offset:176 ; 4-byte Folded Spill
	v_add_u32_e32 v1, 0x78, v37
	v_min_i32_e32 v1, s18, v1
	v_mul_lo_u32 v2, v1, s4
	v_mad_u64_u32 v[0:1], s[16:17], v1, s0, v[0:1]
	s_mov_b32 s16, 0xa200
	buffer_store_dword v2, off, s[24:27], 0 offset:180 ; 4-byte Folded Spill
	buffer_store_dword v0, off, s[24:27], 0 offset:184 ; 4-byte Folded Spill
	s_nop 0
	buffer_store_dword v1, off, s[24:27], 0 offset:188 ; 4-byte Folded Spill
	v_add_u32_e32 v0, v154, v35
	v_and_b32_e32 v0, 0x7f, v0
	v_min_i32_e32 v0, s18, v0
	v_mul_lo_u32 v1, v0, s4
	buffer_store_dword v1, off, s[24:27], 0 offset:192 ; 4-byte Folded Spill
	v_ashrrev_i32_e32 v1, 31, v0
	v_lshrrev_b32_e32 v1, 27, v1
	v_add_u32_e32 v1, v0, v1
	v_ashrrev_i32_e32 v1, 5, v1
	v_lshlrev_b32_e32 v1, 2, v1
	v_lshlrev_b32_e32 v0, 2, v0
	v_add3_u32 v0, v1, v0, s1
	buffer_store_dword v0, off, s[24:27], 0 offset:196 ; 4-byte Folded Spill
	v_lshrrev_b32_e32 v0, 2, v35
	v_lshl_add_u32 v5, v37, 3, v0
	v_and_b32_e32 v1, 0x7f, v5
	v_min_i32_e32 v2, s18, v1
	v_mul_lo_u32 v3, v2, s4
	v_xor_b32_e32 v1, 64, v1
	v_min_i32_e32 v1, s18, v1
	v_lshlrev_b32_e32 v23, 4, v2
	buffer_store_dword v3, off, s[24:27], 0 offset:200 ; 4-byte Folded Spill
	v_ashrrev_i32_e32 v3, 31, v2
	v_lshrrev_b32_e32 v3, 29, v3
	v_add_u32_e32 v3, v2, v3
	v_mul_lo_u32 v2, v1, s4
	v_and_b32_e32 v0, 3, v35
	v_ashrrev_i32_e32 v3, 3, v3
	v_lshlrev_b32_e32 v157, 2, v0
	buffer_store_dword v2, off, s[24:27], 0 offset:204 ; 4-byte Folded Spill
	v_ashrrev_i32_e32 v2, 31, v1
	v_lshrrev_b32_e32 v2, 29, v2
	v_add_u32_e32 v2, v1, v2
	v_ashrrev_i32_e32 v2, 3, v2
	v_lshlrev_b32_e32 v3, 2, v3
	v_lshlrev_b32_e32 v2, 2, v2
	v_add3_u32 v22, v3, v157, s16
	v_add3_u32 v24, v2, v157, s16
	s_add_i32 s16, s10, -1
	v_lshlrev_b32_e32 v25, 4, v1
	v_cvt_f64_i32_e32 v[1:2], s16
	v_cvt_f64_u32_e32 v[3:4], v34
	v_and_b32_e32 v9, 63, v5
	v_add_u32_e32 v5, 8, v34
	v_cvt_f64_u32_e32 v[5:6], v5
	v_min_f64 v[3:4], v[3:4], v[1:2]
	v_min_f64 v[7:8], v[7:8], v[1:2]
	v_or_b32_e32 v10, s15, v9
	v_min_f64 v[5:6], v[5:6], v[1:2]
	v_min_i32_e32 v10, s16, v10
	v_mad_u64_u32 v[10:11], s[16:17], v10, s11, v[0:1]
	v_lshl_or_b32 v0, v9, 4, v157
	v_cvt_i32_f64_e32 v3, v[3:4]
	v_add_u32_e32 v161, 0xaa40, v0
	buffer_store_dword v10, off, s[24:27], 0 offset:208 ; 4-byte Folded Spill
	s_nop 0
	buffer_store_dword v11, off, s[24:27], 0 offset:212 ; 4-byte Folded Spill
	v_cvt_i32_f64_e32 v0, v[5:6]
	v_mul_lo_u32 v163, s11, v3
	v_cvt_i32_f64_e32 v3, v[7:8]
	v_add_u32_e32 v189, v22, v23
	v_mul_lo_u32 v164, s11, v0
	v_add_u32_e32 v0, 24, v34
	v_mul_lo_u32 v165, s11, v3
	v_cvt_f64_u32_e32 v[3:4], v0
	v_add_u32_e32 v0, 32, v34
	v_cvt_f64_u32_e32 v[5:6], v0
	v_add_u32_e32 v0, 40, v34
	v_min_f64 v[3:4], v[3:4], v[1:2]
	v_cvt_f64_u32_e32 v[7:8], v0
	v_add_u32_e32 v0, 48, v34
	v_cvt_f64_u32_e32 v[9:10], v0
	v_min_f64 v[5:6], v[5:6], v[1:2]
	v_min_f64 v[7:8], v[7:8], v[1:2]
	v_add_u32_e32 v0, 56, v34
	v_cvt_f64_u32_e32 v[11:12], v0
	v_cvt_i32_f64_e32 v30, v[3:4]
	v_min_f64 v[3:4], v[9:10], v[1:2]
	v_add_u32_e32 v190, v24, v25
	v_min_f64 v[0:1], v[11:12], v[1:2]
	v_cvt_i32_f64_e32 v5, v[5:6]
	v_cvt_i32_f64_e32 v6, v[7:8]
	v_mul_lo_u32 v166, s11, v30
	v_lshlrev_b32_e32 v2, 7, v15
	v_mul_lo_u32 v167, s11, v5
	v_cvt_i32_f64_e32 v3, v[3:4]
	v_lshlrev_b32_e32 v4, 2, v31
	v_add3_u32 v171, v160, v4, s1
	v_add_u32_e32 v4, 32, v35
	v_lshrrev_b32_e32 v172, 3, v4
	v_mul_lo_u32 v168, s11, v6
	v_lshlrev_b32_e32 v6, 2, v4
	v_and_b32_e32 v4, 60, v172
	v_add3_u32 v173, v160, v4, s1
	v_add_u32_e32 v4, 64, v35
	v_lshrrev_b32_e32 v174, 3, v4
	v_lshlrev_b32_e32 v7, 2, v4
	v_and_b32_e32 v4, 60, v174
	v_add3_u32 v175, v160, v4, s1
	v_add_u32_e32 v4, 0x60, v35
	v_cvt_i32_f64_e32 v0, v[0:1]
	v_lshrrev_b32_e32 v176, 3, v4
	v_lshlrev_b32_e32 v8, 2, v4
	v_and_b32_e32 v4, 60, v176
	v_add3_u32 v177, v160, v4, s1
	v_mov_b32_e32 v4, 0x2080
	v_mad_u32_u24 v186, v35, s0, v4
	v_mov_b32_e32 v4, 0x4100
	v_mul_lo_u32 v169, s11, v3
	v_mul_lo_u32 v170, s11, v0
	v_mad_u32_u24 v187, v35, s0, v4
	v_mov_b32_e32 v4, 0x6180
	v_lshlrev_b32_e32 v5, 7, v16
	v_lshlrev_b32_e32 v1, 7, v17
	;; [unrolled: 1-line block ×4, first 2 shown]
	v_mad_u32_u24 v188, v35, s0, v4
	v_mov_b32_e32 v4, s3
	v_addc_co_u32_e32 v68, vcc, 0, v4, vcc
	v_mov_b32_e32 v19, v18
	v_mov_b32_e32 v20, v18
	v_add_u32_e32 v194, v26, v2
	v_add_u32_e32 v195, v26, v5
	;; [unrolled: 1-line block ×5, first 2 shown]
	v_lshlrev_b32_e32 v200, 2, v6
	v_lshlrev_b32_e32 v201, 2, v7
	;; [unrolled: 1-line block ×3, first 2 shown]
	v_mov_b32_e32 v14, v18
	v_mov_b32_e32 v33, v21
	;; [unrolled: 1-line block ×7, first 2 shown]
	s_mov_b32 s11, 0x30303030
	s_movk_i32 s16, 0x3f00
	s_movk_i32 s17, 0xe000
	v_mov_b32_e32 v15, v19
	v_mov_b32_e32 v16, v20
	;; [unrolled: 1-line block ×21, first 2 shown]
	buffer_store_dword v37, off, s[24:27], 0 offset:216 ; 4-byte Folded Spill
	buffer_store_dword v34, off, s[24:27], 0 offset:224 ; 4-byte Folded Spill
	;; [unrolled: 1-line block ×3, first 2 shown]
.LBB136_5:                              ; =>This Loop Header: Depth=1
                                        ;     Child Loop BB136_6 Depth 2
                                        ;     Child Loop BB136_8 Depth 2
	buffer_load_dword v0, off, s[24:27], 0  ; 4-byte Folded Reload
	buffer_load_dword v40, off, s[24:27], 0 offset:12 ; 4-byte Folded Reload
	s_mul_i32 s0, s9, 0xd2
	s_mul_hi_u32 s1, s9, 0xd2
	s_add_u32 s0, s7, s0
	s_addc_u32 s1, s8, s1
	v_mov_b32_e32 v35, s1
	v_mov_b32_e32 v34, s0
	v_mad_u64_u32 v[36:37], s[0:1], v66, s5, v[34:35]
	s_lshl_b32 s18, s9, 3
	s_mov_b32 s20, 0
	s_waitcnt vmcnt(1)
	v_mad_i64_i32 v[0:1], s[0:1], v0, s5, v[36:37]
	s_waitcnt vmcnt(0)
	v_mad_i64_i32 v[40:41], s[0:1], v40, s5, v[36:37]
	v_add_co_u32_e32 v38, vcc, v0, v135
	v_addc_co_u32_e32 v39, vcc, 0, v1, vcc
	v_add_co_u32_e32 v0, vcc, v0, v136
	v_addc_co_u32_e32 v1, vcc, 0, v1, vcc
	;; [unrolled: 2-line block ×3, first 2 shown]
	global_load_dword v44, v[38:39], off
	global_load_dword v45, v[0:1], off offset:128
	s_nop 0
	global_load_dword v42, v[42:43], off
	v_add_co_u32_e32 v0, vcc, v40, v136
	v_addc_co_u32_e32 v1, vcc, 0, v41, vcc
	global_load_dword v40, v[0:1], off offset:128
	s_waitcnt vmcnt(0)
	v_ashrrev_i32_e32 v40, v137, v40
	buffer_load_dword v0, off, s[24:27], 0 offset:24 ; 4-byte Folded Reload
	s_waitcnt vmcnt(0)
	v_mad_i64_i32 v[0:1], s[0:1], v0, s5, v[36:37]
	v_add_co_u32_e32 v38, vcc, v0, v135
	v_addc_co_u32_e32 v39, vcc, 0, v1, vcc
	v_add_co_u32_e32 v0, vcc, v0, v136
	v_addc_co_u32_e32 v1, vcc, 0, v1, vcc
	global_load_dword v41, v[38:39], off
	global_load_dword v43, v[0:1], off offset:128
	s_nop 0
	buffer_load_dword v0, off, s[24:27], 0 offset:36 ; 4-byte Folded Reload
	s_waitcnt vmcnt(0)
	v_mad_i64_i32 v[0:1], s[0:1], v0, s5, v[36:37]
	v_add_co_u32_e32 v38, vcc, v0, v135
	v_addc_co_u32_e32 v39, vcc, 0, v1, vcc
	v_add_co_u32_e32 v0, vcc, v0, v136
	v_addc_co_u32_e32 v1, vcc, 0, v1, vcc
	global_load_dword v46, v[38:39], off
	global_load_dword v47, v[0:1], off offset:128
	v_lshrrev_b32_e32 v1, 4, v44
	v_ashrrev_i32_e32 v38, v137, v45
	v_and_b32_e32 v0, 0xf0f0f0f, v44
	v_and_b32_e32 v39, 0xf0f0f0f, v42
	;; [unrolled: 1-line block ×3, first 2 shown]
	v_lshlrev_b32_e32 v44, 4, v38
	v_lshlrev_b32_e32 v45, 4, v40
	v_and_or_b32 v0, v44, s11, v0
	v_and_or_b32 v1, v38, s11, v1
	;; [unrolled: 1-line block ×3, first 2 shown]
	v_and_b32_e32 v39, 0x3f00, v0
	v_lshlrev_b16_e32 v44, 8, v0
	v_and_b32_sdwa v45, v0, s16 dst_sel:DWORD dst_unused:UNUSED_PAD src0_sel:WORD_1 src1_sel:DWORD
	v_lshlrev_b16_sdwa v0, v199, v0 dst_sel:DWORD dst_unused:UNUSED_PAD src0_sel:DWORD src1_sel:WORD_1
	v_and_b32_e32 v48, 0x3f00, v1
	v_lshlrev_b16_e32 v49, 8, v1
	v_and_b32_sdwa v50, v1, s16 dst_sel:DWORD dst_unused:UNUSED_PAD src0_sel:WORD_1 src1_sel:DWORD
	v_lshlrev_b16_sdwa v1, v199, v1 dst_sel:DWORD dst_unused:UNUSED_PAD src0_sel:DWORD src1_sel:WORD_1
	;; [unrolled: 4-line block ×3, first 2 shown]
	v_add_u16_e32 v44, 0xe000, v44
	v_add_u16_e32 v0, 0xe000, v0
	;; [unrolled: 1-line block ×6, first 2 shown]
	v_or_b32_sdwa v39, v39, v44 dst_sel:DWORD dst_unused:UNUSED_PAD src0_sel:DWORD src1_sel:BYTE_1
	v_or_b32_sdwa v0, v45, v0 dst_sel:DWORD dst_unused:UNUSED_PAD src0_sel:DWORD src1_sel:BYTE_1
	v_or_b32_sdwa v44, v48, v49 dst_sel:DWORD dst_unused:UNUSED_PAD src0_sel:DWORD src1_sel:BYTE_1
	v_or_b32_sdwa v1, v50, v1 dst_sel:DWORD dst_unused:UNUSED_PAD src0_sel:DWORD src1_sel:BYTE_1
	v_or_b32_sdwa v45, v51, v52 dst_sel:DWORD dst_unused:UNUSED_PAD src0_sel:DWORD src1_sel:BYTE_1
	v_or_b32_sdwa v38, v53, v38 dst_sel:DWORD dst_unused:UNUSED_PAD src0_sel:DWORD src1_sel:BYTE_1
	v_add_u16_e32 v44, 0xe000, v44
	v_add_u16_sdwa v1, v1, s17 dst_sel:WORD_1 dst_unused:UNUSED_PAD src0_sel:DWORD src1_sel:DWORD
	v_add_u16_e32 v45, 0xe000, v45
	v_add_u16_sdwa v38, v38, s17 dst_sel:WORD_1 dst_unused:UNUSED_PAD src0_sel:DWORD src1_sel:DWORD
	v_or_b32_e32 v1, v44, v1
	v_or_b32_e32 v38, v45, v38
	buffer_load_dword v44, off, s[24:27], 0 offset:4 ; 4-byte Folded Reload
	buffer_load_dword v45, off, s[24:27], 0 offset:8 ; 4-byte Folded Reload
	v_lshrrev_b32_e32 v42, 4, v42
	v_add_u16_e32 v39, 0xe000, v39
	v_add_u16_sdwa v0, v0, s17 dst_sel:WORD_1 dst_unused:UNUSED_PAD src0_sel:DWORD src1_sel:DWORD
	v_and_b32_e32 v42, 0xf0f0f0f, v42
	v_or_b32_e32 v0, v39, v0
	v_add_u32_e32 v52, s18, v162
	s_waitcnt vmcnt(1)
	ds_write2_b32 v44, v0, v1 offset1:16
	v_and_or_b32 v0, v40, s11, v42
	v_lshlrev_b16_e32 v39, 8, v0
	v_and_b32_e32 v1, 0x3f00, v0
	v_add_u16_e32 v39, 0xe000, v39
	v_or_b32_sdwa v1, v1, v39 dst_sel:DWORD dst_unused:UNUSED_PAD src0_sel:DWORD src1_sel:BYTE_1
	v_and_b32_sdwa v39, v0, s16 dst_sel:DWORD dst_unused:UNUSED_PAD src0_sel:WORD_1 src1_sel:DWORD
	v_lshlrev_b16_sdwa v0, v199, v0 dst_sel:DWORD dst_unused:UNUSED_PAD src0_sel:DWORD src1_sel:WORD_1
	v_add_u16_e32 v0, 0xe000, v0
	v_or_b32_sdwa v0, v39, v0 dst_sel:DWORD dst_unused:UNUSED_PAD src0_sel:DWORD src1_sel:BYTE_1
	buffer_load_dword v39, off, s[24:27], 0 offset:16 ; 4-byte Folded Reload
	buffer_load_dword v40, off, s[24:27], 0 offset:20 ; 4-byte Folded Reload
	v_add_u16_e32 v1, 0xe000, v1
	v_add_u16_sdwa v0, v0, s17 dst_sel:WORD_1 dst_unused:UNUSED_PAD src0_sel:DWORD src1_sel:DWORD
	v_or_b32_e32 v0, v1, v0
	v_lshrrev_b32_e32 v1, 4, v41
	v_and_b32_e32 v1, 0xf0f0f0f, v1
	s_waitcnt vmcnt(1)
	ds_write2_b32 v39, v38, v0 offset1:16
	v_ashrrev_i32_e32 v38, v137, v43
	v_and_b32_e32 v0, 0xf0f0f0f, v41
	v_lshlrev_b32_e32 v39, 4, v38
	v_and_or_b32 v0, v39, s11, v0
	s_waitcnt vmcnt(0)
	v_lshlrev_b16_e32 v40, 8, v0
	v_and_b32_e32 v39, 0x3f00, v0
	v_add_u16_e32 v40, 0xe000, v40
	v_or_b32_sdwa v39, v39, v40 dst_sel:DWORD dst_unused:UNUSED_PAD src0_sel:DWORD src1_sel:BYTE_1
	v_and_b32_sdwa v40, v0, s16 dst_sel:DWORD dst_unused:UNUSED_PAD src0_sel:WORD_1 src1_sel:DWORD
	v_lshlrev_b16_sdwa v0, v199, v0 dst_sel:DWORD dst_unused:UNUSED_PAD src0_sel:DWORD src1_sel:WORD_1
	v_add_u16_e32 v0, 0xe000, v0
	v_or_b32_sdwa v0, v40, v0 dst_sel:DWORD dst_unused:UNUSED_PAD src0_sel:DWORD src1_sel:BYTE_1
	v_add_u16_e32 v39, 0xe000, v39
	v_add_u16_sdwa v0, v0, s17 dst_sel:WORD_1 dst_unused:UNUSED_PAD src0_sel:DWORD src1_sel:DWORD
	v_or_b32_e32 v40, v39, v0
	buffer_load_dword v0, off, s[24:27], 0 offset:48 ; 4-byte Folded Reload
	v_and_or_b32 v41, v38, s11, v1
	v_lshlrev_b16_e32 v43, 8, v41
	v_and_b32_e32 v42, 0x3f00, v41
	s_waitcnt vmcnt(0)
	v_mad_i64_i32 v[0:1], s[0:1], v0, s5, v[36:37]
	v_add_co_u32_e32 v38, vcc, v0, v135
	v_addc_co_u32_e32 v39, vcc, 0, v1, vcc
	v_add_co_u32_e32 v0, vcc, v0, v136
	v_addc_co_u32_e32 v1, vcc, 0, v1, vcc
	global_load_dword v44, v[38:39], off
	global_load_dword v45, v[0:1], off offset:128
	v_lshlrev_b16_sdwa v38, v199, v41 dst_sel:DWORD dst_unused:UNUSED_PAD src0_sel:DWORD src1_sel:WORD_1
	v_and_b32_sdwa v1, v41, s16 dst_sel:DWORD dst_unused:UNUSED_PAD src0_sel:WORD_1 src1_sel:DWORD
	v_add_u16_e32 v38, 0xe000, v38
	v_or_b32_sdwa v1, v1, v38 dst_sel:DWORD dst_unused:UNUSED_PAD src0_sel:DWORD src1_sel:BYTE_1
	buffer_load_dword v38, off, s[24:27], 0 offset:28 ; 4-byte Folded Reload
	buffer_load_dword v39, off, s[24:27], 0 offset:32 ; 4-byte Folded Reload
	v_add_u16_e32 v0, 0xe000, v43
	v_or_b32_sdwa v0, v42, v0 dst_sel:DWORD dst_unused:UNUSED_PAD src0_sel:DWORD src1_sel:BYTE_1
	v_add_u16_e32 v0, 0xe000, v0
	v_add_u16_sdwa v1, v1, s17 dst_sel:WORD_1 dst_unused:UNUSED_PAD src0_sel:DWORD src1_sel:DWORD
	v_or_b32_e32 v0, v0, v1
	v_lshrrev_b32_e32 v1, 4, v46
	v_ashrrev_i32_e32 v41, v137, v47
	s_waitcnt vmcnt(1)
	ds_write2_b32 v38, v40, v0 offset1:16
	v_and_b32_e32 v0, 0xf0f0f0f, v46
	v_and_b32_e32 v40, 0xf0f0f0f, v1
	v_lshlrev_b32_e32 v1, 4, v41
	v_and_or_b32 v42, v1, s11, v0
	buffer_load_dword v0, off, s[24:27], 0 offset:60 ; 4-byte Folded Reload
	v_lshlrev_b16_e32 v46, 8, v42
	v_and_b32_e32 v43, 0x3f00, v42
	s_waitcnt vmcnt(0)
	v_mad_i64_i32 v[0:1], s[0:1], v0, s5, v[36:37]
	v_add_co_u32_e32 v38, vcc, v0, v135
	v_addc_co_u32_e32 v39, vcc, 0, v1, vcc
	v_add_co_u32_e32 v0, vcc, v0, v136
	v_addc_co_u32_e32 v1, vcc, 0, v1, vcc
	global_load_dword v47, v[38:39], off
	global_load_dword v48, v[0:1], off offset:128
	v_lshlrev_b16_sdwa v38, v199, v42 dst_sel:DWORD dst_unused:UNUSED_PAD src0_sel:DWORD src1_sel:WORD_1
	v_add_u16_e32 v0, 0xe000, v46
	v_and_b32_sdwa v1, v42, s16 dst_sel:DWORD dst_unused:UNUSED_PAD src0_sel:WORD_1 src1_sel:DWORD
	v_add_u16_e32 v38, 0xe000, v38
	v_or_b32_sdwa v0, v43, v0 dst_sel:DWORD dst_unused:UNUSED_PAD src0_sel:DWORD src1_sel:BYTE_1
	v_or_b32_sdwa v1, v1, v38 dst_sel:DWORD dst_unused:UNUSED_PAD src0_sel:DWORD src1_sel:BYTE_1
	v_add_u16_e32 v0, 0xe000, v0
	v_add_u16_sdwa v1, v1, s17 dst_sel:WORD_1 dst_unused:UNUSED_PAD src0_sel:DWORD src1_sel:DWORD
	v_and_or_b32 v38, v41, s11, v40
	v_or_b32_e32 v42, v0, v1
	v_lshlrev_b16_e32 v1, 8, v38
	v_and_b32_e32 v0, 0x3f00, v38
	v_add_u16_e32 v1, 0xe000, v1
	v_or_b32_sdwa v0, v0, v1 dst_sel:DWORD dst_unused:UNUSED_PAD src0_sel:DWORD src1_sel:BYTE_1
	v_add_u16_e32 v40, 0xe000, v0
	buffer_load_dword v0, off, s[24:27], 0 offset:72 ; 4-byte Folded Reload
	v_and_b32_sdwa v41, v38, s16 dst_sel:DWORD dst_unused:UNUSED_PAD src0_sel:WORD_1 src1_sel:DWORD
	v_lshlrev_b16_sdwa v38, v199, v38 dst_sel:DWORD dst_unused:UNUSED_PAD src0_sel:DWORD src1_sel:WORD_1
	v_add_u16_e32 v43, 0xe000, v38
	s_waitcnt vmcnt(0)
	v_mad_i64_i32 v[0:1], s[0:1], v0, s5, v[36:37]
	v_add_co_u32_e32 v38, vcc, v0, v135
	v_addc_co_u32_e32 v39, vcc, 0, v1, vcc
	v_add_co_u32_e32 v0, vcc, v0, v136
	v_addc_co_u32_e32 v1, vcc, 0, v1, vcc
	global_load_dword v46, v[38:39], off
	global_load_dword v49, v[0:1], off offset:128
	v_or_b32_sdwa v0, v41, v43 dst_sel:DWORD dst_unused:UNUSED_PAD src0_sel:DWORD src1_sel:BYTE_1
	v_add_u16_sdwa v38, v0, s17 dst_sel:WORD_1 dst_unused:UNUSED_PAD src0_sel:DWORD src1_sel:DWORD
	buffer_load_dword v0, off, s[24:27], 0 offset:84 ; 4-byte Folded Reload
	v_or_b32_e32 v38, v40, v38
	buffer_load_dword v39, off, s[24:27], 0 offset:40 ; 4-byte Folded Reload
	buffer_load_dword v40, off, s[24:27], 0 offset:44 ; 4-byte Folded Reload
	s_waitcnt vmcnt(2)
	v_mad_i64_i32 v[0:1], s[0:1], v0, s5, v[36:37]
	s_waitcnt vmcnt(1)
	ds_write2_b32 v39, v42, v38 offset1:16
	v_add_co_u32_e32 v38, vcc, v0, v135
	v_addc_co_u32_e32 v39, vcc, 0, v1, vcc
	v_add_co_u32_e32 v0, vcc, v0, v136
	v_addc_co_u32_e32 v1, vcc, 0, v1, vcc
	global_load_dword v40, v[38:39], off
	global_load_dword v41, v[0:1], off offset:128
	v_ashrrev_i32_e32 v38, v137, v45
	v_and_b32_e32 v0, 0xf0f0f0f, v44
	v_lshlrev_b32_e32 v39, 4, v38
	v_and_or_b32 v0, v39, s11, v0
	v_lshlrev_b16_e32 v42, 8, v0
	v_and_b32_e32 v39, 0x3f00, v0
	v_add_u16_e32 v42, 0xe000, v42
	v_or_b32_sdwa v39, v39, v42 dst_sel:DWORD dst_unused:UNUSED_PAD src0_sel:DWORD src1_sel:BYTE_1
	v_and_b32_sdwa v42, v0, s16 dst_sel:DWORD dst_unused:UNUSED_PAD src0_sel:WORD_1 src1_sel:DWORD
	v_lshlrev_b16_sdwa v0, v199, v0 dst_sel:DWORD dst_unused:UNUSED_PAD src0_sel:DWORD src1_sel:WORD_1
	v_lshrrev_b32_e32 v1, 4, v44
	v_add_u16_e32 v0, 0xe000, v0
	v_and_b32_e32 v1, 0xf0f0f0f, v1
	v_or_b32_sdwa v0, v42, v0 dst_sel:DWORD dst_unused:UNUSED_PAD src0_sel:DWORD src1_sel:BYTE_1
	v_add_u16_e32 v39, 0xe000, v39
	v_add_u16_sdwa v0, v0, s17 dst_sel:WORD_1 dst_unused:UNUSED_PAD src0_sel:DWORD src1_sel:DWORD
	v_and_or_b32 v1, v38, s11, v1
	v_or_b32_e32 v0, v39, v0
	v_lshlrev_b16_e32 v39, 8, v1
	v_and_b32_e32 v38, 0x3f00, v1
	v_add_u16_e32 v39, 0xe000, v39
	v_or_b32_sdwa v38, v38, v39 dst_sel:DWORD dst_unused:UNUSED_PAD src0_sel:DWORD src1_sel:BYTE_1
	v_and_b32_sdwa v39, v1, s16 dst_sel:DWORD dst_unused:UNUSED_PAD src0_sel:WORD_1 src1_sel:DWORD
	v_lshlrev_b16_sdwa v1, v199, v1 dst_sel:DWORD dst_unused:UNUSED_PAD src0_sel:DWORD src1_sel:WORD_1
	v_add_u16_e32 v1, 0xe000, v1
	v_or_b32_sdwa v1, v39, v1 dst_sel:DWORD dst_unused:UNUSED_PAD src0_sel:DWORD src1_sel:BYTE_1
	v_add_u16_e32 v38, 0xe000, v38
	v_add_u16_sdwa v1, v1, s17 dst_sel:WORD_1 dst_unused:UNUSED_PAD src0_sel:DWORD src1_sel:DWORD
	v_or_b32_e32 v1, v38, v1
	buffer_load_dword v38, off, s[24:27], 0 offset:52 ; 4-byte Folded Reload
	buffer_load_dword v39, off, s[24:27], 0 offset:56 ; 4-byte Folded Reload
	s_waitcnt vmcnt(2)
	v_ashrrev_i32_e32 v41, v137, v41
	s_waitcnt vmcnt(1)
	ds_write2_b32 v38, v0, v1 offset1:16
	v_ashrrev_i32_e32 v38, v137, v48
	v_and_b32_e32 v0, 0xf0f0f0f, v47
	s_waitcnt vmcnt(0)
	v_lshlrev_b32_e32 v39, 4, v38
	v_and_or_b32 v0, v39, s11, v0
	v_lshlrev_b16_e32 v42, 8, v0
	v_and_b32_e32 v39, 0x3f00, v0
	v_add_u16_e32 v42, 0xe000, v42
	v_or_b32_sdwa v39, v39, v42 dst_sel:DWORD dst_unused:UNUSED_PAD src0_sel:DWORD src1_sel:BYTE_1
	v_and_b32_sdwa v42, v0, s16 dst_sel:DWORD dst_unused:UNUSED_PAD src0_sel:WORD_1 src1_sel:DWORD
	v_lshlrev_b16_sdwa v0, v199, v0 dst_sel:DWORD dst_unused:UNUSED_PAD src0_sel:DWORD src1_sel:WORD_1
	v_lshrrev_b32_e32 v1, 4, v47
	v_add_u16_e32 v0, 0xe000, v0
	v_and_b32_e32 v1, 0xf0f0f0f, v1
	v_or_b32_sdwa v0, v42, v0 dst_sel:DWORD dst_unused:UNUSED_PAD src0_sel:DWORD src1_sel:BYTE_1
	v_add_u16_e32 v39, 0xe000, v39
	v_add_u16_sdwa v0, v0, s17 dst_sel:WORD_1 dst_unused:UNUSED_PAD src0_sel:DWORD src1_sel:DWORD
	v_and_or_b32 v1, v38, s11, v1
	v_or_b32_e32 v0, v39, v0
	v_lshlrev_b16_e32 v39, 8, v1
	v_and_b32_e32 v38, 0x3f00, v1
	v_add_u16_e32 v39, 0xe000, v39
	v_or_b32_sdwa v38, v38, v39 dst_sel:DWORD dst_unused:UNUSED_PAD src0_sel:DWORD src1_sel:BYTE_1
	v_and_b32_sdwa v39, v1, s16 dst_sel:DWORD dst_unused:UNUSED_PAD src0_sel:WORD_1 src1_sel:DWORD
	v_lshlrev_b16_sdwa v1, v199, v1 dst_sel:DWORD dst_unused:UNUSED_PAD src0_sel:DWORD src1_sel:WORD_1
	v_add_u16_e32 v1, 0xe000, v1
	v_or_b32_sdwa v1, v39, v1 dst_sel:DWORD dst_unused:UNUSED_PAD src0_sel:DWORD src1_sel:BYTE_1
	v_add_u16_e32 v38, 0xe000, v38
	v_add_u16_sdwa v1, v1, s17 dst_sel:WORD_1 dst_unused:UNUSED_PAD src0_sel:DWORD src1_sel:DWORD
	v_or_b32_e32 v1, v38, v1
	buffer_load_dword v38, off, s[24:27], 0 offset:64 ; 4-byte Folded Reload
	buffer_load_dword v39, off, s[24:27], 0 offset:68 ; 4-byte Folded Reload
	s_waitcnt vmcnt(1)
	ds_write2_b32 v38, v0, v1 offset1:16
	v_ashrrev_i32_e32 v38, v137, v49
	v_and_b32_e32 v0, 0xf0f0f0f, v46
	s_waitcnt vmcnt(0)
	v_lshlrev_b32_e32 v39, 4, v38
	v_and_or_b32 v0, v39, s11, v0
	v_lshlrev_b16_e32 v42, 8, v0
	v_and_b32_e32 v39, 0x3f00, v0
	v_add_u16_e32 v42, 0xe000, v42
	v_or_b32_sdwa v39, v39, v42 dst_sel:DWORD dst_unused:UNUSED_PAD src0_sel:DWORD src1_sel:BYTE_1
	v_and_b32_sdwa v42, v0, s16 dst_sel:DWORD dst_unused:UNUSED_PAD src0_sel:WORD_1 src1_sel:DWORD
	v_lshlrev_b16_sdwa v0, v199, v0 dst_sel:DWORD dst_unused:UNUSED_PAD src0_sel:DWORD src1_sel:WORD_1
	v_add_u16_e32 v0, 0xe000, v0
	v_or_b32_sdwa v0, v42, v0 dst_sel:DWORD dst_unused:UNUSED_PAD src0_sel:DWORD src1_sel:BYTE_1
	v_add_u16_e32 v39, 0xe000, v39
	v_add_u16_sdwa v0, v0, s17 dst_sel:WORD_1 dst_unused:UNUSED_PAD src0_sel:DWORD src1_sel:DWORD
	v_or_b32_e32 v42, v39, v0
	buffer_load_dword v0, off, s[24:27], 0 offset:96 ; 4-byte Folded Reload
	v_lshrrev_b32_e32 v1, 4, v46
	v_and_b32_e32 v1, 0xf0f0f0f, v1
	v_and_or_b32 v43, v38, s11, v1
	v_lshlrev_b16_e32 v45, 8, v43
	v_and_b32_e32 v44, 0x3f00, v43
	s_waitcnt vmcnt(0)
	v_mad_i64_i32 v[0:1], s[0:1], v0, s5, v[36:37]
	v_add_co_u32_e32 v38, vcc, v0, v135
	v_addc_co_u32_e32 v39, vcc, 0, v1, vcc
	v_add_co_u32_e32 v0, vcc, v0, v136
	v_addc_co_u32_e32 v1, vcc, 0, v1, vcc
	global_load_dword v46, v[38:39], off
	global_load_dword v47, v[0:1], off offset:128
	v_lshlrev_b16_sdwa v38, v199, v43 dst_sel:DWORD dst_unused:UNUSED_PAD src0_sel:DWORD src1_sel:WORD_1
	v_and_b32_sdwa v1, v43, s16 dst_sel:DWORD dst_unused:UNUSED_PAD src0_sel:WORD_1 src1_sel:DWORD
	v_add_u16_e32 v38, 0xe000, v38
	v_or_b32_sdwa v1, v1, v38 dst_sel:DWORD dst_unused:UNUSED_PAD src0_sel:DWORD src1_sel:BYTE_1
	buffer_load_dword v38, off, s[24:27], 0 offset:76 ; 4-byte Folded Reload
	buffer_load_dword v39, off, s[24:27], 0 offset:80 ; 4-byte Folded Reload
	v_add_u16_e32 v0, 0xe000, v45
	v_or_b32_sdwa v0, v44, v0 dst_sel:DWORD dst_unused:UNUSED_PAD src0_sel:DWORD src1_sel:BYTE_1
	v_add_u16_e32 v0, 0xe000, v0
	v_add_u16_sdwa v1, v1, s17 dst_sel:WORD_1 dst_unused:UNUSED_PAD src0_sel:DWORD src1_sel:DWORD
	v_or_b32_e32 v0, v0, v1
	v_lshrrev_b32_e32 v1, 4, v40
	s_waitcnt vmcnt(1)
	ds_write2_b32 v38, v42, v0 offset1:16
	v_and_b32_e32 v0, 0xf0f0f0f, v40
	v_and_b32_e32 v40, 0xf0f0f0f, v1
	v_lshlrev_b32_e32 v1, 4, v41
	v_and_or_b32 v42, v1, s11, v0
	buffer_load_dword v0, off, s[24:27], 0 offset:108 ; 4-byte Folded Reload
	v_lshlrev_b16_e32 v44, 8, v42
	v_and_b32_e32 v43, 0x3f00, v42
	s_waitcnt vmcnt(0)
	v_mad_i64_i32 v[0:1], s[0:1], v0, s5, v[36:37]
	v_add_co_u32_e32 v38, vcc, v0, v135
	v_addc_co_u32_e32 v39, vcc, 0, v1, vcc
	v_add_co_u32_e32 v0, vcc, v0, v136
	v_addc_co_u32_e32 v1, vcc, 0, v1, vcc
	global_load_dword v45, v[38:39], off
	global_load_dword v48, v[0:1], off offset:128
	v_lshlrev_b16_sdwa v38, v199, v42 dst_sel:DWORD dst_unused:UNUSED_PAD src0_sel:DWORD src1_sel:WORD_1
	v_add_u16_e32 v0, 0xe000, v44
	v_and_b32_sdwa v1, v42, s16 dst_sel:DWORD dst_unused:UNUSED_PAD src0_sel:WORD_1 src1_sel:DWORD
	v_add_u16_e32 v38, 0xe000, v38
	v_or_b32_sdwa v0, v43, v0 dst_sel:DWORD dst_unused:UNUSED_PAD src0_sel:DWORD src1_sel:BYTE_1
	v_or_b32_sdwa v1, v1, v38 dst_sel:DWORD dst_unused:UNUSED_PAD src0_sel:DWORD src1_sel:BYTE_1
	v_add_u16_e32 v0, 0xe000, v0
	v_add_u16_sdwa v1, v1, s17 dst_sel:WORD_1 dst_unused:UNUSED_PAD src0_sel:DWORD src1_sel:DWORD
	v_and_or_b32 v38, v41, s11, v40
	v_or_b32_e32 v42, v0, v1
	v_lshlrev_b16_e32 v1, 8, v38
	v_and_b32_e32 v0, 0x3f00, v38
	v_add_u16_e32 v1, 0xe000, v1
	v_or_b32_sdwa v0, v0, v1 dst_sel:DWORD dst_unused:UNUSED_PAD src0_sel:DWORD src1_sel:BYTE_1
	v_add_u16_e32 v40, 0xe000, v0
	buffer_load_dword v0, off, s[24:27], 0 offset:120 ; 4-byte Folded Reload
	v_and_b32_sdwa v41, v38, s16 dst_sel:DWORD dst_unused:UNUSED_PAD src0_sel:WORD_1 src1_sel:DWORD
	v_lshlrev_b16_sdwa v38, v199, v38 dst_sel:DWORD dst_unused:UNUSED_PAD src0_sel:DWORD src1_sel:WORD_1
	v_add_u16_e32 v43, 0xe000, v38
	s_waitcnt vmcnt(0)
	v_mad_i64_i32 v[0:1], s[0:1], v0, s5, v[36:37]
	v_add_co_u32_e32 v38, vcc, v0, v135
	v_addc_co_u32_e32 v39, vcc, 0, v1, vcc
	v_add_co_u32_e32 v0, vcc, v0, v136
	v_addc_co_u32_e32 v1, vcc, 0, v1, vcc
	global_load_dword v44, v[38:39], off
	global_load_dword v49, v[0:1], off offset:128
	v_or_b32_sdwa v0, v41, v43 dst_sel:DWORD dst_unused:UNUSED_PAD src0_sel:DWORD src1_sel:BYTE_1
	v_add_u16_sdwa v38, v0, s17 dst_sel:WORD_1 dst_unused:UNUSED_PAD src0_sel:DWORD src1_sel:DWORD
	buffer_load_dword v0, off, s[24:27], 0 offset:132 ; 4-byte Folded Reload
	v_or_b32_e32 v38, v40, v38
	buffer_load_dword v39, off, s[24:27], 0 offset:88 ; 4-byte Folded Reload
	buffer_load_dword v40, off, s[24:27], 0 offset:92 ; 4-byte Folded Reload
	s_waitcnt vmcnt(2)
	v_mad_i64_i32 v[0:1], s[0:1], v0, s5, v[36:37]
	s_waitcnt vmcnt(1)
	ds_write2_b32 v39, v42, v38 offset1:16
	v_add_co_u32_e32 v38, vcc, v0, v135
	v_addc_co_u32_e32 v39, vcc, 0, v1, vcc
	v_add_co_u32_e32 v0, vcc, v0, v136
	v_addc_co_u32_e32 v1, vcc, 0, v1, vcc
	global_load_dword v40, v[38:39], off
	global_load_dword v41, v[0:1], off offset:128
	v_ashrrev_i32_e32 v38, v137, v47
	v_and_b32_e32 v0, 0xf0f0f0f, v46
	v_lshlrev_b32_e32 v39, 4, v38
	v_and_or_b32 v0, v39, s11, v0
	v_lshlrev_b16_e32 v42, 8, v0
	v_and_b32_e32 v39, 0x3f00, v0
	v_add_u16_e32 v42, 0xe000, v42
	v_or_b32_sdwa v39, v39, v42 dst_sel:DWORD dst_unused:UNUSED_PAD src0_sel:DWORD src1_sel:BYTE_1
	v_and_b32_sdwa v42, v0, s16 dst_sel:DWORD dst_unused:UNUSED_PAD src0_sel:WORD_1 src1_sel:DWORD
	v_lshlrev_b16_sdwa v0, v199, v0 dst_sel:DWORD dst_unused:UNUSED_PAD src0_sel:DWORD src1_sel:WORD_1
	v_lshrrev_b32_e32 v1, 4, v46
	v_add_u16_e32 v0, 0xe000, v0
	v_and_b32_e32 v1, 0xf0f0f0f, v1
	v_or_b32_sdwa v0, v42, v0 dst_sel:DWORD dst_unused:UNUSED_PAD src0_sel:DWORD src1_sel:BYTE_1
	v_add_u16_e32 v39, 0xe000, v39
	v_add_u16_sdwa v0, v0, s17 dst_sel:WORD_1 dst_unused:UNUSED_PAD src0_sel:DWORD src1_sel:DWORD
	v_and_or_b32 v1, v38, s11, v1
	v_or_b32_e32 v0, v39, v0
	v_lshlrev_b16_e32 v39, 8, v1
	v_and_b32_e32 v38, 0x3f00, v1
	v_add_u16_e32 v39, 0xe000, v39
	v_or_b32_sdwa v38, v38, v39 dst_sel:DWORD dst_unused:UNUSED_PAD src0_sel:DWORD src1_sel:BYTE_1
	v_and_b32_sdwa v39, v1, s16 dst_sel:DWORD dst_unused:UNUSED_PAD src0_sel:WORD_1 src1_sel:DWORD
	v_lshlrev_b16_sdwa v1, v199, v1 dst_sel:DWORD dst_unused:UNUSED_PAD src0_sel:DWORD src1_sel:WORD_1
	v_add_u16_e32 v1, 0xe000, v1
	v_or_b32_sdwa v1, v39, v1 dst_sel:DWORD dst_unused:UNUSED_PAD src0_sel:DWORD src1_sel:BYTE_1
	v_add_u16_e32 v38, 0xe000, v38
	v_add_u16_sdwa v1, v1, s17 dst_sel:WORD_1 dst_unused:UNUSED_PAD src0_sel:DWORD src1_sel:DWORD
	v_or_b32_e32 v1, v38, v1
	buffer_load_dword v38, off, s[24:27], 0 offset:100 ; 4-byte Folded Reload
	buffer_load_dword v39, off, s[24:27], 0 offset:104 ; 4-byte Folded Reload
	s_waitcnt vmcnt(2)
	v_ashrrev_i32_e32 v41, v137, v41
	s_waitcnt vmcnt(1)
	ds_write2_b32 v38, v0, v1 offset1:16
	v_ashrrev_i32_e32 v38, v137, v48
	v_and_b32_e32 v0, 0xf0f0f0f, v45
	s_waitcnt vmcnt(0)
	v_lshlrev_b32_e32 v39, 4, v38
	v_and_or_b32 v0, v39, s11, v0
	v_lshlrev_b16_e32 v42, 8, v0
	v_and_b32_e32 v39, 0x3f00, v0
	v_add_u16_e32 v42, 0xe000, v42
	v_or_b32_sdwa v39, v39, v42 dst_sel:DWORD dst_unused:UNUSED_PAD src0_sel:DWORD src1_sel:BYTE_1
	v_and_b32_sdwa v42, v0, s16 dst_sel:DWORD dst_unused:UNUSED_PAD src0_sel:WORD_1 src1_sel:DWORD
	v_lshlrev_b16_sdwa v0, v199, v0 dst_sel:DWORD dst_unused:UNUSED_PAD src0_sel:DWORD src1_sel:WORD_1
	v_lshrrev_b32_e32 v1, 4, v45
	v_add_u16_e32 v0, 0xe000, v0
	v_and_b32_e32 v1, 0xf0f0f0f, v1
	v_or_b32_sdwa v0, v42, v0 dst_sel:DWORD dst_unused:UNUSED_PAD src0_sel:DWORD src1_sel:BYTE_1
	v_add_u16_e32 v39, 0xe000, v39
	v_add_u16_sdwa v0, v0, s17 dst_sel:WORD_1 dst_unused:UNUSED_PAD src0_sel:DWORD src1_sel:DWORD
	v_and_or_b32 v1, v38, s11, v1
	v_or_b32_e32 v0, v39, v0
	v_lshlrev_b16_e32 v39, 8, v1
	v_and_b32_e32 v38, 0x3f00, v1
	v_add_u16_e32 v39, 0xe000, v39
	v_or_b32_sdwa v38, v38, v39 dst_sel:DWORD dst_unused:UNUSED_PAD src0_sel:DWORD src1_sel:BYTE_1
	v_and_b32_sdwa v39, v1, s16 dst_sel:DWORD dst_unused:UNUSED_PAD src0_sel:WORD_1 src1_sel:DWORD
	v_lshlrev_b16_sdwa v1, v199, v1 dst_sel:DWORD dst_unused:UNUSED_PAD src0_sel:DWORD src1_sel:WORD_1
	v_add_u16_e32 v1, 0xe000, v1
	v_or_b32_sdwa v1, v39, v1 dst_sel:DWORD dst_unused:UNUSED_PAD src0_sel:DWORD src1_sel:BYTE_1
	v_add_u16_e32 v38, 0xe000, v38
	v_add_u16_sdwa v1, v1, s17 dst_sel:WORD_1 dst_unused:UNUSED_PAD src0_sel:DWORD src1_sel:DWORD
	v_or_b32_e32 v1, v38, v1
	buffer_load_dword v38, off, s[24:27], 0 offset:112 ; 4-byte Folded Reload
	buffer_load_dword v39, off, s[24:27], 0 offset:116 ; 4-byte Folded Reload
	s_waitcnt vmcnt(1)
	ds_write2_b32 v38, v0, v1 offset1:16
	v_ashrrev_i32_e32 v38, v137, v49
	v_and_b32_e32 v0, 0xf0f0f0f, v44
	s_waitcnt vmcnt(0)
	v_lshlrev_b32_e32 v39, 4, v38
	v_and_or_b32 v0, v39, s11, v0
	v_lshlrev_b16_e32 v42, 8, v0
	v_and_b32_e32 v39, 0x3f00, v0
	v_add_u16_e32 v42, 0xe000, v42
	v_or_b32_sdwa v39, v39, v42 dst_sel:DWORD dst_unused:UNUSED_PAD src0_sel:DWORD src1_sel:BYTE_1
	v_and_b32_sdwa v42, v0, s16 dst_sel:DWORD dst_unused:UNUSED_PAD src0_sel:WORD_1 src1_sel:DWORD
	v_lshlrev_b16_sdwa v0, v199, v0 dst_sel:DWORD dst_unused:UNUSED_PAD src0_sel:DWORD src1_sel:WORD_1
	v_add_u16_e32 v0, 0xe000, v0
	v_or_b32_sdwa v0, v42, v0 dst_sel:DWORD dst_unused:UNUSED_PAD src0_sel:DWORD src1_sel:BYTE_1
	v_add_u16_e32 v39, 0xe000, v39
	v_add_u16_sdwa v0, v0, s17 dst_sel:WORD_1 dst_unused:UNUSED_PAD src0_sel:DWORD src1_sel:DWORD
	v_or_b32_e32 v42, v39, v0
	buffer_load_dword v0, off, s[24:27], 0 offset:144 ; 4-byte Folded Reload
	v_lshrrev_b32_e32 v1, 4, v44
	v_and_b32_e32 v1, 0xf0f0f0f, v1
	v_and_or_b32 v43, v38, s11, v1
	v_lshlrev_b16_e32 v45, 8, v43
	v_and_b32_e32 v44, 0x3f00, v43
	s_waitcnt vmcnt(0)
	v_mad_i64_i32 v[0:1], s[0:1], v0, s5, v[36:37]
	v_add_co_u32_e32 v38, vcc, v0, v135
	v_addc_co_u32_e32 v39, vcc, 0, v1, vcc
	v_add_co_u32_e32 v0, vcc, v0, v136
	v_addc_co_u32_e32 v1, vcc, 0, v1, vcc
	global_load_dword v46, v[38:39], off
	global_load_dword v47, v[0:1], off offset:128
	v_lshlrev_b16_sdwa v38, v199, v43 dst_sel:DWORD dst_unused:UNUSED_PAD src0_sel:DWORD src1_sel:WORD_1
	v_and_b32_sdwa v1, v43, s16 dst_sel:DWORD dst_unused:UNUSED_PAD src0_sel:WORD_1 src1_sel:DWORD
	v_add_u16_e32 v38, 0xe000, v38
	v_or_b32_sdwa v1, v1, v38 dst_sel:DWORD dst_unused:UNUSED_PAD src0_sel:DWORD src1_sel:BYTE_1
	buffer_load_dword v38, off, s[24:27], 0 offset:124 ; 4-byte Folded Reload
	buffer_load_dword v39, off, s[24:27], 0 offset:128 ; 4-byte Folded Reload
	v_add_u16_e32 v0, 0xe000, v45
	v_or_b32_sdwa v0, v44, v0 dst_sel:DWORD dst_unused:UNUSED_PAD src0_sel:DWORD src1_sel:BYTE_1
	v_add_u16_e32 v0, 0xe000, v0
	v_add_u16_sdwa v1, v1, s17 dst_sel:WORD_1 dst_unused:UNUSED_PAD src0_sel:DWORD src1_sel:DWORD
	v_or_b32_e32 v0, v0, v1
	v_lshrrev_b32_e32 v1, 4, v40
	s_waitcnt vmcnt(1)
	ds_write2_b32 v38, v42, v0 offset1:16
	v_and_b32_e32 v0, 0xf0f0f0f, v40
	v_and_b32_e32 v40, 0xf0f0f0f, v1
	v_lshlrev_b32_e32 v1, 4, v41
	v_and_or_b32 v42, v1, s11, v0
	buffer_load_dword v0, off, s[24:27], 0 offset:156 ; 4-byte Folded Reload
	v_lshlrev_b16_e32 v44, 8, v42
	v_and_b32_e32 v43, 0x3f00, v42
	s_waitcnt vmcnt(0)
	v_mad_i64_i32 v[0:1], s[0:1], v0, s5, v[36:37]
	v_add_co_u32_e32 v38, vcc, v0, v135
	v_addc_co_u32_e32 v39, vcc, 0, v1, vcc
	v_add_co_u32_e32 v0, vcc, v0, v136
	v_addc_co_u32_e32 v1, vcc, 0, v1, vcc
	global_load_dword v45, v[38:39], off
	global_load_dword v48, v[0:1], off offset:128
	v_lshlrev_b16_sdwa v38, v199, v42 dst_sel:DWORD dst_unused:UNUSED_PAD src0_sel:DWORD src1_sel:WORD_1
	v_add_u16_e32 v0, 0xe000, v44
	v_and_b32_sdwa v1, v42, s16 dst_sel:DWORD dst_unused:UNUSED_PAD src0_sel:WORD_1 src1_sel:DWORD
	v_add_u16_e32 v38, 0xe000, v38
	v_or_b32_sdwa v0, v43, v0 dst_sel:DWORD dst_unused:UNUSED_PAD src0_sel:DWORD src1_sel:BYTE_1
	v_or_b32_sdwa v1, v1, v38 dst_sel:DWORD dst_unused:UNUSED_PAD src0_sel:DWORD src1_sel:BYTE_1
	v_add_u16_e32 v0, 0xe000, v0
	v_add_u16_sdwa v1, v1, s17 dst_sel:WORD_1 dst_unused:UNUSED_PAD src0_sel:DWORD src1_sel:DWORD
	v_or_b32_e32 v38, v0, v1
	v_and_or_b32 v0, v41, s11, v40
	v_lshlrev_b16_e32 v39, 8, v0
	v_and_b32_e32 v1, 0x3f00, v0
	v_add_u16_e32 v39, 0xe000, v39
	v_or_b32_sdwa v1, v1, v39 dst_sel:DWORD dst_unused:UNUSED_PAD src0_sel:DWORD src1_sel:BYTE_1
	v_add_u16_e32 v39, 0xe000, v1
	v_and_b32_sdwa v1, v0, s16 dst_sel:DWORD dst_unused:UNUSED_PAD src0_sel:WORD_1 src1_sel:DWORD
	v_lshlrev_b16_sdwa v0, v199, v0 dst_sel:DWORD dst_unused:UNUSED_PAD src0_sel:DWORD src1_sel:WORD_1
	v_add_u16_e32 v0, 0xe000, v0
	v_or_b32_sdwa v0, v1, v0 dst_sel:DWORD dst_unused:UNUSED_PAD src0_sel:DWORD src1_sel:BYTE_1
	v_add_u16_sdwa v40, v0, s17 dst_sel:WORD_1 dst_unused:UNUSED_PAD src0_sel:DWORD src1_sel:DWORD
	buffer_load_dword v0, off, s[24:27], 0 offset:168 ; 4-byte Folded Reload
	v_or_b32_e32 v39, v39, v40
	buffer_load_dword v40, off, s[24:27], 0 offset:136 ; 4-byte Folded Reload
	buffer_load_dword v41, off, s[24:27], 0 offset:140 ; 4-byte Folded Reload
	s_waitcnt vmcnt(2)
	v_mad_i64_i32 v[0:1], s[0:1], v0, s5, v[36:37]
	s_waitcnt vmcnt(1)
	ds_write2_b32 v40, v38, v39 offset1:16
	buffer_load_dword v40, off, s[24:27], 0 offset:180 ; 4-byte Folded Reload
	v_add_co_u32_e32 v38, vcc, v0, v135
	v_addc_co_u32_e32 v39, vcc, 0, v1, vcc
	v_add_co_u32_e32 v0, vcc, v0, v136
	v_addc_co_u32_e32 v1, vcc, 0, v1, vcc
	s_waitcnt vmcnt(0)
	v_mad_i64_i32 v[36:37], s[0:1], v40, s5, v[36:37]
	v_add_co_u32_e32 v40, vcc, v36, v135
	v_addc_co_u32_e32 v41, vcc, 0, v37, vcc
	v_add_co_u32_e32 v36, vcc, v36, v136
	v_addc_co_u32_e32 v37, vcc, 0, v37, vcc
	global_load_dword v42, v[38:39], off
	global_load_dword v43, v[0:1], off offset:128
	global_load_dword v44, v[40:41], off
	global_load_dword v49, v[36:37], off offset:128
	v_ashrrev_i32_e32 v36, v137, v47
	v_and_b32_e32 v0, 0xf0f0f0f, v46
	v_lshlrev_b32_e32 v37, 4, v36
	v_and_or_b32 v0, v37, s11, v0
	v_lshlrev_b16_e32 v38, 8, v0
	v_and_b32_e32 v37, 0x3f00, v0
	v_add_u16_e32 v38, 0xe000, v38
	v_or_b32_sdwa v37, v37, v38 dst_sel:DWORD dst_unused:UNUSED_PAD src0_sel:DWORD src1_sel:BYTE_1
	v_and_b32_sdwa v38, v0, s16 dst_sel:DWORD dst_unused:UNUSED_PAD src0_sel:WORD_1 src1_sel:DWORD
	v_lshlrev_b16_sdwa v0, v199, v0 dst_sel:DWORD dst_unused:UNUSED_PAD src0_sel:DWORD src1_sel:WORD_1
	v_lshrrev_b32_e32 v1, 4, v46
	v_add_u16_e32 v0, 0xe000, v0
	v_and_b32_e32 v1, 0xf0f0f0f, v1
	v_or_b32_sdwa v0, v38, v0 dst_sel:DWORD dst_unused:UNUSED_PAD src0_sel:DWORD src1_sel:BYTE_1
	v_add_u16_e32 v37, 0xe000, v37
	v_add_u16_sdwa v0, v0, s17 dst_sel:WORD_1 dst_unused:UNUSED_PAD src0_sel:DWORD src1_sel:DWORD
	v_and_or_b32 v1, v36, s11, v1
	v_or_b32_e32 v0, v37, v0
	v_lshlrev_b16_e32 v37, 8, v1
	v_and_b32_e32 v36, 0x3f00, v1
	v_add_u16_e32 v37, 0xe000, v37
	v_or_b32_sdwa v36, v36, v37 dst_sel:DWORD dst_unused:UNUSED_PAD src0_sel:DWORD src1_sel:BYTE_1
	v_and_b32_sdwa v37, v1, s16 dst_sel:DWORD dst_unused:UNUSED_PAD src0_sel:WORD_1 src1_sel:DWORD
	v_lshlrev_b16_sdwa v1, v199, v1 dst_sel:DWORD dst_unused:UNUSED_PAD src0_sel:DWORD src1_sel:WORD_1
	v_add_u16_e32 v1, 0xe000, v1
	v_or_b32_sdwa v1, v37, v1 dst_sel:DWORD dst_unused:UNUSED_PAD src0_sel:DWORD src1_sel:BYTE_1
	v_add_u16_e32 v36, 0xe000, v36
	v_add_u16_sdwa v1, v1, s17 dst_sel:WORD_1 dst_unused:UNUSED_PAD src0_sel:DWORD src1_sel:DWORD
	v_or_b32_e32 v1, v36, v1
	buffer_load_dword v36, off, s[24:27], 0 offset:148 ; 4-byte Folded Reload
	buffer_load_dword v37, off, s[24:27], 0 offset:152 ; 4-byte Folded Reload
	v_add_u32_e32 v40, v52, v167
	v_mad_i64_i32 v[40:41], s[0:1], v40, 36, v[67:68]
	s_waitcnt vmcnt(1)
	ds_write2_b32 v36, v0, v1 offset1:16
	v_ashrrev_i32_e32 v36, v137, v48
	v_and_b32_e32 v0, 0xf0f0f0f, v45
	s_waitcnt vmcnt(0)
	v_lshlrev_b32_e32 v37, 4, v36
	v_and_or_b32 v0, v37, s11, v0
	v_lshlrev_b16_e32 v38, 8, v0
	v_and_b32_e32 v37, 0x3f00, v0
	v_add_u16_e32 v38, 0xe000, v38
	v_lshrrev_b32_e32 v1, 4, v45
	v_or_b32_sdwa v37, v37, v38 dst_sel:DWORD dst_unused:UNUSED_PAD src0_sel:DWORD src1_sel:BYTE_1
	v_and_b32_sdwa v38, v0, s16 dst_sel:DWORD dst_unused:UNUSED_PAD src0_sel:WORD_1 src1_sel:DWORD
	v_lshlrev_b16_sdwa v0, v199, v0 dst_sel:DWORD dst_unused:UNUSED_PAD src0_sel:DWORD src1_sel:WORD_1
	v_and_b32_e32 v1, 0xf0f0f0f, v1
	v_add_u16_e32 v0, 0xe000, v0
	v_or_b32_sdwa v0, v38, v0 dst_sel:DWORD dst_unused:UNUSED_PAD src0_sel:DWORD src1_sel:BYTE_1
	v_and_or_b32 v46, v36, s11, v1
	v_add_u16_e32 v37, 0xe000, v37
	v_add_u16_sdwa v0, v0, s17 dst_sel:WORD_1 dst_unused:UNUSED_PAD src0_sel:DWORD src1_sel:DWORD
	v_lshlrev_b16_e32 v1, 8, v46
	v_or_b32_e32 v45, v37, v0
	v_and_b32_e32 v0, 0x3f00, v46
	v_add_u16_e32 v1, 0xe000, v1
	v_or_b32_sdwa v0, v0, v1 dst_sel:DWORD dst_unused:UNUSED_PAD src0_sel:DWORD src1_sel:BYTE_1
	v_add_u16_e32 v47, 0xe000, v0
	buffer_load_dword v0, off, s[24:27], 0 offset:192 ; 4-byte Folded Reload
	buffer_load_dword v36, off, s[24:27], 0 offset:200 ; 4-byte Folded Reload
	;; [unrolled: 1-line block ×3, first 2 shown]
	s_waitcnt vmcnt(2)
	v_mad_i64_i32 v[0:1], s[0:1], v0, s5, v[34:35]
	s_waitcnt vmcnt(1)
	v_mad_i64_i32 v[36:37], s[0:1], v36, s5, v[34:35]
	s_waitcnt vmcnt(0)
	v_mad_i64_i32 v[34:35], s[0:1], v38, s5, v[34:35]
	v_add_co_u32_e32 v36, vcc, v36, v157
	v_addc_co_u32_e32 v37, vcc, 0, v37, vcc
	v_add_co_u32_e32 v34, vcc, v34, v157
	v_addc_co_u32_e32 v35, vcc, 0, v35, vcc
	global_load_ushort v48, v[0:1], off offset:208
	global_load_dword v50, v[36:37], off offset:192
	global_load_dword v51, v[34:35], off offset:192
	s_nop 0
	buffer_load_dword v0, off, s[24:27], 0 offset:208 ; 4-byte Folded Reload
	buffer_load_dword v1, off, s[24:27], 0 offset:212 ; 4-byte Folded Reload
	v_add_u32_e32 v34, v52, v164
	v_mad_i64_i32 v[34:35], s[0:1], v34, 36, v[67:68]
	v_add_u32_e32 v36, v52, v165
	v_mad_i64_i32 v[36:37], s[0:1], v36, 36, v[67:68]
	;; [unrolled: 2-line block ×3, first 2 shown]
	s_waitcnt vmcnt(1)
	v_add_u32_e32 v208, s18, v0
	v_add_u32_e32 v0, v52, v163
	s_waitcnt vmcnt(0)
	v_mad_i64_i32 v[0:1], s[0:1], v0, 36, v[67:68]
	global_load_dword v53, v[0:1], off offset:4
	global_load_dword v54, v[34:35], off offset:4
	;; [unrolled: 1-line block ×4, first 2 shown]
	s_nop 0
	global_load_dword v40, v[40:41], off offset:4
	v_add_u32_e32 v0, v52, v168
	v_mad_u64_u32 v[36:37], s[0:1], v208, 36, s[2:3]
	v_mad_i64_i32 v[0:1], s[0:1], v0, 36, v[67:68]
	v_add_u32_e32 v34, v52, v169
	v_mad_i64_i32 v[34:35], s[0:1], v34, 36, v[67:68]
	v_add_u32_e32 v38, v52, v170
	v_mad_i64_i32 v[38:39], s[0:1], v38, 36, v[67:68]
	global_load_dword v36, v[36:37], off
	s_nop 0
	global_load_dword v0, v[0:1], off offset:4
	s_nop 0
	global_load_dword v1, v[34:35], off offset:4
	;; [unrolled: 2-line block ×3, first 2 shown]
	v_lshlrev_b16_sdwa v37, v199, v46 dst_sel:DWORD dst_unused:UNUSED_PAD src0_sel:DWORD src1_sel:WORD_1
	v_and_b32_sdwa v35, v46, s16 dst_sel:DWORD dst_unused:UNUSED_PAD src0_sel:WORD_1 src1_sel:DWORD
	v_add_u16_e32 v37, 0xe000, v37
	v_or_b32_sdwa v35, v35, v37 dst_sel:DWORD dst_unused:UNUSED_PAD src0_sel:DWORD src1_sel:BYTE_1
	buffer_load_dword v37, off, s[24:27], 0 offset:160 ; 4-byte Folded Reload
	buffer_load_dword v38, off, s[24:27], 0 offset:164 ; 4-byte Folded Reload
	v_add_u16_sdwa v35, v35, s17 dst_sel:WORD_1 dst_unused:UNUSED_PAD src0_sel:DWORD src1_sel:DWORD
	v_or_b32_e32 v35, v47, v35
	s_waitcnt vmcnt(0)
	v_ashrrev_i32_e32 v38, v137, v43
	v_lshlrev_b32_e32 v39, 4, v38
	s_mov_b64 s[0:1], -1
	ds_write2_b32 v37, v45, v35 offset1:16
	v_and_b32_e32 v35, 0xf0f0f0f, v42
	v_and_or_b32 v35, v39, s11, v35
	v_lshlrev_b16_e32 v41, 8, v35
	v_and_b32_e32 v39, 0x3f00, v35
	v_add_u16_e32 v41, 0xe000, v41
	v_or_b32_sdwa v39, v39, v41 dst_sel:DWORD dst_unused:UNUSED_PAD src0_sel:DWORD src1_sel:BYTE_1
	v_and_b32_sdwa v41, v35, s16 dst_sel:DWORD dst_unused:UNUSED_PAD src0_sel:WORD_1 src1_sel:DWORD
	v_lshlrev_b16_sdwa v35, v199, v35 dst_sel:DWORD dst_unused:UNUSED_PAD src0_sel:DWORD src1_sel:WORD_1
	v_lshrrev_b32_e32 v37, 4, v42
	v_add_u16_e32 v35, 0xe000, v35
	v_and_b32_e32 v37, 0xf0f0f0f, v37
	v_or_b32_sdwa v35, v41, v35 dst_sel:DWORD dst_unused:UNUSED_PAD src0_sel:DWORD src1_sel:BYTE_1
	v_add_u16_e32 v39, 0xe000, v39
	v_add_u16_sdwa v35, v35, s17 dst_sel:WORD_1 dst_unused:UNUSED_PAD src0_sel:DWORD src1_sel:DWORD
	v_and_or_b32 v37, v38, s11, v37
	v_or_b32_e32 v35, v39, v35
	v_lshlrev_b16_e32 v39, 8, v37
	v_and_b32_e32 v38, 0x3f00, v37
	v_add_u16_e32 v39, 0xe000, v39
	v_or_b32_sdwa v38, v38, v39 dst_sel:DWORD dst_unused:UNUSED_PAD src0_sel:DWORD src1_sel:BYTE_1
	v_and_b32_sdwa v39, v37, s16 dst_sel:DWORD dst_unused:UNUSED_PAD src0_sel:WORD_1 src1_sel:DWORD
	v_lshlrev_b16_sdwa v37, v199, v37 dst_sel:DWORD dst_unused:UNUSED_PAD src0_sel:DWORD src1_sel:WORD_1
	v_add_u16_e32 v37, 0xe000, v37
	v_or_b32_sdwa v37, v39, v37 dst_sel:DWORD dst_unused:UNUSED_PAD src0_sel:DWORD src1_sel:BYTE_1
	v_add_u16_e32 v38, 0xe000, v38
	v_add_u16_sdwa v37, v37, s17 dst_sel:WORD_1 dst_unused:UNUSED_PAD src0_sel:DWORD src1_sel:DWORD
	v_or_b32_e32 v37, v38, v37
	buffer_load_dword v38, off, s[24:27], 0 offset:172 ; 4-byte Folded Reload
	buffer_load_dword v39, off, s[24:27], 0 offset:176 ; 4-byte Folded Reload
	s_waitcnt vmcnt(1)
	ds_write2_b32 v38, v35, v37 offset1:16
	v_ashrrev_i32_e32 v38, v137, v49
	v_and_b32_e32 v35, 0xf0f0f0f, v44
	s_waitcnt vmcnt(0)
	v_lshlrev_b32_e32 v39, 4, v38
	v_and_or_b32 v35, v39, s11, v35
	v_lshlrev_b16_e32 v41, 8, v35
	v_and_b32_e32 v39, 0x3f00, v35
	v_add_u16_e32 v41, 0xe000, v41
	v_or_b32_sdwa v39, v39, v41 dst_sel:DWORD dst_unused:UNUSED_PAD src0_sel:DWORD src1_sel:BYTE_1
	v_and_b32_sdwa v41, v35, s16 dst_sel:DWORD dst_unused:UNUSED_PAD src0_sel:WORD_1 src1_sel:DWORD
	v_lshlrev_b16_sdwa v35, v199, v35 dst_sel:DWORD dst_unused:UNUSED_PAD src0_sel:DWORD src1_sel:WORD_1
	v_add_u16_e32 v35, 0xe000, v35
	v_or_b32_sdwa v35, v41, v35 dst_sel:DWORD dst_unused:UNUSED_PAD src0_sel:DWORD src1_sel:BYTE_1
	buffer_load_dword v41, off, s[24:27], 0 offset:184 ; 4-byte Folded Reload
	buffer_load_dword v42, off, s[24:27], 0 offset:188 ; 4-byte Folded Reload
	v_lshrrev_b32_e32 v37, 4, v44
	v_and_b32_e32 v37, 0xf0f0f0f, v37
	v_add_u16_e32 v39, 0xe000, v39
	v_add_u16_sdwa v35, v35, s17 dst_sel:WORD_1 dst_unused:UNUSED_PAD src0_sel:DWORD src1_sel:DWORD
	v_and_or_b32 v37, v38, s11, v37
	v_or_b32_e32 v35, v39, v35
	v_lshlrev_b16_e32 v39, 8, v37
	v_and_b32_e32 v38, 0x3f00, v37
	v_add_u16_e32 v39, 0xe000, v39
	v_or_b32_sdwa v38, v38, v39 dst_sel:DWORD dst_unused:UNUSED_PAD src0_sel:DWORD src1_sel:BYTE_1
	v_and_b32_sdwa v39, v37, s16 dst_sel:DWORD dst_unused:UNUSED_PAD src0_sel:WORD_1 src1_sel:DWORD
	v_lshlrev_b16_sdwa v37, v199, v37 dst_sel:DWORD dst_unused:UNUSED_PAD src0_sel:DWORD src1_sel:WORD_1
	v_add_u16_e32 v37, 0xe000, v37
	v_or_b32_sdwa v37, v39, v37 dst_sel:DWORD dst_unused:UNUSED_PAD src0_sel:DWORD src1_sel:BYTE_1
	v_add_u16_e32 v38, 0xe000, v38
	v_add_u16_sdwa v37, v37, s17 dst_sel:WORD_1 dst_unused:UNUSED_PAD src0_sel:DWORD src1_sel:DWORD
	v_or_b32_e32 v37, v38, v37
	v_cvt_f32_f16_e32 v39, v48
	s_waitcnt vmcnt(1)
	ds_write2_b32 v41, v35, v37 offset1:16
	buffer_load_dword v35, off, s[24:27], 0 offset:196 ; 4-byte Folded Reload
	s_waitcnt vmcnt(0)
	ds_write_b32 v35, v39
	ds_write_b32 v189, v50
	;; [unrolled: 1-line block ×8, first 2 shown]
	v_cvt_f32_f16_e32 v35, v36
	ds_write_b32 v196, v0
	ds_write_b32 v197, v1
	;; [unrolled: 1-line block ×4, first 2 shown]
	s_waitcnt lgkmcnt(0)
	s_barrier
	ds_read_b32 v209, v171
	ds_read_b32 v210, v173 offset:128
	ds_read_b32 v211, v175 offset:256
	;; [unrolled: 1-line block ×3, first 2 shown]
	s_waitcnt lgkmcnt(3)
	v_mov_b32_e32 v213, v209
	v_mov_b32_e32 v214, v209
	v_mov_b32_e32 v215, v209
	s_waitcnt lgkmcnt(2)
	v_mov_b32_e32 v216, v210
	v_mov_b32_e32 v217, v210
	v_mov_b32_e32 v218, v210
	;; [unrolled: 4-line block ×4, first 2 shown]
.LBB136_6:                              ;   Parent Loop BB136_5 Depth=1
                                        ; =>  This Inner Loop Header: Depth=2
	s_lshl_b32 s19, s20, 1
	v_or_b32_e32 v0, s19, v154
	s_lshr_b32 s21, s20, 1
	s_lshl_b32 s20, s20, 3
	v_lshlrev_b32_e32 v1, 2, v0
	v_lshrrev_b32_e32 v34, 1, v0
	v_add_u32_e32 v0, s20, v185
	v_add_u32_e32 v35, s20, v186
	;; [unrolled: 1-line block ×4, first 2 shown]
	ds_read_b128 v[52:55], v1 offset:33280
	ds_read_b128 v[56:59], v1 offset:33296
	;; [unrolled: 1-line block ×4, first 2 shown]
	ds_read2_b32 v[119:120], v0 offset0:6 offset1:7
	ds_read2_b32 v[123:124], v0 offset0:4 offset1:5
	ds_read2_b32 v[117:118], v0 offset0:2 offset1:3
	ds_read2_b32 v[121:122], v0 offset1:1
	ds_read2_b32 v[125:126], v0 offset0:14 offset1:15
	ds_read2_b32 v[129:130], v0 offset0:12 offset1:13
	ds_read2_b32 v[127:128], v0 offset0:10 offset1:11
	ds_read2_b32 v[131:132], v0 offset0:8 offset1:9
	ds_read2_b32 v[103:104], v35 offset0:6 offset1:7
	ds_read2_b32 v[107:108], v35 offset0:4 offset1:5
	ds_read2_b32 v[101:102], v35 offset0:2 offset1:3
	ds_read2_b32 v[105:106], v35 offset1:1
	ds_read2_b32 v[109:110], v35 offset0:14 offset1:15
	ds_read2_b32 v[113:114], v35 offset0:12 offset1:13
	ds_read2_b32 v[111:112], v35 offset0:10 offset1:11
	ds_read2_b32 v[115:116], v35 offset0:8 offset1:9
	ds_read2_b32 v[87:88], v39 offset0:6 offset1:7
	ds_read2_b32 v[91:92], v39 offset0:4 offset1:5
	ds_read2_b32 v[85:86], v39 offset0:2 offset1:3
	ds_read2_b32 v[89:90], v39 offset1:1
	ds_read2_b32 v[93:94], v39 offset0:14 offset1:15
	ds_read2_b32 v[97:98], v39 offset0:12 offset1:13
	ds_read2_b32 v[95:96], v39 offset0:10 offset1:11
	ds_read2_b32 v[99:100], v39 offset0:8 offset1:9
	ds_read2_b32 v[71:72], v50 offset0:6 offset1:7
	ds_read2_b32 v[75:76], v50 offset0:4 offset1:5
	;; [unrolled: 1-line block ×3, first 2 shown]
	ds_read2_b32 v[73:74], v50 offset1:1
	ds_read2_b32 v[77:78], v50 offset0:14 offset1:15
	ds_read2_b32 v[83:84], v50 offset0:12 offset1:13
	s_waitcnt lgkmcnt(14)
	v_dot4_i32_i8 v1, v129, v79, 0
	v_dot4_i32_i8 v37, v113, v79, 0
	s_waitcnt lgkmcnt(8)
	v_dot4_i32_i8 v43, v97, v79, 0
	v_dot4_i32_i8 v1, v130, v80, v1
	;; [unrolled: 3-line block ×3, first 2 shown]
	v_dot4_i32_i8 v43, v98, v80, v43
	v_dot4_i32_i8 v48, v84, v80, v48
	;; [unrolled: 1-line block ×16, first 2 shown]
	ds_read2_b32 v[79:80], v50 offset0:10 offset1:11
	ds_read2_b32 v[81:82], v50 offset0:8 offset1:9
	v_dot4_i32_i8 v0, v127, v140, v0
	v_dot4_i32_i8 v35, v111, v140, v35
	;; [unrolled: 1-line block ×21, first 2 shown]
	s_waitcnt lgkmcnt(0)
	v_dot4_i32_i8 v50, v81, v138, 0
	v_dot4_i32_i8 v52, v73, v52, 0
	v_dot4_i32_i8 v0, v122, v53, v0
	v_dot4_i32_i8 v35, v106, v53, v35
	v_dot4_i32_i8 v39, v90, v53, v39
	v_dot4_i32_i8 v50, v82, v139, v50
	v_dot4_i32_i8 v52, v74, v53, v52
	v_or_b32_e32 v53, s19, v178
	v_dot4_i32_i8 v0, v117, v54, v0
	v_dot4_i32_i8 v35, v101, v54, v35
	;; [unrolled: 1-line block ×5, first 2 shown]
	v_lshlrev_b32_e32 v54, 2, v53
	v_dot4_i32_i8 v42, v118, v55, v0
	v_dot4_i32_i8 v46, v102, v55, v35
	;; [unrolled: 1-line block ×6, first 2 shown]
	v_lshrrev_b32_e32 v61, 1, v53
	ds_read_b128 v[138:141], v54 offset:33280
	ds_read_b128 v[142:145], v54 offset:33296
	;; [unrolled: 1-line block ×4, first 2 shown]
	v_dot4_i32_i8 v51, v76, v57, v51
	v_dot4_i32_i8 v51, v71, v58, v51
	;; [unrolled: 1-line block ×3, first 2 shown]
	s_waitcnt lgkmcnt(2)
	v_dot4_i32_i8 v59, v91, v142, 0
	s_waitcnt lgkmcnt(0)
	v_dot4_i32_i8 v57, v129, v53, 0
	v_dot4_i32_i8 v57, v130, v54, v57
	;; [unrolled: 1-line block ×55, first 2 shown]
	v_or_b32_e32 v133, s19, v179
	v_dot4_i32_i8 v58, v95, v148, v58
	v_dot4_i32_i8 v59, v85, v140, v59
	;; [unrolled: 1-line block ×4, first 2 shown]
	v_lshlrev_b32_e32 v134, 2, v133
	v_dot4_i32_i8 v58, v96, v149, v58
	v_dot4_i32_i8 v59, v86, v141, v59
	;; [unrolled: 1-line block ×4, first 2 shown]
	ds_read_b128 v[138:141], v134 offset:33280
	ds_read_b128 v[142:145], v134 offset:33296
	;; [unrolled: 1-line block ×4, first 2 shown]
	v_lshrrev_b32_e32 v230, 1, v133
	s_add_i32 s21, s21, 0xa200
	v_lshlrev_b32_e32 v203, 2, v162
	v_lshlrev_b32_e32 v204, 2, v160
	s_waitcnt lgkmcnt(0)
	v_dot4_i32_i8 v133, v129, v225, 0
	v_dot4_i32_i8 v133, v130, v226, v133
	;; [unrolled: 1-line block ×64, first 2 shown]
	v_or_b32_e32 v133, s19, v180
	v_lshlrev_b32_e32 v134, 2, v133
	v_add3_u32 v40, s21, v203, v204
	v_lshrrev_b32_e32 v241, 1, v133
	ds_read_b128 v[138:141], v134 offset:33280
	ds_read_b128 v[142:145], v134 offset:33296
	;; [unrolled: 1-line block ×4, first 2 shown]
	ds_read_b64 v[133:134], v34 offset:43584
	ds_read_b32 v34, v40
	ds_read_b64 v[237:238], v61 offset:43584
	ds_read_b64 v[239:240], v230 offset:43584
	;; [unrolled: 1-line block ×3, first 2 shown]
	v_lshlrev_b32_e32 v205, 2, v172
	v_lshlrev_b32_e32 v206, 2, v174
	v_lshlrev_b32_e32 v207, 2, v176
	s_waitcnt lgkmcnt(3)
	v_bfe_i32 v251, v34, 0, 8
	v_bfe_i32 v252, v34, 8, 8
	v_ashrrev_i32_e32 v249, 24, v34
	v_bfe_i32 v250, v34, 16, 8
	v_dot4_i32_i8 v34, v129, v225, 0
	v_dot4_i32_i8 v34, v130, v226, v34
	;; [unrolled: 1-line block ×12, first 2 shown]
	v_mul_lo_u32 v40, v42, v251
	v_mul_lo_u32 v42, v61, v252
	v_mul_lo_u32 v61, v232, v251
	v_mul_lo_u32 v34, v229, v252
	v_dot4_i32_i8 v229, v121, v138, 0
	v_dot4_i32_i8 v229, v122, v139, v229
	;; [unrolled: 1-line block ×3, first 2 shown]
	v_add3_u32 v0, s21, v205, v200
	v_add3_u32 v35, s21, v206, v201
	;; [unrolled: 1-line block ×3, first 2 shown]
	v_dot4_i32_i8 v232, v118, v141, v229
	v_mad_u64_u32 v[229:230], s[20:21], v231, v252, v[61:62]
	v_mad_u64_u32 v[230:231], s[20:21], v232, v251, v[42:43]
	v_mad_u64_u32 v[231:232], s[20:21], v38, v252, v[40:41]
	v_mad_u64_u32 v[232:233], s[20:21], v233, v251, v[34:35]
	v_cvt_f32_i32_e32 v40, v230
	v_cvt_f32_i32_e32 v38, v231
	;; [unrolled: 1-line block ×3, first 2 shown]
	v_mul_lo_u32 v36, v36, v250
	s_waitcnt lgkmcnt(0)
	v_fma_f32 v61, v241, v40, 0
	v_mul_lo_u32 v40, v150, v249
	v_fma_f32 v158, v133, v38, 0
	v_mul_lo_u32 v38, v155, v249
	;; [unrolled: 2-line block ×3, first 2 shown]
	v_cvt_f32_i32_e32 v42, v229
	v_mad_u64_u32 v[229:230], s[20:21], v234, v250, v[40:41]
	v_mad_u64_u32 v[230:231], s[20:21], v1, v249, v[36:37]
	;; [unrolled: 1-line block ×4, first 2 shown]
	v_fma_f32 v42, v239, v42, 0
	v_cvt_f32_i32_e32 v38, v229
	v_cvt_f32_i32_e32 v1, v232
	ds_read_b32 v0, v0
	v_cvt_f32_i32_e32 v34, v231
	v_fmac_f32_e32 v159, v238, v38
	v_fmac_f32_e32 v42, v240, v1
	v_dot4_i32_i8 v1, v113, v225, 0
	v_dot4_i32_i8 v1, v114, v226, v1
	;; [unrolled: 1-line block ×7, first 2 shown]
	v_cvt_f32_i32_e32 v36, v230
	v_fma_f32 v21, v215, v42, v21
	v_dot4_i32_i8 v42, v112, v149, v1
	v_dot4_i32_i8 v1, v107, v142, 0
	;; [unrolled: 1-line block ×4, first 2 shown]
	v_fmac_f32_e32 v61, v242, v34
	v_dot4_i32_i8 v34, v104, v145, v1
	v_dot4_i32_i8 v1, v105, v138, 0
	s_waitcnt lgkmcnt(0)
	v_bfe_i32 v235, v0, 0, 8
	v_fmac_f32_e32 v158, v134, v36
	v_dot4_i32_i8 v1, v106, v139, v1
	v_bfe_i32 v236, v0, 8, 8
	v_mul_lo_u32 v36, v254, v235
	v_dot4_i32_i8 v1, v101, v140, v1
	v_mul_lo_u32 v34, v34, v236
	v_dot4_i32_i8 v40, v102, v141, v1
	v_ashrrev_i32_e32 v233, 24, v0
	v_bfe_i32 v234, v0, 16, 8
	v_mul_lo_u32 v0, v245, v236
	v_mul_lo_u32 v1, v46, v235
	v_mad_u64_u32 v[229:230], s[20:21], v253, v236, v[36:37]
	v_mad_u64_u32 v[230:231], s[20:21], v40, v235, v[34:35]
	;; [unrolled: 1-line block ×4, first 2 shown]
	v_cvt_f32_i32_e32 v34, v230
	v_cvt_f32_i32_e32 v36, v229
	;; [unrolled: 1-line block ×4, first 2 shown]
	v_fma_f32 v46, v241, v34, 0
	v_fma_f32 v44, v239, v36, 0
	v_mul_lo_u32 v34, v41, v234
	v_mul_lo_u32 v36, v243, v233
	v_fma_f32 v20, v214, v61, v20
	v_fma_f32 v61, v133, v1, 0
	;; [unrolled: 1-line block ×3, first 2 shown]
	v_mul_lo_u32 v0, v248, v234
	v_mul_lo_u32 v1, v38, v233
	v_mad_u64_u32 v[40:41], s[20:21], v244, v234, v[36:37]
	v_mad_u64_u32 v[36:37], s[20:21], v37, v233, v[34:35]
	v_mad_u64_u32 v[37:38], s[20:21], v42, v234, v[1:2]
	v_mad_u64_u32 v[0:1], s[20:21], v247, v233, v[0:1]
	v_cvt_f32_i32_e32 v34, v36
	v_cvt_f32_i32_e32 v36, v40
	v_cvt_f32_i32_e32 v0, v0
	v_cvt_f32_i32_e32 v1, v37
	v_fmac_f32_e32 v61, v134, v34
	v_fmac_f32_e32 v150, v238, v36
	;; [unrolled: 1-line block ×3, first 2 shown]
	v_dot4_i32_i8 v0, v97, v225, 0
	v_dot4_i32_i8 v0, v98, v226, v0
	;; [unrolled: 1-line block ×16, first 2 shown]
	ds_read_b32 v0, v35
	v_fmac_f32_e32 v46, v242, v1
	v_fma_f32 v33, v218, v44, v33
	v_fma_f32 v32, v217, v46, v32
	v_fmac_f32_e32 v30, v210, v150
	s_waitcnt lgkmcnt(0)
	v_bfe_i32 v231, v0, 0, 8
	v_mul_lo_u32 v35, v63, v231
	v_bfe_i32 v232, v0, 8, 8
	v_mul_lo_u32 v34, v34, v232
	v_ashrrev_i32_e32 v229, 24, v0
	v_mad_u64_u32 v[35:36], s[20:21], v151, v232, v[35:36]
	v_bfe_i32 v230, v0, 16, 8
	v_mul_lo_u32 v0, v60, v232
	v_mul_lo_u32 v1, v49, v231
	v_mad_u64_u32 v[36:37], s[20:21], v37, v231, v[34:35]
	v_cvt_f32_i32_e32 v35, v35
	v_mad_u64_u32 v[37:38], s[20:21], v47, v232, v[1:2]
	v_mad_u64_u32 v[0:1], s[20:21], v59, v231, v[0:1]
	v_cvt_f32_i32_e32 v34, v36
	v_fma_f32 v42, v239, v35, 0
	v_mul_lo_u32 v35, v57, v229
	v_cvt_f32_i32_e32 v0, v0
	v_cvt_f32_i32_e32 v1, v37
	v_fma_f32 v44, v241, v34, 0
	v_mul_lo_u32 v34, v45, v230
	v_mad_u64_u32 v[35:36], s[20:21], v58, v230, v[35:36]
	v_fma_f32 v46, v133, v1, 0
	v_fma_f32 v47, v237, v0, 0
	v_mul_lo_u32 v0, v62, v230
	v_mul_lo_u32 v1, v40, v229
	v_mad_u64_u32 v[36:37], s[20:21], v43, v229, v[34:35]
	v_cvt_f32_i32_e32 v35, v35
	v_mad_u64_u32 v[37:38], s[20:21], v41, v230, v[1:2]
	v_mad_u64_u32 v[0:1], s[20:21], v255, v229, v[0:1]
	v_cvt_f32_i32_e32 v34, v36
	v_cvt_f32_i32_e32 v1, v37
	;; [unrolled: 1-line block ×3, first 2 shown]
	v_fmac_f32_e32 v47, v238, v35
	v_fmac_f32_e32 v46, v134, v34
	;; [unrolled: 1-line block ×4, first 2 shown]
	v_dot4_i32_i8 v0, v83, v225, 0
	v_dot4_i32_i8 v0, v84, v226, v0
	;; [unrolled: 1-line block ×16, first 2 shown]
	ds_read_b32 v0, v39
	v_fma_f32 v29, v221, v42, v29
	v_fma_f32 v28, v220, v44, v28
	;; [unrolled: 1-line block ×3, first 2 shown]
	v_fmac_f32_e32 v26, v211, v47
	s_waitcnt lgkmcnt(0)
	v_bfe_i32 v227, v0, 0, 8
	v_mul_lo_u32 v35, v65, v227
	v_bfe_i32 v228, v0, 8, 8
	v_mul_lo_u32 v34, v34, v228
	v_ashrrev_i32_e32 v225, 24, v0
	v_mad_u64_u32 v[35:36], s[20:21], v153, v228, v[35:36]
	v_bfe_i32 v226, v0, 16, 8
	v_mul_lo_u32 v0, v56, v228
	v_mul_lo_u32 v1, v52, v227
	v_mad_u64_u32 v[36:37], s[20:21], v37, v227, v[34:35]
	v_cvt_f32_i32_e32 v35, v35
	v_mad_u64_u32 v[37:38], s[20:21], v51, v228, v[1:2]
	v_mad_u64_u32 v[0:1], s[20:21], v55, v227, v[0:1]
	v_cvt_f32_i32_e32 v34, v36
	v_fma_f32 v39, v239, v35, 0
	v_mul_lo_u32 v35, v53, v225
	v_cvt_f32_i32_e32 v0, v0
	v_cvt_f32_i32_e32 v1, v37
	v_fma_f32 v42, v241, v34, 0
	v_mul_lo_u32 v34, v50, v226
	v_mad_u64_u32 v[35:36], s[20:21], v54, v226, v[35:36]
	v_fma_f32 v43, v133, v1, 0
	v_fma_f32 v44, v237, v0, 0
	v_mul_lo_u32 v0, v64, v226
	v_mul_lo_u32 v1, v40, v225
	v_mad_u64_u32 v[36:37], s[20:21], v48, v225, v[34:35]
	v_cvt_f32_i32_e32 v35, v35
	v_mad_u64_u32 v[37:38], s[20:21], v41, v226, v[1:2]
	v_mad_u64_u32 v[0:1], s[20:21], v152, v225, v[0:1]
	v_cvt_f32_i32_e32 v1, v37
	v_cvt_f32_i32_e32 v34, v36
	;; [unrolled: 1-line block ×3, first 2 shown]
	v_fmac_f32_e32 v44, v238, v35
	v_fmac_f32_e32 v42, v242, v1
	v_fmac_f32_e32 v43, v134, v34
	v_fmac_f32_e32 v39, v240, v0
	v_or_b32_e32 v0, s19, v181
	v_lshlrev_b32_e32 v1, 2, v0
	v_fma_f32 v25, v224, v39, v25
	v_fma_f32 v24, v223, v42, v24
	;; [unrolled: 1-line block ×3, first 2 shown]
	v_fmac_f32_e32 v22, v212, v44
	ds_read_b128 v[34:37], v1 offset:33280
	ds_read_b128 v[38:41], v1 offset:33296
	;; [unrolled: 1-line block ×4, first 2 shown]
	v_lshrrev_b32_e32 v59, 1, v0
	v_fma_f32 v31, v216, v61, v31
	v_fma_f32 v19, v213, v158, v19
	v_fmac_f32_e32 v18, v209, v159
	s_waitcnt lgkmcnt(0)
	v_dot4_i32_i8 v0, v129, v46, 0
	v_dot4_i32_i8 v0, v130, v47, v0
	;; [unrolled: 1-line block ×64, first 2 shown]
	v_or_b32_e32 v0, s19, v182
	v_lshlrev_b32_e32 v1, 2, v0
	ds_read_b128 v[34:37], v1 offset:33280
	ds_read_b128 v[38:41], v1 offset:33296
	;; [unrolled: 1-line block ×4, first 2 shown]
	v_lshrrev_b32_e32 v150, 1, v0
	v_mul_lo_u32 v60, v60, v251
	s_and_b64 vcc, exec, s[0:1]
	s_mov_b64 s[0:1], 0
	s_waitcnt lgkmcnt(0)
	v_dot4_i32_i8 v0, v129, v46, 0
	v_dot4_i32_i8 v0, v130, v47, v0
	;; [unrolled: 1-line block ×64, first 2 shown]
	v_or_b32_e32 v0, s19, v183
	v_lshlrev_b32_e32 v1, 2, v0
	ds_read_b128 v[34:37], v1 offset:33280
	ds_read_b128 v[38:41], v1 offset:33296
	;; [unrolled: 1-line block ×4, first 2 shown]
	v_lshrrev_b32_e32 v64, 1, v0
	v_mul_lo_u32 v52, v52, v233
	s_waitcnt lgkmcnt(1)
	v_dot4_i32_i8 v1, v81, v42, 0
	s_waitcnt lgkmcnt(0)
	v_dot4_i32_i8 v0, v129, v46, 0
	v_dot4_i32_i8 v0, v130, v47, v0
	;; [unrolled: 1-line block ×57, first 2 shown]
	v_or_b32_e32 v34, s19, v184
	v_dot4_i32_i8 v0, v77, v48, v0
	v_dot4_i32_i8 v1, v79, v44, v1
	;; [unrolled: 1-line block ×3, first 2 shown]
	v_lshlrev_b32_e32 v46, 2, v34
	v_dot4_i32_i8 v0, v78, v49, v0
	v_dot4_i32_i8 v1, v80, v45, v1
	v_dot4_i32_i8 v51, v72, v41, v38
	v_lshrrev_b32_e32 v155, 1, v34
	ds_read_b128 v[34:37], v46 offset:33280
	ds_read_b128 v[38:41], v46 offset:33296
	;; [unrolled: 1-line block ×4, first 2 shown]
	v_mul_lo_u32 v1, v1, v226
	s_waitcnt lgkmcnt(2)
	v_dot4_i32_i8 v123, v123, v38, 0
	v_dot4_i32_i8 v123, v124, v39, v123
	s_waitcnt lgkmcnt(0)
	v_dot4_i32_i8 v129, v129, v46, 0
	v_dot4_i32_i8 v129, v130, v47, v129
	;; [unrolled: 1-line block ×5, first 2 shown]
	v_mul_lo_u32 v126, v153, v251
	v_dot4_i32_i8 v125, v132, v43, v125
	v_dot4_i32_i8 v125, v127, v44, v125
	;; [unrolled: 1-line block ×6, first 2 shown]
	v_mul_lo_u32 v125, v125, v252
	v_mad_u64_u32 v[126:127], s[20:21], v152, v252, v[126:127]
	v_dot4_i32_i8 v119, v122, v35, v119
	v_dot4_i32_i8 v117, v117, v36, v119
	;; [unrolled: 1-line block ×3, first 2 shown]
	ds_read_b64 v[117:118], v59 offset:43584
	ds_read_b64 v[121:122], v150 offset:43584
	;; [unrolled: 1-line block ×4, first 2 shown]
	v_mul_lo_u32 v59, v62, v252
	v_mad_u64_u32 v[127:128], s[20:21], v128, v251, v[125:126]
	v_mad_u64_u32 v[128:129], s[20:21], v148, v252, v[60:61]
	;; [unrolled: 1-line block ×3, first 2 shown]
	v_cvt_f32_i32_e32 v60, v128
	v_cvt_f32_i32_e32 v63, v126
	;; [unrolled: 1-line block ×3, first 2 shown]
	v_mul_lo_u32 v126, v149, v249
	s_waitcnt lgkmcnt(3)
	v_fma_f32 v64, v117, v60, 0
	v_mul_lo_u32 v60, v130, v249
	v_cvt_f32_i32_e32 v62, v127
	s_waitcnt lgkmcnt(2)
	v_fma_f32 v129, v121, v59, 0
	v_mul_lo_u32 v59, v151, v250
	v_mul_lo_u32 v125, v147, v250
	v_mad_u64_u32 v[126:127], s[20:21], v61, v250, v[126:127]
	v_mad_u64_u32 v[60:61], s[20:21], v131, v250, v[60:61]
	;; [unrolled: 1-line block ×4, first 2 shown]
	v_cvt_f32_i32_e32 v59, v60
	s_waitcnt lgkmcnt(1)
	v_fma_f32 v63, v119, v63, 0
	v_cvt_f32_i32_e32 v58, v58
	s_waitcnt lgkmcnt(0)
	v_fma_f32 v62, v123, v62, 0
	v_fmac_f32_e32 v62, v124, v59
	v_fma_f32 v16, v214, v62, v16
	v_fmac_f32_e32 v63, v120, v58
	v_dot4_i32_i8 v58, v113, v46, 0
	v_dot4_i32_i8 v58, v114, v47, v58
	v_dot4_i32_i8 v58, v109, v48, v58
	v_dot4_i32_i8 v62, v110, v49, v58
	v_dot4_i32_i8 v58, v115, v42, 0
	v_dot4_i32_i8 v58, v116, v43, v58
	v_cvt_f32_i32_e32 v60, v127
	v_dot4_i32_i8 v58, v111, v44, v58
	v_fma_f32 v17, v215, v63, v17
	v_dot4_i32_i8 v63, v112, v45, v58
	v_dot4_i32_i8 v58, v107, v38, 0
	;; [unrolled: 1-line block ×3, first 2 shown]
	v_cvt_f32_i32_e32 v61, v126
	v_dot4_i32_i8 v58, v103, v40, v58
	v_fmac_f32_e32 v64, v118, v60
	v_dot4_i32_i8 v60, v104, v41, v58
	v_dot4_i32_i8 v58, v105, v34, 0
	;; [unrolled: 1-line block ×4, first 2 shown]
	v_fmac_f32_e32 v129, v122, v61
	v_fma_f32 v15, v213, v64, v15
	v_dot4_i32_i8 v64, v102, v37, v58
	v_mul_lo_u32 v58, v142, v236
	v_mul_lo_u32 v59, v133, v235
	;; [unrolled: 1-line block ×4, first 2 shown]
	v_mad_u64_u32 v[0:1], s[20:21], v0, v225, v[1:2]
	v_fmac_f32_e32 v14, v209, v129
	v_mad_u64_u32 v[101:102], s[20:21], v57, v236, v[61:62]
	v_mad_u64_u32 v[60:61], s[20:21], v64, v235, v[60:61]
	;; [unrolled: 1-line block ×4, first 2 shown]
	v_cvt_f32_i32_e32 v53, v57
	v_cvt_f32_i32_e32 v59, v101
	;; [unrolled: 1-line block ×4, first 2 shown]
	v_fma_f32 v102, v121, v53, 0
	v_mul_lo_u32 v53, v145, v234
	v_fma_f32 v64, v119, v59, 0
	v_fma_f32 v65, v123, v58, 0
	v_mul_lo_u32 v58, v254, v234
	v_mad_u64_u32 v[59:60], s[20:21], v141, v234, v[52:53]
	v_mad_u64_u32 v[52:53], s[20:21], v56, v233, v[53:54]
	;; [unrolled: 1-line block ×3, first 2 shown]
	v_cvt_f32_i32_e32 v52, v52
	v_fma_f32 v101, v117, v57, 0
	v_mul_lo_u32 v57, v62, v233
	v_cvt_f32_i32_e32 v56, v60
	v_fmac_f32_e32 v64, v120, v52
	v_dot4_i32_i8 v52, v97, v46, 0
	v_dot4_i32_i8 v52, v98, v47, v52
	v_dot4_i32_i8 v52, v93, v48, v52
	v_dot4_i32_i8 v60, v94, v49, v52
	v_dot4_i32_i8 v52, v99, v42, 0
	v_dot4_i32_i8 v52, v100, v43, v52
	v_dot4_i32_i8 v52, v95, v44, v52
	v_mad_u64_u32 v[57:58], s[20:21], v63, v234, v[57:58]
	v_dot4_i32_i8 v61, v96, v45, v52
	v_dot4_i32_i8 v52, v91, v38, 0
	;; [unrolled: 1-line block ×4, first 2 shown]
	v_fmac_f32_e32 v101, v118, v56
	v_dot4_i32_i8 v56, v88, v41, v52
	v_dot4_i32_i8 v52, v89, v34, 0
	;; [unrolled: 1-line block ×3, first 2 shown]
	v_cvt_f32_i32_e32 v53, v57
	v_cvt_f32_i32_e32 v57, v59
	v_dot4_i32_i8 v52, v90, v35, v52
	v_dot4_i32_i8 v34, v74, v35, v34
	;; [unrolled: 1-line block ×8, first 2 shown]
	v_mul_lo_u32 v37, v140, v227
	v_fmac_f32_e32 v102, v122, v57
	v_mul_lo_u32 v57, v144, v231
	v_dot4_i32_i8 v38, v71, v40, v38
	v_dot4_i32_i8 v38, v72, v41, v38
	v_mul_lo_u32 v35, v240, v227
	v_mul_lo_u32 v36, v38, v228
	v_mad_u64_u32 v[37:38], s[20:21], v51, v228, v[37:38]
	v_mul_lo_u32 v56, v56, v232
	v_mad_u64_u32 v[57:58], s[20:21], v55, v232, v[57:58]
	v_fmac_f32_e32 v65, v124, v53
	v_mul_lo_u32 v52, v139, v232
	v_mul_lo_u32 v53, v246, v231
	;; [unrolled: 1-line block ×3, first 2 shown]
	v_mad_u64_u32 v[38:39], s[20:21], v39, v227, v[36:37]
	v_mad_u64_u32 v[35:36], s[20:21], v239, v228, v[35:36]
	;; [unrolled: 1-line block ×6, first 2 shown]
	v_cvt_f32_i32_e32 v36, v38
	v_cvt_f32_i32_e32 v53, v55
	;; [unrolled: 1-line block ×5, first 2 shown]
	v_dot4_i32_i8 v46, v83, v46, 0
	v_cvt_f32_i32_e32 v34, v39
	v_cvt_f32_i32_e32 v35, v35
	;; [unrolled: 1-line block ×3, first 2 shown]
	v_fma_f32 v40, v123, v36, 0
	v_mul_lo_u32 v36, v243, v225
	v_dot4_i32_i8 v46, v84, v47, v46
	v_fma_f32 v58, v119, v55, 0
	v_mul_lo_u32 v55, v134, v229
	v_dot4_i32_i8 v46, v77, v48, v46
	v_fma_f32 v59, v123, v53, 0
	v_fma_f32 v62, v117, v52, 0
	v_mul_lo_u32 v52, v60, v229
	v_mul_lo_u32 v53, v242, v230
	v_dot4_i32_i8 v46, v78, v49, v46
	v_dot4_i32_i8 v42, v81, v42, 0
	v_fma_f32 v63, v121, v50, 0
	v_mul_lo_u32 v50, v143, v230
	v_dot4_i32_i8 v42, v82, v43, v42
	v_fma_f32 v39, v119, v37, 0
	v_fma_f32 v41, v117, v35, 0
	;; [unrolled: 1-line block ×3, first 2 shown]
	v_mul_lo_u32 v34, v46, v225
	v_mul_lo_u32 v35, v238, v226
	v_mad_u64_u32 v[36:37], s[20:21], v244, v226, v[36:37]
	v_mad_u64_u32 v[55:56], s[20:21], v138, v230, v[55:56]
	v_dot4_i32_i8 v42, v79, v44, v42
	v_mad_u64_u32 v[56:57], s[20:21], v241, v229, v[53:54]
	v_mad_u64_u32 v[52:53], s[20:21], v61, v230, v[52:53]
	v_dot4_i32_i8 v42, v80, v45, v42
	v_mad_u64_u32 v[53:54], s[20:21], v54, v229, v[50:51]
	v_mad_u64_u32 v[37:38], s[20:21], v237, v225, v[35:36]
	;; [unrolled: 1-line block ×3, first 2 shown]
	v_cvt_f32_i32_e32 v50, v53
	v_cvt_f32_i32_e32 v52, v52
	;; [unrolled: 1-line block ×8, first 2 shown]
	v_fmac_f32_e32 v63, v122, v54
	v_fmac_f32_e32 v62, v118, v53
	;; [unrolled: 1-line block ×8, first 2 shown]
	v_fma_f32 v13, v218, v64, v13
	v_fma_f32 v12, v217, v65, v12
	v_fma_f32 v11, v216, v101, v11
	v_fmac_f32_e32 v10, v210, v102
	v_fma_f32 v9, v221, v58, v9
	v_fma_f32 v8, v220, v59, v8
	v_fma_f32 v7, v219, v62, v7
	v_fmac_f32_e32 v6, v211, v63
	;; [unrolled: 4-line block ×3, first 2 shown]
	s_mov_b32 s20, 8
	s_cbranch_vccnz .LBB136_6
; %bb.7:                                ;   in Loop: Header=BB136_5 Depth=1
	v_add_u32_e32 v48, s18, v172
	v_add_u32_e32 v46, 4, v208
	;; [unrolled: 1-line block ×3, first 2 shown]
	v_mad_u64_u32 v[46:47], s[0:1], v46, 36, s[2:3]
	v_mad_i64_i32 v[0:1], s[0:1], v0, 36, v[67:68]
	v_add_u32_e32 v34, v48, v164
	v_mad_i64_i32 v[34:35], s[0:1], v34, 36, v[67:68]
	v_add_u32_e32 v36, v48, v165
	v_add_u32_e32 v38, v48, v166
	v_mad_i64_i32 v[36:37], s[0:1], v36, 36, v[67:68]
	v_mad_i64_i32 v[38:39], s[0:1], v38, 36, v[67:68]
	v_add_u32_e32 v40, v48, v167
	v_add_u32_e32 v42, v48, v168
	;; [unrolled: 1-line block ×4, first 2 shown]
	s_barrier
	v_mad_i64_i32 v[40:41], s[0:1], v40, 36, v[67:68]
	v_mad_i64_i32 v[42:43], s[0:1], v42, 36, v[67:68]
	;; [unrolled: 1-line block ×4, first 2 shown]
	global_load_dword v46, v[46:47], off
	s_nop 0
	global_load_dword v0, v[0:1], off offset:4
	s_nop 0
	global_load_dword v1, v[34:35], off offset:4
	s_nop 0
	global_load_dword v34, v[36:37], off offset:4
	global_load_dword v35, v[38:39], off offset:4
	s_nop 0
	global_load_dword v36, v[40:41], off offset:4
	global_load_dword v37, v[42:43], off offset:4
	;; [unrolled: 1-line block ×4, first 2 shown]
	s_mov_b32 s0, 16
	s_waitcnt vmcnt(8)
	v_cvt_f32_f16_e32 v40, v46
	s_waitcnt vmcnt(7)
	ds_write_b32 v191, v0
	s_waitcnt vmcnt(6)
	ds_write_b32 v192, v1
	s_waitcnt vmcnt(5)
	ds_write_b32 v193, v34
	s_waitcnt vmcnt(4)
	ds_write_b32 v194, v35
	s_waitcnt vmcnt(3)
	ds_write_b32 v195, v36
	s_waitcnt vmcnt(2)
	ds_write_b32 v196, v37
	s_waitcnt vmcnt(1)
	ds_write_b32 v197, v38
	s_waitcnt vmcnt(0)
	ds_write_b32 v198, v39
	ds_write_b32 v161, v40
	s_waitcnt lgkmcnt(0)
	s_barrier
	ds_read_b32 v117, v171
	ds_read_b32 v118, v173 offset:128
	ds_read_b32 v119, v175 offset:256
	;; [unrolled: 1-line block ×3, first 2 shown]
	s_waitcnt lgkmcnt(3)
	v_mov_b32_e32 v121, v117
	v_mov_b32_e32 v122, v117
	v_mov_b32_e32 v123, v117
	s_waitcnt lgkmcnt(2)
	v_mov_b32_e32 v124, v118
	v_mov_b32_e32 v125, v118
	v_mov_b32_e32 v126, v118
	;; [unrolled: 4-line block ×4, first 2 shown]
.LBB136_8:                              ;   Parent Loop BB136_5 Depth=1
                                        ; =>  This Inner Loop Header: Depth=2
	s_lshl_b32 s1, s0, 1
	s_and_b32 s1, s1, 16
	v_or_b32_e32 v0, s1, v154
	v_lshlrev_b32_e32 v1, 2, v0
	s_lshl_b32 s19, s0, 3
	ds_read_b128 v[50:53], v1 offset:33280
	ds_read_b128 v[54:57], v1 offset:33296
	;; [unrolled: 1-line block ×4, first 2 shown]
	v_add_u32_e32 v1, s19, v185
	ds_read2_b32 v[103:104], v1 offset0:6 offset1:7
	ds_read2_b32 v[107:108], v1 offset0:4 offset1:5
	ds_read2_b32 v[101:102], v1 offset0:2 offset1:3
	ds_read2_b32 v[105:106], v1 offset1:1
	ds_read2_b32 v[109:110], v1 offset0:14 offset1:15
	ds_read2_b32 v[113:114], v1 offset0:12 offset1:13
	;; [unrolled: 1-line block ×4, first 2 shown]
	s_lshr_b32 s18, s0, 1
	s_add_i32 s18, s18, 0xa200
	v_lshrrev_b32_e32 v0, 1, v0
	s_waitcnt lgkmcnt(2)
	v_dot4_i32_i8 v34, v113, v138, 0
	s_waitcnt lgkmcnt(0)
	v_dot4_i32_i8 v1, v115, v58, 0
	v_dot4_i32_i8 v1, v116, v59, v1
	;; [unrolled: 1-line block ×12, first 2 shown]
	v_add_u32_e32 v1, s19, v186
	ds_read2_b32 v[87:88], v1 offset0:6 offset1:7
	ds_read2_b32 v[91:92], v1 offset0:4 offset1:5
	;; [unrolled: 1-line block ×3, first 2 shown]
	ds_read2_b32 v[89:90], v1 offset1:1
	ds_read2_b32 v[93:94], v1 offset0:14 offset1:15
	ds_read2_b32 v[97:98], v1 offset0:12 offset1:13
	;; [unrolled: 1-line block ×4, first 2 shown]
	v_dot4_i32_i8 v34, v114, v139, v34
	v_dot4_i32_i8 v34, v109, v140, v34
	;; [unrolled: 1-line block ×3, first 2 shown]
	s_waitcnt lgkmcnt(2)
	v_dot4_i32_i8 v34, v97, v138, 0
	s_waitcnt lgkmcnt(0)
	v_dot4_i32_i8 v1, v99, v58, 0
	v_dot4_i32_i8 v1, v100, v59, v1
	;; [unrolled: 1-line block ×12, first 2 shown]
	v_add_u32_e32 v1, s19, v187
	ds_read2_b32 v[71:72], v1 offset0:6 offset1:7
	ds_read2_b32 v[75:76], v1 offset0:4 offset1:5
	;; [unrolled: 1-line block ×3, first 2 shown]
	ds_read2_b32 v[73:74], v1 offset1:1
	ds_read2_b32 v[77:78], v1 offset0:14 offset1:15
	ds_read2_b32 v[81:82], v1 offset0:12 offset1:13
	;; [unrolled: 1-line block ×4, first 2 shown]
	v_dot4_i32_i8 v34, v98, v139, v34
	v_dot4_i32_i8 v34, v93, v140, v34
	;; [unrolled: 1-line block ×3, first 2 shown]
	s_waitcnt lgkmcnt(2)
	v_dot4_i32_i8 v34, v81, v138, 0
	s_waitcnt lgkmcnt(0)
	v_dot4_i32_i8 v1, v83, v58, 0
	v_dot4_i32_i8 v1, v84, v59, v1
	;; [unrolled: 1-line block ×14, first 2 shown]
	v_add_u32_e32 v1, s19, v188
	v_dot4_i32_i8 v159, v78, v141, v34
	ds_read2_b32 v[36:37], v1 offset0:6 offset1:7
	ds_read2_b32 v[40:41], v1 offset0:4 offset1:5
	;; [unrolled: 1-line block ×3, first 2 shown]
	ds_read2_b32 v[38:39], v1 offset1:1
	ds_read2_b32 v[42:43], v1 offset0:14 offset1:15
	ds_read2_b32 v[46:47], v1 offset0:12 offset1:13
	v_add3_u32 v62, s18, v203, v204
	v_add3_u32 v151, s18, v205, v200
	;; [unrolled: 1-line block ×4, first 2 shown]
	s_waitcnt lgkmcnt(0)
	v_dot4_i32_i8 v44, v46, v138, 0
	v_dot4_i32_i8 v44, v47, v139, v44
	v_dot4_i32_i8 v44, v42, v140, v44
	v_dot4_i32_i8 v215, v43, v141, v44
	ds_read2_b32 v[44:45], v1 offset0:10 offset1:11
	ds_read2_b32 v[48:49], v1 offset0:8 offset1:9
	s_waitcnt lgkmcnt(0)
	v_dot4_i32_i8 v1, v48, v58, 0
	v_dot4_i32_i8 v1, v49, v59, v1
	;; [unrolled: 1-line block ×12, first 2 shown]
	v_or_b32_e32 v1, s1, v178
	v_lshlrev_b32_e32 v133, 2, v1
	ds_read_b128 v[50:53], v133 offset:33280
	ds_read_b128 v[54:57], v133 offset:33296
	;; [unrolled: 1-line block ×4, first 2 shown]
	v_lshrrev_b32_e32 v134, 1, v1
	s_waitcnt lgkmcnt(0)
	v_dot4_i32_i8 v1, v113, v138, 0
	v_dot4_i32_i8 v1, v114, v139, v1
	;; [unrolled: 1-line block ×64, first 2 shown]
	v_or_b32_e32 v1, s1, v179
	v_lshlrev_b32_e32 v133, 2, v1
	ds_read_b128 v[50:53], v133 offset:33280
	ds_read_b128 v[54:57], v133 offset:33296
	;; [unrolled: 1-line block ×4, first 2 shown]
	v_lshrrev_b32_e32 v142, 1, v1
	s_waitcnt lgkmcnt(0)
	v_dot4_i32_i8 v1, v113, v138, 0
	v_dot4_i32_i8 v1, v114, v139, v1
	;; [unrolled: 1-line block ×64, first 2 shown]
	v_or_b32_e32 v1, s1, v180
	v_lshlrev_b32_e32 v133, 2, v1
	v_lshrrev_b32_e32 v144, 1, v1
	ds_read_b128 v[50:53], v133 offset:33280
	ds_read_b128 v[54:57], v133 offset:33296
	ds_read_b128 v[58:61], v133 offset:33312
	ds_read_b128 v[138:141], v133 offset:33328
	ds_read_b64 v[0:1], v0 offset:43584
	ds_read_b32 v62, v62
	s_waitcnt lgkmcnt(5)
	v_dot4_i32_i8 v208, v105, v50, 0
	v_dot4_i32_i8 v208, v106, v51, v208
	s_waitcnt lgkmcnt(2)
	v_dot4_i32_i8 v148, v113, v138, 0
	v_dot4_i32_i8 v148, v114, v139, v148
	;; [unrolled: 1-line block ×6, first 2 shown]
	s_waitcnt lgkmcnt(0)
	v_bfe_i32 v247, v62, 0, 8
	v_dot4_i32_i8 v148, v111, v60, v148
	v_dot4_i32_i8 v251, v112, v61, v148
	;; [unrolled: 1-line block ×3, first 2 shown]
	v_mul_lo_u32 v149, v149, v247
	v_dot4_i32_i8 v148, v108, v55, v148
	v_dot4_i32_i8 v148, v103, v56, v148
	v_bfe_i32 v248, v62, 8, 8
	v_dot4_i32_i8 v148, v104, v57, v148
	v_mul_lo_u32 v147, v147, v247
	v_mul_lo_u32 v148, v148, v248
	v_mad_u64_u32 v[149:150], s[18:19], v150, v248, v[149:150]
	v_dot4_i32_i8 v208, v101, v52, v208
	v_dot4_i32_i8 v208, v102, v53, v208
	v_mul_lo_u32 v146, v146, v248
	v_mad_u64_u32 v[208:209], s[18:19], v208, v247, v[148:149]
	v_mad_u64_u32 v[147:148], s[18:19], v65, v248, v[147:148]
	v_ashrrev_i32_e32 v249, 24, v62
	ds_read_b64 v[133:134], v134 offset:43584
	ds_read_b64 v[142:143], v142 offset:43584
	ds_read_b64 v[144:145], v144 offset:43584
	v_mad_u64_u32 v[209:210], s[18:19], v210, v247, v[146:147]
	v_cvt_f32_i32_e32 v146, v147
	v_cvt_f32_i32_e32 v147, v208
	;; [unrolled: 1-line block ×3, first 2 shown]
	v_mul_lo_u32 v149, v219, v249
	v_bfe_i32 v62, v62, 16, 8
	s_waitcnt lgkmcnt(0)
	v_fma_f32 v253, v144, v147, 0
	v_fma_f32 v252, v142, v148, 0
	v_mul_lo_u32 v147, v250, v249
	v_mul_lo_u32 v148, v64, v62
	v_mad_u64_u32 v[149:150], s[18:19], v220, v62, v[149:150]
	v_cvt_f32_i32_e32 v65, v209
	v_fma_f32 v254, v0, v146, 0
	v_mul_lo_u32 v146, v234, v62
	v_mad_u64_u32 v[208:209], s[18:19], v63, v249, v[148:149]
	v_mad_u64_u32 v[147:148], s[18:19], v251, v62, v[147:148]
	v_fma_f32 v65, v133, v65, 0
	v_mad_u64_u32 v[209:210], s[18:19], v233, v249, v[146:147]
	v_cvt_f32_i32_e32 v146, v208
	v_cvt_f32_i32_e32 v64, v147
	;; [unrolled: 1-line block ×4, first 2 shown]
	v_fmac_f32_e32 v254, v1, v146
	v_dot4_i32_i8 v146, v89, v50, 0
	v_dot4_i32_i8 v146, v90, v51, v146
	;; [unrolled: 1-line block ×4, first 2 shown]
	ds_read_b32 v146, v151
	v_fmac_f32_e32 v65, v134, v147
	v_fmac_f32_e32 v18, v117, v65
	v_dot4_i32_i8 v65, v91, v54, 0
	v_dot4_i32_i8 v65, v92, v55, v65
	s_waitcnt lgkmcnt(0)
	v_bfe_i32 v151, v146, 0, 8
	v_mul_lo_u32 v149, v238, v151
	v_dot4_i32_i8 v65, v87, v56, v65
	v_dot4_i32_i8 v65, v88, v57, v65
	v_bfe_i32 v219, v146, 8, 8
	v_mul_lo_u32 v147, v156, v151
	v_mul_lo_u32 v148, v65, v219
	v_mad_u64_u32 v[149:150], s[18:19], v237, v219, v[149:150]
	v_ashrrev_i32_e32 v220, 24, v146
	v_bfe_i32 v233, v146, 16, 8
	v_mul_lo_u32 v146, v223, v219
	v_mad_u64_u32 v[208:209], s[18:19], v208, v151, v[148:149]
	v_mad_u64_u32 v[147:148], s[18:19], v155, v219, v[147:148]
	v_fmac_f32_e32 v252, v143, v63
	v_dot4_i32_i8 v63, v97, v138, 0
	v_mad_u64_u32 v[209:210], s[18:19], v224, v151, v[146:147]
	v_cvt_f32_i32_e32 v146, v147
	v_cvt_f32_i32_e32 v147, v208
	;; [unrolled: 1-line block ×3, first 2 shown]
	v_mul_lo_u32 v149, v221, v220
	v_dot4_i32_i8 v63, v98, v139, v63
	v_dot4_i32_i8 v63, v93, v140, v63
	;; [unrolled: 1-line block ×3, first 2 shown]
	v_fmac_f32_e32 v253, v145, v64
	v_dot4_i32_i8 v64, v99, v58, 0
	v_fma_f32 v155, v142, v148, 0
	v_fma_f32 v156, v144, v147, 0
	v_mul_lo_u32 v147, v63, v220
	v_mul_lo_u32 v148, v153, v233
	v_mad_u64_u32 v[149:150], s[18:19], v222, v233, v[149:150]
	v_dot4_i32_i8 v64, v100, v59, v64
	v_dot4_i32_i8 v64, v95, v60, v64
	;; [unrolled: 1-line block ×3, first 2 shown]
	v_cvt_f32_i32_e32 v65, v209
	v_fma_f32 v223, v0, v146, 0
	v_mul_lo_u32 v146, v236, v233
	v_mad_u64_u32 v[208:209], s[18:19], v152, v220, v[148:149]
	v_mad_u64_u32 v[147:148], s[18:19], v64, v233, v[147:148]
	v_fma_f32 v65, v133, v65, 0
	v_fma_f32 v21, v123, v252, v21
	v_mad_u64_u32 v[209:210], s[18:19], v235, v220, v[146:147]
	v_cvt_f32_i32_e32 v146, v208
	v_cvt_f32_i32_e32 v64, v147
	;; [unrolled: 1-line block ×4, first 2 shown]
	v_fmac_f32_e32 v223, v1, v146
	v_dot4_i32_i8 v146, v73, v50, 0
	v_dot4_i32_i8 v146, v74, v51, v146
	;; [unrolled: 1-line block ×4, first 2 shown]
	ds_read_b32 v146, v158
	v_dot4_i32_i8 v50, v38, v50, 0
	v_fmac_f32_e32 v65, v134, v147
	v_dot4_i32_i8 v50, v39, v51, v50
	v_fmac_f32_e32 v30, v118, v65
	v_dot4_i32_i8 v65, v75, v54, 0
	v_dot4_i32_i8 v54, v40, v54, 0
	;; [unrolled: 1-line block ×6, first 2 shown]
	ds_read_b32 v50, v214
	s_waitcnt lgkmcnt(1)
	v_bfe_i32 v153, v146, 0, 8
	v_mul_lo_u32 v149, v242, v153
	v_fmac_f32_e32 v155, v143, v63
	v_dot4_i32_i8 v65, v71, v56, v65
	v_fma_f32 v33, v126, v155, v33
	v_dot4_i32_i8 v65, v72, v57, v65
	v_bfe_i32 v155, v146, 8, 8
	v_mul_lo_u32 v147, v213, v153
	v_mul_lo_u32 v148, v65, v155
	v_mad_u64_u32 v[149:150], s[18:19], v241, v155, v[149:150]
	v_fmac_f32_e32 v156, v145, v64
	v_fma_f32 v32, v125, v156, v32
	v_ashrrev_i32_e32 v156, 24, v146
	v_bfe_i32 v158, v146, 16, 8
	v_mul_lo_u32 v146, v227, v155
	v_mad_u64_u32 v[208:209], s[18:19], v152, v153, v[148:149]
	v_mad_u64_u32 v[147:148], s[18:19], v212, v155, v[147:148]
	v_dot4_i32_i8 v63, v81, v138, 0
	v_cvt_f32_i32_e32 v148, v149
	v_mad_u64_u32 v[209:210], s[18:19], v228, v153, v[146:147]
	v_cvt_f32_i32_e32 v146, v147
	v_cvt_f32_i32_e32 v147, v208
	v_mul_lo_u32 v149, v225, v156
	v_dot4_i32_i8 v63, v82, v139, v63
	v_dot4_i32_i8 v63, v77, v140, v63
	;; [unrolled: 1-line block ×4, first 2 shown]
	v_fma_f32 v152, v142, v148, 0
	v_fma_f32 v212, v144, v147, 0
	v_mul_lo_u32 v147, v63, v156
	v_mul_lo_u32 v148, v211, v158
	v_mad_u64_u32 v[149:150], s[18:19], v226, v158, v[149:150]
	v_dot4_i32_i8 v64, v84, v59, v64
	v_dot4_i32_i8 v64, v79, v60, v64
	;; [unrolled: 1-line block ×3, first 2 shown]
	v_cvt_f32_i32_e32 v65, v209
	v_mad_u64_u32 v[208:209], s[18:19], v159, v156, v[148:149]
	v_mad_u64_u32 v[147:148], s[18:19], v64, v158, v[147:148]
	v_fma_f32 v213, v0, v146, 0
	v_mul_lo_u32 v146, v240, v158
	v_cvt_f32_i32_e32 v64, v147
	v_fma_f32 v65, v133, v65, 0
	v_dot4_i32_i8 v54, v36, v56, v54
	v_mad_u64_u32 v[209:210], s[18:19], v239, v156, v[146:147]
	v_cvt_f32_i32_e32 v147, v149
	v_fmac_f32_e32 v212, v145, v64
	s_waitcnt lgkmcnt(0)
	v_bfe_i32 v64, v50, 0, 8
	v_mul_lo_u32 v53, v246, v64
	v_fmac_f32_e32 v65, v134, v147
	v_fmac_f32_e32 v26, v119, v65
	v_dot4_i32_i8 v54, v37, v57, v54
	v_bfe_i32 v65, v50, 8, 8
	v_mul_lo_u32 v52, v54, v65
	v_mad_u64_u32 v[53:54], s[18:19], v245, v65, v[53:54]
	v_cvt_f32_i32_e32 v146, v208
	v_mul_lo_u32 v51, v218, v64
	v_mad_u64_u32 v[54:55], s[18:19], v55, v64, v[52:53]
	v_fmac_f32_e32 v213, v1, v146
	v_ashrrev_i32_e32 v146, 24, v50
	v_bfe_i32 v147, v50, 16, 8
	v_mul_lo_u32 v50, v231, v65
	v_mad_u64_u32 v[51:52], s[18:19], v217, v65, v[51:52]
	v_cvt_f32_i32_e32 v52, v54
	v_cvt_f32_i32_e32 v63, v209
	v_mad_u64_u32 v[55:56], s[18:19], v232, v64, v[50:51]
	v_cvt_f32_i32_e32 v51, v51
	v_cvt_f32_i32_e32 v53, v53
	v_fma_f32 v57, v144, v52, 0
	v_mul_lo_u32 v52, v229, v146
	v_fmac_f32_e32 v152, v143, v63
	v_dot4_i32_i8 v63, v46, v138, 0
	v_cvt_f32_i32_e32 v50, v55
	v_dot4_i32_i8 v63, v47, v139, v63
	v_dot4_i32_i8 v58, v48, v58, 0
	;; [unrolled: 1-line block ×4, first 2 shown]
	v_fma_f32 v56, v142, v53, 0
	v_fma_f32 v59, v0, v51, 0
	v_mul_lo_u32 v51, v216, v147
	v_mad_u64_u32 v[52:53], s[18:19], v230, v147, v[52:53]
	v_dot4_i32_i8 v63, v43, v141, v63
	v_mul_lo_u32 v0, v244, v147
	v_dot4_i32_i8 v58, v44, v60, v58
	v_fma_f32 v60, v133, v50, 0
	v_mul_lo_u32 v50, v63, v146
	v_mad_u64_u32 v[53:54], s[18:19], v215, v146, v[51:52]
	v_dot4_i32_i8 v58, v45, v61, v58
	v_mad_u64_u32 v[54:55], s[18:19], v243, v146, v[0:1]
	v_mad_u64_u32 v[50:51], s[18:19], v58, v147, v[50:51]
	v_cvt_f32_i32_e32 v0, v54
	v_cvt_f32_i32_e32 v51, v53
	;; [unrolled: 1-line block ×4, first 2 shown]
	v_fmac_f32_e32 v56, v143, v0
	v_or_b32_e32 v0, s1, v181
	v_fmac_f32_e32 v59, v1, v51
	v_fmac_f32_e32 v60, v134, v52
	;; [unrolled: 1-line block ×3, first 2 shown]
	v_lshlrev_b32_e32 v1, 2, v0
	v_fma_f32 v25, v132, v56, v25
	v_fma_f32 v24, v131, v57, v24
	;; [unrolled: 1-line block ×3, first 2 shown]
	v_fmac_f32_e32 v22, v120, v60
	ds_read_b128 v[50:53], v1 offset:33280
	ds_read_b128 v[54:57], v1 offset:33296
	;; [unrolled: 1-line block ×4, first 2 shown]
	v_fma_f32 v29, v129, v152, v29
	v_fma_f32 v28, v128, v212, v28
	v_fma_f32 v27, v127, v213, v27
	v_fma_f32 v31, v124, v223, v31
	s_waitcnt lgkmcnt(0)
	v_dot4_i32_i8 v1, v113, v138, 0
	v_dot4_i32_i8 v1, v114, v139, v1
	;; [unrolled: 1-line block ×64, first 2 shown]
	v_or_b32_e32 v1, s1, v182
	v_lshlrev_b32_e32 v138, 2, v1
	ds_read_b128 v[50:53], v138 offset:33280
	ds_read_b128 v[54:57], v138 offset:33296
	;; [unrolled: 1-line block ×4, first 2 shown]
	v_lshrrev_b32_e32 v212, 1, v1
	v_lshrrev_b32_e32 v0, 1, v0
	v_fma_f32 v20, v122, v253, v20
	v_fma_f32 v19, v121, v254, v19
	s_waitcnt lgkmcnt(0)
	v_dot4_i32_i8 v1, v113, v138, 0
	v_dot4_i32_i8 v1, v114, v139, v1
	v_dot4_i32_i8 v1, v109, v140, v1
	v_dot4_i32_i8 v213, v110, v141, v1
	v_dot4_i32_i8 v1, v115, v58, 0
	v_dot4_i32_i8 v1, v116, v59, v1
	v_dot4_i32_i8 v1, v111, v60, v1
	v_dot4_i32_i8 v214, v112, v61, v1
	v_dot4_i32_i8 v1, v107, v54, 0
	v_dot4_i32_i8 v1, v108, v55, v1
	v_dot4_i32_i8 v1, v103, v56, v1
	v_dot4_i32_i8 v215, v104, v57, v1
	v_dot4_i32_i8 v1, v105, v50, 0
	v_dot4_i32_i8 v1, v106, v51, v1
	v_dot4_i32_i8 v1, v101, v52, v1
	v_dot4_i32_i8 v216, v102, v53, v1
	v_dot4_i32_i8 v1, v97, v138, 0
	v_dot4_i32_i8 v1, v98, v139, v1
	v_dot4_i32_i8 v1, v93, v140, v1
	v_dot4_i32_i8 v217, v94, v141, v1
	v_dot4_i32_i8 v1, v99, v58, 0
	v_dot4_i32_i8 v1, v100, v59, v1
	v_dot4_i32_i8 v1, v95, v60, v1
	v_dot4_i32_i8 v218, v96, v61, v1
	v_dot4_i32_i8 v1, v91, v54, 0
	v_dot4_i32_i8 v1, v92, v55, v1
	v_dot4_i32_i8 v1, v87, v56, v1
	v_dot4_i32_i8 v221, v88, v57, v1
	v_dot4_i32_i8 v1, v89, v50, 0
	v_dot4_i32_i8 v1, v90, v51, v1
	v_dot4_i32_i8 v1, v85, v52, v1
	v_dot4_i32_i8 v222, v86, v53, v1
	v_dot4_i32_i8 v1, v81, v138, 0
	v_dot4_i32_i8 v1, v82, v139, v1
	v_dot4_i32_i8 v1, v77, v140, v1
	v_dot4_i32_i8 v223, v78, v141, v1
	v_dot4_i32_i8 v1, v83, v58, 0
	v_dot4_i32_i8 v1, v84, v59, v1
	v_dot4_i32_i8 v1, v79, v60, v1
	v_dot4_i32_i8 v224, v80, v61, v1
	v_dot4_i32_i8 v1, v75, v54, 0
	v_dot4_i32_i8 v1, v76, v55, v1
	v_dot4_i32_i8 v1, v71, v56, v1
	v_dot4_i32_i8 v225, v72, v57, v1
	v_dot4_i32_i8 v1, v73, v50, 0
	v_dot4_i32_i8 v1, v74, v51, v1
	v_dot4_i32_i8 v1, v69, v52, v1
	v_dot4_i32_i8 v226, v70, v53, v1
	v_dot4_i32_i8 v1, v46, v138, 0
	v_dot4_i32_i8 v1, v47, v139, v1
	v_dot4_i32_i8 v1, v42, v140, v1
	v_dot4_i32_i8 v227, v43, v141, v1
	v_dot4_i32_i8 v1, v48, v58, 0
	v_dot4_i32_i8 v1, v49, v59, v1
	v_dot4_i32_i8 v1, v44, v60, v1
	v_dot4_i32_i8 v228, v45, v61, v1
	v_dot4_i32_i8 v1, v40, v54, 0
	v_dot4_i32_i8 v1, v41, v55, v1
	v_dot4_i32_i8 v1, v36, v56, v1
	v_dot4_i32_i8 v229, v37, v57, v1
	v_dot4_i32_i8 v1, v38, v50, 0
	v_dot4_i32_i8 v1, v39, v51, v1
	v_dot4_i32_i8 v1, v34, v52, v1
	v_dot4_i32_i8 v230, v35, v53, v1
	v_or_b32_e32 v1, s1, v183
	v_lshlrev_b32_e32 v138, 2, v1
	ds_read_b128 v[50:53], v138 offset:33280
	ds_read_b128 v[54:57], v138 offset:33296
	;; [unrolled: 1-line block ×4, first 2 shown]
	v_lshrrev_b32_e32 v231, 1, v1
	s_waitcnt lgkmcnt(0)
	v_dot4_i32_i8 v1, v113, v138, 0
	v_dot4_i32_i8 v1, v114, v139, v1
	;; [unrolled: 1-line block ×64, first 2 shown]
	v_or_b32_e32 v1, s1, v184
	v_lshlrev_b32_e32 v138, 2, v1
	ds_read_b128 v[50:53], v138 offset:33280
	ds_read_b128 v[54:57], v138 offset:33296
	;; [unrolled: 1-line block ×4, first 2 shown]
	v_lshrrev_b32_e32 v252, 1, v1
	s_add_i32 s1, s0, 8
	s_waitcnt lgkmcnt(2)
	v_dot4_i32_i8 v91, v91, v54, 0
	v_dot4_i32_i8 v91, v92, v55, v91
	s_waitcnt lgkmcnt(0)
	v_dot4_i32_i8 v1, v113, v138, 0
	v_dot4_i32_i8 v1, v114, v139, v1
	;; [unrolled: 1-line block ×9, first 2 shown]
	v_mul_lo_u32 v110, v236, v247
	v_dot4_i32_i8 v1, v108, v55, v1
	v_dot4_i32_i8 v1, v103, v56, v1
	;; [unrolled: 1-line block ×4, first 2 shown]
	v_mul_lo_u32 v108, v142, v247
	v_mul_lo_u32 v109, v109, v248
	v_mad_u64_u32 v[110:111], s[18:19], v235, v248, v[110:111]
	v_dot4_i32_i8 v1, v106, v51, v1
	v_dot4_i32_i8 v1, v101, v52, v1
	;; [unrolled: 1-line block ×3, first 2 shown]
	ds_read_b64 v[0:1], v0 offset:43584
	ds_read_b64 v[101:102], v212 offset:43584
	;; [unrolled: 1-line block ×4, first 2 shown]
	v_mul_lo_u32 v107, v215, v248
	v_mad_u64_u32 v[111:112], s[18:19], v112, v247, v[109:110]
	v_mad_u64_u32 v[108:109], s[18:19], v134, v248, v[108:109]
	v_cvt_f32_i32_e32 v110, v110
	v_cvt_f32_i32_e32 v109, v111
	v_mad_u64_u32 v[112:113], s[18:19], v216, v247, v[107:108]
	v_cvt_f32_i32_e32 v108, v108
	s_waitcnt lgkmcnt(1)
	v_fma_f32 v116, v103, v110, 0
	v_mul_lo_u32 v110, v213, v249
	v_cvt_f32_i32_e32 v107, v112
	s_waitcnt lgkmcnt(0)
	v_fma_f32 v134, v105, v109, 0
	v_fma_f32 v142, v0, v108, 0
	v_mul_lo_u32 v108, v114, v249
	v_mul_lo_u32 v109, v133, v62
	v_mad_u64_u32 v[110:111], s[18:19], v214, v62, v[110:111]
	v_dot4_i32_i8 v87, v87, v56, v91
	v_dot4_i32_i8 v87, v88, v57, v87
	;; [unrolled: 1-line block ×4, first 2 shown]
	v_fma_f32 v212, v101, v107, 0
	v_mul_lo_u32 v107, v234, v62
	v_mad_u64_u32 v[111:112], s[18:19], v63, v249, v[109:110]
	v_mad_u64_u32 v[108:109], s[18:19], v115, v62, v[108:109]
	v_dot4_i32_i8 v85, v85, v52, v88
	v_mul_lo_u32 v88, v240, v151
	v_mad_u64_u32 v[112:113], s[18:19], v232, v249, v[107:108]
	v_dot4_i32_i8 v90, v86, v53, v85
	v_mul_lo_u32 v86, v148, v151
	v_mul_lo_u32 v87, v87, v219
	v_mad_u64_u32 v[88:89], s[18:19], v239, v219, v[88:89]
	v_cvt_f32_i32_e32 v62, v112
	v_mul_lo_u32 v85, v221, v219
	v_mad_u64_u32 v[89:90], s[18:19], v90, v151, v[87:88]
	v_mad_u64_u32 v[86:87], s[18:19], v145, v219, v[86:87]
	v_cvt_f32_i32_e32 v88, v88
	v_cvt_f32_i32_e32 v63, v108
	v_fmac_f32_e32 v116, v104, v62
	v_dot4_i32_i8 v62, v97, v138, 0
	v_mad_u64_u32 v[90:91], s[18:19], v222, v151, v[85:86]
	v_cvt_f32_i32_e32 v86, v86
	v_cvt_f32_i32_e32 v87, v89
	v_fma_f32 v92, v103, v88, 0
	v_mul_lo_u32 v88, v217, v220
	v_dot4_i32_i8 v62, v98, v139, v62
	v_dot4_i32_i8 v62, v93, v140, v62
	;; [unrolled: 1-line block ×6, first 2 shown]
	v_fmac_f32_e32 v134, v106, v63
	v_dot4_i32_i8 v63, v99, v58, 0
	v_cvt_f32_i32_e32 v85, v90
	v_fma_f32 v93, v105, v87, 0
	v_fma_f32 v94, v0, v86, 0
	v_mul_lo_u32 v86, v62, v220
	v_mul_lo_u32 v87, v144, v233
	v_mad_u64_u32 v[88:89], s[18:19], v218, v233, v[88:89]
	v_dot4_i32_i8 v75, v76, v55, v75
	v_dot4_i32_i8 v36, v36, v56, v40
	;; [unrolled: 1-line block ×13, first 2 shown]
	v_mul_lo_u32 v37, v251, v64
	v_fma_f32 v95, v101, v85, 0
	v_mul_lo_u32 v85, v238, v233
	v_mad_u64_u32 v[89:90], s[18:19], v143, v220, v[87:88]
	v_mad_u64_u32 v[86:87], s[18:19], v63, v233, v[86:87]
	v_dot4_i32_i8 v69, v69, v52, v72
	v_mul_lo_u32 v72, v244, v153
	v_mul_lo_u32 v36, v36, v65
	v_mad_u64_u32 v[37:38], s[18:19], v250, v65, v[37:38]
	v_mad_u64_u32 v[90:91], s[18:19], v237, v220, v[85:86]
	v_dot4_i32_i8 v74, v70, v53, v69
	v_mul_lo_u32 v70, v159, v153
	v_mul_lo_u32 v71, v71, v155
	v_mad_u64_u32 v[72:73], s[18:19], v243, v155, v[72:73]
	v_dot4_i32_i8 v39, v35, v53, v34
	v_mul_lo_u32 v35, v211, v64
	v_mad_u64_u32 v[38:39], s[18:19], v39, v64, v[36:37]
	v_cvt_f32_i32_e32 v62, v90
	v_mul_lo_u32 v69, v225, v155
	v_mad_u64_u32 v[73:74], s[18:19], v74, v153, v[71:72]
	v_mad_u64_u32 v[70:71], s[18:19], v152, v155, v[70:71]
	v_cvt_f32_i32_e32 v72, v72
	v_mul_lo_u32 v34, v229, v65
	v_mad_u64_u32 v[35:36], s[18:19], v210, v65, v[35:36]
	v_cvt_f32_i32_e32 v36, v38
	v_cvt_f32_i32_e32 v63, v86
	v_fmac_f32_e32 v92, v104, v62
	v_dot4_i32_i8 v62, v81, v138, 0
	v_mad_u64_u32 v[74:75], s[18:19], v226, v153, v[69:70]
	v_cvt_f32_i32_e32 v70, v70
	v_cvt_f32_i32_e32 v71, v73
	v_fma_f32 v76, v103, v72, 0
	v_mul_lo_u32 v72, v223, v156
	v_mad_u64_u32 v[39:40], s[18:19], v230, v64, v[34:35]
	v_dot4_i32_i8 v62, v82, v139, v62
	v_dot4_i32_i8 v62, v77, v140, v62
	;; [unrolled: 1-line block ×5, first 2 shown]
	v_cvt_f32_i32_e32 v35, v35
	v_cvt_f32_i32_e32 v37, v37
	v_fma_f32 v41, v105, v36, 0
	v_mul_lo_u32 v36, v227, v146
	v_fmac_f32_e32 v93, v106, v63
	v_dot4_i32_i8 v63, v83, v58, 0
	v_cvt_f32_i32_e32 v69, v74
	v_fma_f32 v77, v105, v71, 0
	v_fma_f32 v78, v0, v70, 0
	v_mul_lo_u32 v70, v62, v156
	v_mul_lo_u32 v71, v150, v158
	v_mad_u64_u32 v[72:73], s[18:19], v224, v158, v[72:73]
	v_dot4_i32_i8 v42, v42, v140, v46
	v_cvt_f32_i32_e32 v34, v39
	v_dot4_i32_i8 v63, v84, v59, v63
	v_dot4_i32_i8 v42, v43, v141, v42
	;; [unrolled: 1-line block ×7, first 2 shown]
	v_fma_f32 v40, v103, v37, 0
	v_fma_f32 v44, v0, v35, 0
	v_mul_lo_u32 v35, v209, v147
	v_mad_u64_u32 v[36:37], s[18:19], v228, v147, v[36:37]
	v_fma_f32 v79, v101, v69, 0
	v_mul_lo_u32 v69, v242, v158
	v_mad_u64_u32 v[73:74], s[18:19], v149, v156, v[71:72]
	v_mad_u64_u32 v[70:71], s[18:19], v63, v158, v[70:71]
	v_dot4_i32_i8 v43, v45, v61, v43
	v_fma_f32 v45, v101, v34, 0
	v_mul_lo_u32 v0, v246, v147
	v_mul_lo_u32 v34, v42, v146
	v_mad_u64_u32 v[37:38], s[18:19], v208, v146, v[35:36]
	v_mad_u64_u32 v[74:75], s[18:19], v241, v156, v[69:70]
	;; [unrolled: 1-line block ×4, first 2 shown]
	v_cvt_f32_i32_e32 v107, v111
	v_cvt_f32_i32_e32 v108, v110
	;; [unrolled: 1-line block ×12, first 2 shown]
	v_fmac_f32_e32 v212, v102, v108
	v_fmac_f32_e32 v142, v1, v107
	;; [unrolled: 1-line block ×12, first 2 shown]
	v_fma_f32 v17, v123, v116, v17
	v_fma_f32 v16, v122, v134, v16
	v_fma_f32 v15, v121, v142, v15
	v_fmac_f32_e32 v14, v117, v212
	v_fma_f32 v13, v126, v92, v13
	v_fma_f32 v12, v125, v93, v12
	v_fma_f32 v11, v124, v94, v11
	v_fmac_f32_e32 v10, v118, v95
	;; [unrolled: 4-line block ×4, first 2 shown]
	s_cmp_lt_u32 s0, 24
	s_mov_b32 s0, s1
	s_cbranch_scc1 .LBB136_8
; %bb.9:                                ;   in Loop: Header=BB136_5 Depth=1
	s_add_i32 s9, s9, 1
	s_cmp_eq_u32 s9, s4
	s_barrier
	s_cbranch_scc0 .LBB136_5
; %bb.10:
	buffer_load_dword v0, off, s[24:27], 0 offset:224 ; 4-byte Folded Reload
	buffer_load_dword v37, off, s[24:27], 0 offset:216 ; 4-byte Folded Reload
	;; [unrolled: 1-line block ×3, first 2 shown]
.LBB136_11:
	s_waitcnt vmcnt(2)
	v_cmp_gt_u32_e32 vcc, s10, v0
	s_and_saveexec_b64 s[0:1], vcc
	s_cbranch_execz .LBB136_62
; %bb.12:
	v_mul_lo_u32 v34, v0, s14
	s_waitcnt vmcnt(0)
	v_add_u32_e32 v0, s6, v35
	v_cmp_gt_u32_e32 vcc, s14, v0
	s_and_saveexec_b64 s[2:3], vcc
	s_cbranch_execz .LBB136_14
; %bb.13:
	v_add_u32_e32 v35, v0, v34
	v_mov_b32_e32 v36, 0
	v_lshlrev_b64 v[35:36], 2, v[35:36]
	s_waitcnt lgkmcnt(0)
	v_mov_b32_e32 v1, s13
	v_add_co_u32_e64 v35, s[0:1], s12, v35
	v_addc_co_u32_e64 v36, s[0:1], v1, v36, s[0:1]
	global_store_dword v[35:36], v19, off
.LBB136_14:
	s_or_b64 exec, exec, s[2:3]
	v_add_u32_e32 v1, 32, v0
	v_cmp_gt_u32_e64 s[0:1], s14, v1
	s_and_saveexec_b64 s[4:5], s[0:1]
	s_cbranch_execz .LBB136_16
; %bb.15:
	v_add_u32_e32 v35, v1, v34
	v_mov_b32_e32 v36, 0
	v_lshlrev_b64 v[35:36], 2, v[35:36]
	s_waitcnt lgkmcnt(0)
	v_mov_b32_e32 v19, s13
	v_add_co_u32_e64 v35, s[2:3], s12, v35
	v_addc_co_u32_e64 v36, s[2:3], v19, v36, s[2:3]
	global_store_dword v[35:36], v31, off
.LBB136_16:
	s_or_b64 exec, exec, s[4:5]
	v_add_u32_e32 v19, 64, v0
	v_cmp_gt_u32_e64 s[2:3], s14, v19
	s_and_saveexec_b64 s[6:7], s[2:3]
	;; [unrolled: 15-line block ×3, first 2 shown]
	s_cbranch_execz .LBB136_20
; %bb.19:
	v_add_u32_e32 v34, v27, v34
	v_mov_b32_e32 v35, 0
	v_lshlrev_b64 v[34:35], 2, v[34:35]
	s_waitcnt lgkmcnt(0)
	v_mov_b32_e32 v31, s13
	v_add_co_u32_e64 v34, s[6:7], s12, v34
	v_addc_co_u32_e64 v35, s[6:7], v31, v35, s[6:7]
	global_store_dword v[34:35], v23, off
.LBB136_20:
	s_or_b64 exec, exec, s[8:9]
	v_add3_u32 v23, v37, s15, 8
	v_cmp_gt_u32_e64 s[6:7], s10, v23
	s_and_b64 exec, exec, s[6:7]
	s_cbranch_execz .LBB136_62
; %bb.21:
	v_mul_lo_u32 v23, v23, s14
	s_and_saveexec_b64 s[8:9], vcc
	s_cbranch_execnz .LBB136_63
; %bb.22:
	s_or_b64 exec, exec, s[8:9]
	s_and_saveexec_b64 s[8:9], s[0:1]
	s_cbranch_execnz .LBB136_64
.LBB136_23:
	s_or_b64 exec, exec, s[8:9]
	s_and_saveexec_b64 s[8:9], s[2:3]
	s_cbranch_execnz .LBB136_65
.LBB136_24:
	s_or_b64 exec, exec, s[8:9]
	s_and_saveexec_b64 s[8:9], s[4:5]
	s_cbranch_execz .LBB136_26
.LBB136_25:
	v_add_u32_e32 v30, v23, v27
	v_mov_b32_e32 v31, 0
	v_lshlrev_b64 v[30:31], 2, v[30:31]
	s_waitcnt lgkmcnt(0)
	v_mov_b32_e32 v18, s13
	v_add_co_u32_e64 v30, s[6:7], s12, v30
	v_addc_co_u32_e64 v31, s[6:7], v18, v31, s[6:7]
	global_store_dword v[30:31], v22, off
.LBB136_26:
	s_or_b64 exec, exec, s[8:9]
	v_add3_u32 v18, v37, s15, 16
	v_cmp_gt_u32_e64 s[6:7], s10, v18
	s_and_b64 exec, exec, s[6:7]
	s_cbranch_execz .LBB136_62
; %bb.27:
	v_mul_lo_u32 v18, v18, s14
	s_and_saveexec_b64 s[8:9], vcc
	s_cbranch_execnz .LBB136_66
; %bb.28:
	s_or_b64 exec, exec, s[8:9]
	s_and_saveexec_b64 s[8:9], s[0:1]
	s_cbranch_execnz .LBB136_67
.LBB136_29:
	s_or_b64 exec, exec, s[8:9]
	s_and_saveexec_b64 s[8:9], s[2:3]
	s_cbranch_execnz .LBB136_68
.LBB136_30:
	s_or_b64 exec, exec, s[8:9]
	s_and_saveexec_b64 s[8:9], s[4:5]
	s_cbranch_execz .LBB136_32
.LBB136_31:
	v_add_u32_e32 v21, v18, v27
	v_mov_b32_e32 v22, 0
	v_lshlrev_b64 v[21:22], 2, v[21:22]
	s_waitcnt lgkmcnt(0)
	v_mov_b32_e32 v18, s13
	v_add_co_u32_e64 v21, s[6:7], s12, v21
	v_addc_co_u32_e64 v22, s[6:7], v18, v22, s[6:7]
	global_store_dword v[21:22], v25, off
.LBB136_32:
	s_or_b64 exec, exec, s[8:9]
	v_add3_u32 v18, v37, s15, 24
	v_cmp_gt_u32_e64 s[6:7], s10, v18
	s_and_b64 exec, exec, s[6:7]
	s_cbranch_execz .LBB136_62
; %bb.33:
	v_mul_lo_u32 v18, v18, s14
	s_and_saveexec_b64 s[8:9], vcc
	s_cbranch_execnz .LBB136_69
; %bb.34:
	s_or_b64 exec, exec, s[8:9]
	s_and_saveexec_b64 s[8:9], s[0:1]
	s_cbranch_execnz .LBB136_70
.LBB136_35:
	s_or_b64 exec, exec, s[8:9]
	s_and_saveexec_b64 s[8:9], s[2:3]
	s_cbranch_execnz .LBB136_71
.LBB136_36:
	s_or_b64 exec, exec, s[8:9]
	s_and_saveexec_b64 s[8:9], s[4:5]
	s_cbranch_execz .LBB136_38
.LBB136_37:
	v_add_u32_e32 v20, v18, v27
	v_mov_b32_e32 v21, 0
	v_lshlrev_b64 v[20:21], 2, v[20:21]
	s_waitcnt lgkmcnt(0)
	v_mov_b32_e32 v18, s13
	v_add_co_u32_e64 v20, s[6:7], s12, v20
	v_addc_co_u32_e64 v21, s[6:7], v18, v21, s[6:7]
	global_store_dword v[20:21], v24, off
.LBB136_38:
	s_or_b64 exec, exec, s[8:9]
	v_add3_u32 v18, v37, s15, 32
	v_cmp_gt_u32_e64 s[6:7], s10, v18
	s_and_b64 exec, exec, s[6:7]
	s_cbranch_execz .LBB136_62
; %bb.39:
	v_mul_lo_u32 v18, v18, s14
	s_and_saveexec_b64 s[8:9], vcc
	s_cbranch_execnz .LBB136_72
; %bb.40:
	s_or_b64 exec, exec, s[8:9]
	s_and_saveexec_b64 s[8:9], s[0:1]
	s_cbranch_execnz .LBB136_73
.LBB136_41:
	s_or_b64 exec, exec, s[8:9]
	s_and_saveexec_b64 s[8:9], s[2:3]
	s_cbranch_execnz .LBB136_74
.LBB136_42:
	s_or_b64 exec, exec, s[8:9]
	s_and_saveexec_b64 s[8:9], s[4:5]
	s_cbranch_execz .LBB136_44
.LBB136_43:
	v_add_u32_e32 v20, v18, v27
	v_mov_b32_e32 v21, 0
	v_lshlrev_b64 v[20:21], 2, v[20:21]
	s_waitcnt lgkmcnt(0)
	v_mov_b32_e32 v7, s13
	v_add_co_u32_e64 v20, s[6:7], s12, v20
	v_addc_co_u32_e64 v21, s[6:7], v7, v21, s[6:7]
	global_store_dword v[20:21], v3, off
.LBB136_44:
	s_or_b64 exec, exec, s[8:9]
	v_add3_u32 v3, v37, s15, 40
	v_cmp_gt_u32_e64 s[6:7], s10, v3
	s_and_b64 exec, exec, s[6:7]
	s_cbranch_execz .LBB136_62
; %bb.45:
	v_mul_lo_u32 v3, v3, s14
	s_and_saveexec_b64 s[8:9], vcc
	s_cbranch_execnz .LBB136_75
; %bb.46:
	s_or_b64 exec, exec, s[8:9]
	s_and_saveexec_b64 s[8:9], s[0:1]
	s_cbranch_execnz .LBB136_76
.LBB136_47:
	s_or_b64 exec, exec, s[8:9]
	s_and_saveexec_b64 s[8:9], s[2:3]
	s_cbranch_execnz .LBB136_77
.LBB136_48:
	s_or_b64 exec, exec, s[8:9]
	s_and_saveexec_b64 s[8:9], s[4:5]
	s_cbranch_execz .LBB136_50
.LBB136_49:
	v_add_u32_e32 v6, v3, v27
	v_mov_b32_e32 v7, 0
	v_lshlrev_b64 v[6:7], 2, v[6:7]
	s_waitcnt lgkmcnt(0)
	v_mov_b32_e32 v3, s13
	v_add_co_u32_e64 v6, s[6:7], s12, v6
	v_addc_co_u32_e64 v7, s[6:7], v3, v7, s[6:7]
	global_store_dword v[6:7], v2, off
.LBB136_50:
	s_or_b64 exec, exec, s[8:9]
	v_add3_u32 v2, v37, s15, 48
	v_cmp_gt_u32_e64 s[6:7], s10, v2
	s_and_b64 exec, exec, s[6:7]
	s_cbranch_execz .LBB136_62
; %bb.51:
	v_mul_lo_u32 v2, v2, s14
	s_and_saveexec_b64 s[8:9], vcc
	s_cbranch_execnz .LBB136_78
; %bb.52:
	s_or_b64 exec, exec, s[8:9]
	s_and_saveexec_b64 s[8:9], s[0:1]
	s_cbranch_execnz .LBB136_79
.LBB136_53:
	s_or_b64 exec, exec, s[8:9]
	s_and_saveexec_b64 s[8:9], s[2:3]
	s_cbranch_execnz .LBB136_80
.LBB136_54:
	s_or_b64 exec, exec, s[8:9]
	s_and_saveexec_b64 s[8:9], s[4:5]
	s_cbranch_execz .LBB136_56
.LBB136_55:
	v_add_u32_e32 v2, v2, v27
	v_mov_b32_e32 v3, 0
	v_lshlrev_b64 v[2:3], 2, v[2:3]
	s_waitcnt lgkmcnt(0)
	v_mov_b32_e32 v6, s13
	v_add_co_u32_e64 v2, s[6:7], s12, v2
	v_addc_co_u32_e64 v3, s[6:7], v6, v3, s[6:7]
	global_store_dword v[2:3], v5, off
.LBB136_56:
	s_or_b64 exec, exec, s[8:9]
	v_add3_u32 v2, v37, s15, 56
	v_cmp_gt_u32_e64 s[6:7], s10, v2
	s_and_b64 exec, exec, s[6:7]
	s_cbranch_execz .LBB136_62
; %bb.57:
	v_mul_lo_u32 v2, v2, s14
	s_and_saveexec_b64 s[6:7], vcc
	s_cbranch_execnz .LBB136_81
; %bb.58:
	s_or_b64 exec, exec, s[6:7]
	s_and_saveexec_b64 s[6:7], s[0:1]
	s_cbranch_execnz .LBB136_82
.LBB136_59:
	s_or_b64 exec, exec, s[6:7]
	s_and_saveexec_b64 s[0:1], s[2:3]
	s_cbranch_execnz .LBB136_83
.LBB136_60:
	s_or_b64 exec, exec, s[0:1]
	s_and_b64 exec, exec, s[4:5]
	s_cbranch_execz .LBB136_62
.LBB136_61:
	v_add_u32_e32 v0, v2, v27
	v_mov_b32_e32 v1, 0
	v_lshlrev_b64 v[0:1], 2, v[0:1]
	s_waitcnt lgkmcnt(0)
	v_mov_b32_e32 v2, s13
	v_add_co_u32_e32 v0, vcc, s12, v0
	v_addc_co_u32_e32 v1, vcc, v2, v1, vcc
	global_store_dword v[0:1], v4, off
.LBB136_62:
	s_endpgm
.LBB136_63:
	v_add_u32_e32 v34, v23, v0
	v_mov_b32_e32 v35, 0
	v_lshlrev_b64 v[34:35], 2, v[34:35]
	s_waitcnt lgkmcnt(0)
	v_mov_b32_e32 v31, s13
	v_add_co_u32_e64 v34, s[6:7], s12, v34
	v_addc_co_u32_e64 v35, s[6:7], v31, v35, s[6:7]
	global_store_dword v[34:35], v18, off
	s_or_b64 exec, exec, s[8:9]
	s_and_saveexec_b64 s[8:9], s[0:1]
	s_cbranch_execz .LBB136_23
.LBB136_64:
	v_add_u32_e32 v34, v23, v1
	v_mov_b32_e32 v35, 0
	v_lshlrev_b64 v[34:35], 2, v[34:35]
	s_waitcnt lgkmcnt(0)
	v_mov_b32_e32 v18, s13
	v_add_co_u32_e64 v34, s[6:7], s12, v34
	v_addc_co_u32_e64 v35, s[6:7], v18, v35, s[6:7]
	global_store_dword v[34:35], v30, off
	s_or_b64 exec, exec, s[8:9]
	s_and_saveexec_b64 s[8:9], s[2:3]
	s_cbranch_execz .LBB136_24
.LBB136_65:
	v_add_u32_e32 v30, v23, v19
	v_mov_b32_e32 v31, 0
	v_lshlrev_b64 v[30:31], 2, v[30:31]
	s_waitcnt lgkmcnt(0)
	v_mov_b32_e32 v18, s13
	v_add_co_u32_e64 v30, s[6:7], s12, v30
	v_addc_co_u32_e64 v31, s[6:7], v18, v31, s[6:7]
	global_store_dword v[30:31], v26, off
	s_or_b64 exec, exec, s[8:9]
	s_and_saveexec_b64 s[8:9], s[4:5]
	s_cbranch_execnz .LBB136_25
	s_branch .LBB136_26
.LBB136_66:
	v_add_u32_e32 v22, v18, v0
	v_mov_b32_e32 v23, 0
	v_lshlrev_b64 v[22:23], 2, v[22:23]
	s_waitcnt lgkmcnt(0)
	v_mov_b32_e32 v26, s13
	v_add_co_u32_e64 v22, s[6:7], s12, v22
	v_addc_co_u32_e64 v23, s[6:7], v26, v23, s[6:7]
	global_store_dword v[22:23], v21, off
	s_or_b64 exec, exec, s[8:9]
	s_and_saveexec_b64 s[8:9], s[0:1]
	s_cbranch_execz .LBB136_29
.LBB136_67:
	v_add_u32_e32 v21, v18, v1
	v_mov_b32_e32 v22, 0
	v_lshlrev_b64 v[21:22], 2, v[21:22]
	s_waitcnt lgkmcnt(0)
	v_mov_b32_e32 v23, s13
	v_add_co_u32_e64 v21, s[6:7], s12, v21
	v_addc_co_u32_e64 v22, s[6:7], v23, v22, s[6:7]
	global_store_dword v[21:22], v33, off
	s_or_b64 exec, exec, s[8:9]
	s_and_saveexec_b64 s[8:9], s[2:3]
	s_cbranch_execz .LBB136_30
.LBB136_68:
	v_add_u32_e32 v21, v18, v19
	v_mov_b32_e32 v22, 0
	v_lshlrev_b64 v[21:22], 2, v[21:22]
	s_waitcnt lgkmcnt(0)
	v_mov_b32_e32 v23, s13
	v_add_co_u32_e64 v21, s[6:7], s12, v21
	v_addc_co_u32_e64 v22, s[6:7], v23, v22, s[6:7]
	global_store_dword v[21:22], v29, off
	s_or_b64 exec, exec, s[8:9]
	s_and_saveexec_b64 s[8:9], s[4:5]
	s_cbranch_execnz .LBB136_31
	s_branch .LBB136_32
.LBB136_69:
	v_add_u32_e32 v21, v18, v0
	v_mov_b32_e32 v22, 0
	v_lshlrev_b64 v[21:22], 2, v[21:22]
	s_waitcnt lgkmcnt(0)
	v_mov_b32_e32 v23, s13
	v_add_co_u32_e64 v21, s[6:7], s12, v21
	v_addc_co_u32_e64 v22, s[6:7], v23, v22, s[6:7]
	global_store_dword v[21:22], v20, off
	s_or_b64 exec, exec, s[8:9]
	s_and_saveexec_b64 s[8:9], s[0:1]
	s_cbranch_execz .LBB136_35
.LBB136_70:
	v_add_u32_e32 v20, v18, v1
	v_mov_b32_e32 v21, 0
	v_lshlrev_b64 v[20:21], 2, v[20:21]
	s_waitcnt lgkmcnt(0)
	v_mov_b32_e32 v22, s13
	v_add_co_u32_e64 v20, s[6:7], s12, v20
	v_addc_co_u32_e64 v21, s[6:7], v22, v21, s[6:7]
	global_store_dword v[20:21], v32, off
	s_or_b64 exec, exec, s[8:9]
	s_and_saveexec_b64 s[8:9], s[2:3]
	s_cbranch_execz .LBB136_36
.LBB136_71:
	v_add_u32_e32 v20, v18, v19
	v_mov_b32_e32 v21, 0
	v_lshlrev_b64 v[20:21], 2, v[20:21]
	s_waitcnt lgkmcnt(0)
	v_mov_b32_e32 v22, s13
	v_add_co_u32_e64 v20, s[6:7], s12, v20
	v_addc_co_u32_e64 v21, s[6:7], v22, v21, s[6:7]
	global_store_dword v[20:21], v28, off
	s_or_b64 exec, exec, s[8:9]
	s_and_saveexec_b64 s[8:9], s[4:5]
	s_cbranch_execnz .LBB136_37
	s_branch .LBB136_38
.LBB136_72:
	v_add_u32_e32 v20, v18, v0
	v_mov_b32_e32 v21, 0
	v_lshlrev_b64 v[20:21], 2, v[20:21]
	s_waitcnt lgkmcnt(0)
	v_mov_b32_e32 v22, s13
	v_add_co_u32_e64 v20, s[6:7], s12, v20
	v_addc_co_u32_e64 v21, s[6:7], v22, v21, s[6:7]
	global_store_dword v[20:21], v15, off
	s_or_b64 exec, exec, s[8:9]
	s_and_saveexec_b64 s[8:9], s[0:1]
	s_cbranch_execz .LBB136_41
.LBB136_73:
	v_add_u32_e32 v20, v18, v1
	v_mov_b32_e32 v21, 0
	v_lshlrev_b64 v[20:21], 2, v[20:21]
	s_waitcnt lgkmcnt(0)
	v_mov_b32_e32 v15, s13
	v_add_co_u32_e64 v20, s[6:7], s12, v20
	v_addc_co_u32_e64 v21, s[6:7], v15, v21, s[6:7]
	global_store_dword v[20:21], v11, off
	s_or_b64 exec, exec, s[8:9]
	s_and_saveexec_b64 s[8:9], s[2:3]
	s_cbranch_execz .LBB136_42
.LBB136_74:
	v_add_u32_e32 v20, v18, v19
	v_mov_b32_e32 v21, 0
	v_lshlrev_b64 v[20:21], 2, v[20:21]
	s_waitcnt lgkmcnt(0)
	v_mov_b32_e32 v11, s13
	v_add_co_u32_e64 v20, s[6:7], s12, v20
	v_addc_co_u32_e64 v21, s[6:7], v11, v21, s[6:7]
	global_store_dword v[20:21], v7, off
	s_or_b64 exec, exec, s[8:9]
	s_and_saveexec_b64 s[8:9], s[4:5]
	s_cbranch_execnz .LBB136_43
	s_branch .LBB136_44
.LBB136_75:
	v_add_u32_e32 v20, v3, v0
	v_mov_b32_e32 v21, 0
	v_lshlrev_b64 v[20:21], 2, v[20:21]
	s_waitcnt lgkmcnt(0)
	v_mov_b32_e32 v7, s13
	v_add_co_u32_e64 v20, s[6:7], s12, v20
	v_addc_co_u32_e64 v21, s[6:7], v7, v21, s[6:7]
	global_store_dword v[20:21], v14, off
	s_or_b64 exec, exec, s[8:9]
	s_and_saveexec_b64 s[8:9], s[0:1]
	s_cbranch_execz .LBB136_47
.LBB136_76:
	v_add_u32_e32 v14, v3, v1
	v_mov_b32_e32 v15, 0
	v_lshlrev_b64 v[14:15], 2, v[14:15]
	s_waitcnt lgkmcnt(0)
	v_mov_b32_e32 v7, s13
	v_add_co_u32_e64 v14, s[6:7], s12, v14
	v_addc_co_u32_e64 v15, s[6:7], v7, v15, s[6:7]
	global_store_dword v[14:15], v10, off
	s_or_b64 exec, exec, s[8:9]
	s_and_saveexec_b64 s[8:9], s[2:3]
	s_cbranch_execz .LBB136_48
.LBB136_77:
	v_add_u32_e32 v10, v3, v19
	v_mov_b32_e32 v11, 0
	v_lshlrev_b64 v[10:11], 2, v[10:11]
	s_waitcnt lgkmcnt(0)
	v_mov_b32_e32 v7, s13
	v_add_co_u32_e64 v10, s[6:7], s12, v10
	v_addc_co_u32_e64 v11, s[6:7], v7, v11, s[6:7]
	global_store_dword v[10:11], v6, off
	s_or_b64 exec, exec, s[8:9]
	s_and_saveexec_b64 s[8:9], s[4:5]
	s_cbranch_execnz .LBB136_49
	s_branch .LBB136_50
.LBB136_78:
	v_add_u32_e32 v6, v2, v0
	v_mov_b32_e32 v7, 0
	v_lshlrev_b64 v[6:7], 2, v[6:7]
	s_waitcnt lgkmcnt(0)
	v_mov_b32_e32 v3, s13
	v_add_co_u32_e64 v6, s[6:7], s12, v6
	v_addc_co_u32_e64 v7, s[6:7], v3, v7, s[6:7]
	global_store_dword v[6:7], v17, off
	s_or_b64 exec, exec, s[8:9]
	s_and_saveexec_b64 s[8:9], s[0:1]
	s_cbranch_execz .LBB136_53
.LBB136_79:
	v_add_u32_e32 v6, v2, v1
	v_mov_b32_e32 v7, 0
	v_lshlrev_b64 v[6:7], 2, v[6:7]
	s_waitcnt lgkmcnt(0)
	v_mov_b32_e32 v3, s13
	v_add_co_u32_e64 v6, s[6:7], s12, v6
	v_addc_co_u32_e64 v7, s[6:7], v3, v7, s[6:7]
	global_store_dword v[6:7], v13, off
	s_or_b64 exec, exec, s[8:9]
	s_and_saveexec_b64 s[8:9], s[2:3]
	s_cbranch_execz .LBB136_54
.LBB136_80:
	v_add_u32_e32 v6, v2, v19
	v_mov_b32_e32 v7, 0
	v_lshlrev_b64 v[6:7], 2, v[6:7]
	s_waitcnt lgkmcnt(0)
	v_mov_b32_e32 v3, s13
	v_add_co_u32_e64 v6, s[6:7], s12, v6
	v_addc_co_u32_e64 v7, s[6:7], v3, v7, s[6:7]
	global_store_dword v[6:7], v9, off
	s_or_b64 exec, exec, s[8:9]
	s_and_saveexec_b64 s[8:9], s[4:5]
	s_cbranch_execnz .LBB136_55
	s_branch .LBB136_56
.LBB136_81:
	v_add_u32_e32 v5, v2, v0
	v_mov_b32_e32 v6, 0
	v_lshlrev_b64 v[5:6], 2, v[5:6]
	s_waitcnt lgkmcnt(0)
	v_mov_b32_e32 v0, s13
	v_add_co_u32_e32 v5, vcc, s12, v5
	v_addc_co_u32_e32 v6, vcc, v0, v6, vcc
	global_store_dword v[5:6], v16, off
	s_or_b64 exec, exec, s[6:7]
	s_and_saveexec_b64 s[6:7], s[0:1]
	s_cbranch_execz .LBB136_59
.LBB136_82:
	v_add_u32_e32 v0, v2, v1
	v_mov_b32_e32 v1, 0
	v_lshlrev_b64 v[0:1], 2, v[0:1]
	s_waitcnt lgkmcnt(0)
	v_mov_b32_e32 v3, s13
	v_add_co_u32_e32 v0, vcc, s12, v0
	v_addc_co_u32_e32 v1, vcc, v3, v1, vcc
	global_store_dword v[0:1], v12, off
	s_or_b64 exec, exec, s[6:7]
	s_and_saveexec_b64 s[0:1], s[2:3]
	s_cbranch_execz .LBB136_60
.LBB136_83:
	v_add_u32_e32 v0, v2, v19
	v_mov_b32_e32 v1, 0
	v_lshlrev_b64 v[0:1], 2, v[0:1]
	s_waitcnt lgkmcnt(0)
	v_mov_b32_e32 v3, s13
	v_add_co_u32_e32 v0, vcc, s12, v0
	v_addc_co_u32_e32 v1, vcc, v3, v1, vcc
	global_store_dword v[0:1], v8, off
	s_or_b64 exec, exec, s[0:1]
	s_and_b64 exec, exec, s[4:5]
	s_cbranch_execnz .LBB136_61
	s_branch .LBB136_62
	.section	.rodata,"a",@progbits
	.p2align	6, 0x0
	.amdhsa_kernel _ZL12mul_mat_q6_KIfLb1EEvPKvS1_PT_iiiii
		.amdhsa_group_segment_fixed_size 45136
		.amdhsa_private_segment_fixed_size 232
		.amdhsa_kernarg_size 44
		.amdhsa_user_sgpr_count 6
		.amdhsa_user_sgpr_private_segment_buffer 1
		.amdhsa_user_sgpr_dispatch_ptr 0
		.amdhsa_user_sgpr_queue_ptr 0
		.amdhsa_user_sgpr_kernarg_segment_ptr 1
		.amdhsa_user_sgpr_dispatch_id 0
		.amdhsa_user_sgpr_flat_scratch_init 0
		.amdhsa_user_sgpr_private_segment_size 0
		.amdhsa_uses_dynamic_stack 0
		.amdhsa_system_sgpr_private_segment_wavefront_offset 1
		.amdhsa_system_sgpr_workgroup_id_x 1
		.amdhsa_system_sgpr_workgroup_id_y 1
		.amdhsa_system_sgpr_workgroup_id_z 0
		.amdhsa_system_sgpr_workgroup_info 0
		.amdhsa_system_vgpr_workitem_id 1
		.amdhsa_next_free_vgpr 256
		.amdhsa_next_free_sgpr 98
		.amdhsa_reserve_vcc 1
		.amdhsa_reserve_flat_scratch 0
		.amdhsa_float_round_mode_32 0
		.amdhsa_float_round_mode_16_64 0
		.amdhsa_float_denorm_mode_32 3
		.amdhsa_float_denorm_mode_16_64 3
		.amdhsa_dx10_clamp 1
		.amdhsa_ieee_mode 1
		.amdhsa_fp16_overflow 0
		.amdhsa_exception_fp_ieee_invalid_op 0
		.amdhsa_exception_fp_denorm_src 0
		.amdhsa_exception_fp_ieee_div_zero 0
		.amdhsa_exception_fp_ieee_overflow 0
		.amdhsa_exception_fp_ieee_underflow 0
		.amdhsa_exception_fp_ieee_inexact 0
		.amdhsa_exception_int_div_zero 0
	.end_amdhsa_kernel
	.section	.text._ZL12mul_mat_q6_KIfLb1EEvPKvS1_PT_iiiii,"axG",@progbits,_ZL12mul_mat_q6_KIfLb1EEvPKvS1_PT_iiiii,comdat
.Lfunc_end136:
	.size	_ZL12mul_mat_q6_KIfLb1EEvPKvS1_PT_iiiii, .Lfunc_end136-_ZL12mul_mat_q6_KIfLb1EEvPKvS1_PT_iiiii
                                        ; -- End function
	.set _ZL12mul_mat_q6_KIfLb1EEvPKvS1_PT_iiiii.num_vgpr, 256
	.set _ZL12mul_mat_q6_KIfLb1EEvPKvS1_PT_iiiii.num_agpr, 0
	.set _ZL12mul_mat_q6_KIfLb1EEvPKvS1_PT_iiiii.numbered_sgpr, 28
	.set _ZL12mul_mat_q6_KIfLb1EEvPKvS1_PT_iiiii.num_named_barrier, 0
	.set _ZL12mul_mat_q6_KIfLb1EEvPKvS1_PT_iiiii.private_seg_size, 232
	.set _ZL12mul_mat_q6_KIfLb1EEvPKvS1_PT_iiiii.uses_vcc, 1
	.set _ZL12mul_mat_q6_KIfLb1EEvPKvS1_PT_iiiii.uses_flat_scratch, 0
	.set _ZL12mul_mat_q6_KIfLb1EEvPKvS1_PT_iiiii.has_dyn_sized_stack, 0
	.set _ZL12mul_mat_q6_KIfLb1EEvPKvS1_PT_iiiii.has_recursion, 0
	.set _ZL12mul_mat_q6_KIfLb1EEvPKvS1_PT_iiiii.has_indirect_call, 0
	.section	.AMDGPU.csdata,"",@progbits
; Kernel info:
; codeLenInByte = 24344
; TotalNumSgprs: 32
; NumVgprs: 256
; ScratchSize: 232
; MemoryBound: 0
; FloatMode: 240
; IeeeMode: 1
; LDSByteSize: 45136 bytes/workgroup (compile time only)
; SGPRBlocks: 12
; VGPRBlocks: 63
; NumSGPRsForWavesPerEU: 102
; NumVGPRsForWavesPerEU: 256
; Occupancy: 1
; WaveLimiterHint : 0
; COMPUTE_PGM_RSRC2:SCRATCH_EN: 1
; COMPUTE_PGM_RSRC2:USER_SGPR: 6
; COMPUTE_PGM_RSRC2:TRAP_HANDLER: 0
; COMPUTE_PGM_RSRC2:TGID_X_EN: 1
; COMPUTE_PGM_RSRC2:TGID_Y_EN: 1
; COMPUTE_PGM_RSRC2:TGID_Z_EN: 0
; COMPUTE_PGM_RSRC2:TIDIG_COMP_CNT: 1
	.section	.text._ZL12mul_mat_q4_0IN3c104HalfELb0EEvPKvS3_PT_iiiii,"axG",@progbits,_ZL12mul_mat_q4_0IN3c104HalfELb0EEvPKvS3_PT_iiiii,comdat
	.globl	_ZL12mul_mat_q4_0IN3c104HalfELb0EEvPKvS3_PT_iiiii ; -- Begin function _ZL12mul_mat_q4_0IN3c104HalfELb0EEvPKvS3_PT_iiiii
	.p2align	8
	.type	_ZL12mul_mat_q4_0IN3c104HalfELb0EEvPKvS3_PT_iiiii,@function
_ZL12mul_mat_q4_0IN3c104HalfELb0EEvPKvS3_PT_iiiii: ; @_ZL12mul_mat_q4_0IN3c104HalfELb0EEvPKvS3_PT_iiiii
; %bb.0:
	s_mov_b64 s[22:23], s[2:3]
	s_mov_b64 s[20:21], s[0:1]
	s_add_u32 s20, s20, s8
	s_load_dword s14, s[4:5], 0x18
	s_load_dwordx4 s[8:11], s[4:5], 0x20
	s_addc_u32 s21, s21, 0
	s_waitcnt lgkmcnt(0)
	s_lshl_b32 s11, s7, 6
	v_add_u32_e32 v13, s11, v1
	s_cmp_gt_i32 s14, 31
	s_cbranch_scc1 .LBB137_2
; %bb.1:
	v_add_u32_e32 v9, s11, v1
	s_mov_b64 s[0:1], 0
	s_branch .LBB137_3
.LBB137_2:
	s_mov_b64 s[0:1], -1
                                        ; implicit-def: $vgpr9
.LBB137_3:
	s_load_dwordx2 s[12:13], s[4:5], 0x10
	s_lshl_b32 s6, s6, 7
	s_andn2_b64 vcc, exec, s[0:1]
	s_mov_b32 s7, 0
	s_cbranch_vccnz .LBB137_13
; %bb.4:
	s_load_dwordx4 s[0:3], s[4:5], 0x0
	s_ashr_i32 s4, s14, 31
	s_lshr_b32 s4, s4, 27
	s_ashr_i32 s5, s9, 31
	s_add_i32 s14, s14, s4
	s_lshr_b32 s5, s5, 27
	s_ashr_i32 s4, s14, 5
	s_add_i32 s5, s9, s5
	s_ashr_i32 s16, s5, 5
	s_mul_i32 s5, s4, s6
	v_mul_lo_u32 v28, s4, v1
	s_mul_hi_i32 s9, s5, 18
	s_mul_i32 s5, s5, 18
	s_waitcnt lgkmcnt(0)
	s_add_u32 s5, s0, s5
	s_addc_u32 s9, s1, s9
	s_lshl_b32 s1, s4, 3
	v_add_u32_e32 v30, s1, v28
	v_add_u32_e32 v31, s1, v30
	;; [unrolled: 1-line block ×13, first 2 shown]
	v_lshrrev_b32_e32 v2, 3, v0
	v_add_u32_e32 v43, s1, v42
	v_and_b32_e32 v100, 7, v0
	v_lshl_add_u32 v6, v1, 2, v2
	v_add_u32_e32 v44, s1, v43
	v_and_b32_e32 v2, 0x7fc, v6
	v_lshlrev_b32_e32 v4, 2, v100
	s_movk_i32 s1, 0x6200
	v_add3_u32 v15, v2, v4, s1
	v_add_u32_e32 v2, 32, v6
	v_and_b32_e32 v5, 0xffc, v2
	v_lshlrev_b32_e32 v18, 5, v2
	v_add_u32_e32 v2, 64, v6
	v_add3_u32 v17, v5, v4, s1
	v_and_b32_e32 v5, 0xffc, v2
	v_add3_u32 v19, v5, v4, s1
	v_add_u32_e32 v5, 0x60, v6
	v_lshlrev_b32_e32 v3, 2, v0
	s_movk_i32 s0, 0x84
	v_lshlrev_b32_e32 v20, 5, v2
	v_and_b32_e32 v2, 0xffc, v5
	v_lshrrev_b32_e32 v99, 2, v0
	v_and_b32_e32 v27, 12, v3
	v_mad_u32_u24 v29, v1, s0, v3
	v_add3_u32 v21, v2, v4, s1
	s_add_i32 s1, s8, -1
	v_and_b32_e32 v4, 31, v0
	v_and_b32_e32 v23, 28, v3
	v_mov_b32_e32 v3, 0x4200
	v_lshlrev_b32_e32 v22, 5, v5
	v_cvt_f64_i32_e32 v[45:46], s1
	v_lshl_or_b32 v26, v4, 2, v3
	v_lshl_add_u32 v3, v1, 3, v99
	v_cvt_f64_u32_e32 v[4:5], v13
	v_and_b32_e32 v11, 63, v3
	v_mul_lo_u32 v47, s4, v6
	v_lshlrev_b32_e32 v16, 5, v6
	v_or_b32_e32 v6, s11, v11
	v_min_i32_e32 v12, s1, v6
	v_add_u32_e32 v6, 8, v13
	v_cvt_f64_u32_e32 v[6:7], v6
	v_min_f64 v[4:5], v[4:5], v[45:46]
	v_add_u32_e32 v8, 16, v13
	v_cvt_f64_u32_e32 v[8:9], v8
	v_min_f64 v[6:7], v[6:7], v[45:46]
	s_andn2_b32 s14, s14, 31
	v_add_u32_e32 v48, s14, v47
	v_add_u32_e32 v49, s14, v48
	v_and_b32_e32 v3, 3, v0
	v_add_u32_e32 v50, s14, v49
	v_mad_u64_u32 v[24:25], s[14:15], v12, s16, v[3:4]
	v_min_f64 v[8:9], v[8:9], v[45:46]
	v_cvt_i32_f64_e32 v4, v[4:5]
	v_lshlrev_b32_e32 v3, 2, v3
	v_lshl_or_b32 v3, v11, 4, v3
	v_add_u32_e32 v2, 0x7280, v3
	buffer_store_dword v24, off, s[20:23], 0 offset:64 ; 4-byte Folded Spill
	s_nop 0
	buffer_store_dword v25, off, s[20:23], 0 offset:68 ; 4-byte Folded Spill
	buffer_store_dword v2, off, s[20:23], 0 ; 4-byte Folded Spill
	v_cvt_i32_f64_e32 v3, v[6:7]
	v_mul_lo_u32 v2, s16, v4
	v_cvt_i32_f64_e32 v4, v[8:9]
	v_add_u32_e32 v5, 32, v13
	v_add_u32_e32 v7, 40, v13
	buffer_store_dword v2, off, s[20:23], 0 offset:4 ; 4-byte Folded Spill
	v_mul_lo_u32 v2, s16, v3
	v_add_u32_e32 v3, 24, v13
	v_add_u32_e32 v11, 48, v13
	buffer_store_dword v13, off, s[20:23], 0 offset:120 ; 4-byte Folded Spill
	buffer_store_dword v2, off, s[20:23], 0 offset:8 ; 4-byte Folded Spill
	v_mul_lo_u32 v2, s16, v4
	v_cvt_f64_u32_e32 v[3:4], v3
	v_add_u32_e32 v13, 56, v13
	v_cvt_f64_u32_e32 v[11:12], v11
	v_cvt_f64_u32_e32 v[13:14], v13
	v_min_f64 v[3:4], v[3:4], v[45:46]
	v_cvt_f64_u32_e32 v[5:6], v5
	v_cvt_f64_u32_e32 v[7:8], v7
	buffer_store_dword v2, off, s[20:23], 0 offset:12 ; 4-byte Folded Spill
	v_lshlrev_b32_e32 v51, 7, v1
	v_min_f64 v[5:6], v[5:6], v[45:46]
	v_min_f64 v[7:8], v[7:8], v[45:46]
	buffer_store_dword v1, off, s[20:23], 0 offset:116 ; 4-byte Folded Spill
	v_cvt_i32_f64_e32 v25, v[3:4]
	v_min_f64 v[3:4], v[11:12], v[45:46]
	v_min_f64 v[11:12], v[13:14], v[45:46]
	v_add_co_u32_e32 v13, vcc, s2, v23
	v_cvt_i32_f64_e32 v5, v[5:6]
	v_mul_lo_u32 v2, s16, v25
	v_cvt_i32_f64_e32 v7, v[7:8]
	v_add_u32_e32 v8, 0x60, v0
	v_cvt_i32_f64_e32 v3, v[3:4]
	v_cvt_i32_f64_e32 v4, v[11:12]
	buffer_store_dword v2, off, s[20:23], 0 offset:16 ; 4-byte Folded Spill
	v_mul_lo_u32 v2, s16, v5
	v_and_b32_e32 v8, 0x1fc, v8
	v_mul_lo_u32 v4, s16, v4
	v_add_u32_e32 v9, 0x400, v51
	buffer_store_dword v2, off, s[20:23], 0 offset:20 ; 4-byte Folded Spill
	v_mul_lo_u32 v2, s16, v7
	buffer_store_dword v4, off, s[20:23], 0 offset:32 ; 4-byte Folded Spill
	v_add_u32_e32 v4, 32, v0
	v_lshrrev_b32_e32 v11, 3, v4
	buffer_store_dword v11, off, s[20:23], 0 offset:92 ; 4-byte Folded Spill
	v_mov_b32_e32 v11, s3
	v_add_u32_e32 v7, 64, v0
	v_addc_co_u32_e32 v14, vcc, 0, v11, vcc
	v_lshlrev_b32_e32 v11, 5, v0
	v_add_u32_e32 v8, v11, v8
	v_and_b32_e32 v7, 0x1fc, v7
	v_add_u32_e32 v12, 0x6e00, v8
	v_add_u32_e32 v7, v11, v7
	v_and_b32_e32 v4, 0x1fc, v4
	buffer_store_dword v12, off, s[20:23], 0 offset:76 ; 4-byte Folded Spill
	v_add_u32_e32 v12, 0x6a00, v7
	v_add_u32_e32 v4, v11, v4
	buffer_store_dword v12, off, s[20:23], 0 offset:80 ; 4-byte Folded Spill
	v_add_u32_e32 v12, 0x6600, v4
	buffer_store_dword v12, off, s[20:23], 0 offset:84 ; 4-byte Folded Spill
	v_and_b32_e32 v12, 0xfc, v0
	v_add_u32_e32 v11, v11, v12
	v_add_u32_e32 v12, 0x6200, v11
	buffer_store_dword v12, off, s[20:23], 0 offset:88 ; 4-byte Folded Spill
	v_mov_b32_e32 v12, 0x7280
	v_lshl_add_u32 v73, v1, 4, v12
	v_add_u32_e32 v1, 0x4200, v51
	buffer_store_dword v1, off, s[20:23], 0 offset:36 ; 4-byte Folded Spill
	v_mad_u32_u24 v1, v0, s0, 64
	buffer_store_dword v1, off, s[20:23], 0 offset:96 ; 4-byte Folded Spill
	v_add_u32_e32 v1, 0x6e10, v8
	buffer_store_dword v1, off, s[20:23], 0 offset:100 ; 4-byte Folded Spill
	v_add_u32_e32 v1, 0x6a10, v7
	;; [unrolled: 2-line block ×3, first 2 shown]
	v_mul_lo_u32 v3, s16, v3
	buffer_store_dword v1, off, s[20:23], 0 offset:108 ; 4-byte Folded Spill
	v_add_u32_e32 v1, 0x6210, v11
	v_add_u32_e32 v24, 0x800, v51
	buffer_store_dword v1, off, s[20:23], 0 offset:112 ; 4-byte Folded Spill
	v_add_u32_e32 v1, v26, v9
	v_mov_b32_e32 v10, 0
	v_add_u32_e32 v6, 0xc00, v51
	buffer_store_dword v1, off, s[20:23], 0 offset:40 ; 4-byte Folded Spill
	v_add_u32_e32 v1, v26, v24
	v_add_u32_e32 v5, 0x1000, v51
	v_mov_b32_e32 v11, v10
	buffer_store_dword v1, off, s[20:23], 0 offset:44 ; 4-byte Folded Spill
	v_add_u32_e32 v1, v26, v6
	buffer_store_dword v2, off, s[20:23], 0 offset:24 ; 4-byte Folded Spill
	v_add_u32_e32 v2, 0x1400, v51
	;; [unrolled: 2-line block ×3, first 2 shown]
	v_add_u32_e32 v25, 0x1c00, v51
	v_add_u32_e32 v88, v15, v16
	;; [unrolled: 1-line block ×5, first 2 shown]
	buffer_store_dword v1, off, s[20:23], 0 offset:48 ; 4-byte Folded Spill
	v_add_u32_e32 v1, v26, v5
	v_mov_b32_e32 v22, v11
	v_mov_b32_e32 v20, v11
	;; [unrolled: 1-line block ×4, first 2 shown]
	s_add_i32 s14, s4, 3
	buffer_store_dword v1, off, s[20:23], 0 offset:52 ; 4-byte Folded Spill
	v_add_u32_e32 v1, v26, v2
	v_add_u32_e32 v103, v26, v3
	;; [unrolled: 1-line block ×3, first 2 shown]
	v_mov_b32_e32 v90, v10
	v_mov_b32_e32 v80, v10
	;; [unrolled: 1-line block ×27, first 2 shown]
	buffer_store_dword v51, off, s[20:23], 0 offset:72 ; 4-byte Folded Spill
	buffer_store_dword v1, off, s[20:23], 0 offset:56 ; 4-byte Folded Spill
	;; [unrolled: 1-line block ×3, first 2 shown]
	s_branch .LBB137_6
.LBB137_5:                              ;   in Loop: Header=BB137_6 Depth=1
	s_add_i32 s7, s7, 8
	s_add_i32 s14, s14, -8
	s_cmp_ge_i32 s7, s4
	s_cbranch_scc1 .LBB137_15
.LBB137_6:                              ; =>This Loop Header: Depth=1
                                        ;     Child Loop BB137_8 Depth 2
                                        ;     Child Loop BB137_11 Depth 2
	s_mul_i32 s0, s7, 18
	s_mul_hi_u32 s1, s7, 18
	s_add_u32 s0, s5, s0
	s_addc_u32 s1, s9, s1
	v_mad_u64_u32 v[2:3], s[16:17], v99, 18, s[0:1]
	s_cmp_gt_u32 s14, 3
	v_mad_u64_u32 v[4:5], s[16:17], v28, 18, v[2:3]
	v_mad_u64_u32 v[6:7], s[16:17], v30, 18, v[2:3]
	v_add_co_u32_e32 v4, vcc, v4, v27
	v_mad_u64_u32 v[8:9], s[16:17], v31, 18, v[2:3]
	v_addc_co_u32_e32 v5, vcc, 0, v5, vcc
	v_add_co_u32_e32 v6, vcc, v6, v27
	v_mad_u64_u32 v[11:12], s[16:17], v32, 18, v[2:3]
	v_addc_co_u32_e32 v7, vcc, 0, v7, vcc
	v_add_co_u32_e32 v23, vcc, v8, v27
	v_addc_co_u32_e32 v24, vcc, 0, v9, vcc
	v_mad_u64_u32 v[8:9], s[16:17], v33, 18, v[2:3]
	v_add_co_u32_e32 v25, vcc, v11, v27
	v_addc_co_u32_e32 v26, vcc, 0, v12, vcc
	v_mad_u64_u32 v[11:12], s[16:17], v34, 18, v[2:3]
	;; [unrolled: 3-line block ×4, first 2 shown]
	v_add_co_u32_e32 v53, vcc, v8, v27
	v_mad_u64_u32 v[57:58], s[16:17], v37, 18, v[2:3]
	v_addc_co_u32_e32 v54, vcc, 0, v9, vcc
	v_add_co_u32_e32 v55, vcc, v11, v27
	v_addc_co_u32_e32 v56, vcc, 0, v12, vcc
	global_load_dword v11, v[4:5], off offset:2
	global_load_dword v9, v[6:7], off offset:2
	;; [unrolled: 1-line block ×3, first 2 shown]
	s_nop 0
	global_load_dword v7, v[25:26], off offset:2
	global_load_dword v6, v[45:46], off offset:2
	;; [unrolled: 1-line block ×5, first 2 shown]
	v_add_co_u32_e32 v23, vcc, v57, v27
	v_addc_co_u32_e32 v24, vcc, 0, v58, vcc
	global_load_dword v12, v[23:24], off offset:2
	v_mad_u64_u32 v[23:24], s[16:17], v38, 18, v[2:3]
	v_mad_u64_u32 v[25:26], s[16:17], v39, 18, v[2:3]
	v_add_co_u32_e32 v23, vcc, v23, v27
	v_mad_u64_u32 v[45:46], s[16:17], v40, 18, v[2:3]
	v_addc_co_u32_e32 v24, vcc, 0, v24, vcc
	v_add_co_u32_e32 v25, vcc, v25, v27
	v_mad_u64_u32 v[51:52], s[16:17], v41, 18, v[2:3]
	v_addc_co_u32_e32 v26, vcc, 0, v26, vcc
	;; [unrolled: 3-line block ×6, first 2 shown]
	v_add_co_u32_e32 v2, vcc, v2, v27
	v_addc_co_u32_e32 v3, vcc, 0, v3, vcc
	v_mad_u64_u32 v[69:70], s[0:1], v47, 18, v[57:58]
	global_load_dword v59, v[23:24], off offset:2
	global_load_dword v62, v[25:26], off offset:2
	s_nop 0
	global_load_dword v45, v[45:46], off offset:2
	s_nop 0
	;; [unrolled: 2-line block ×3, first 2 shown]
	global_load_dword v51, v[53:54], off offset:2
	global_load_dword v52, v[55:56], off offset:2
	s_nop 0
	global_load_dword v53, v[2:3], off offset:2
	global_load_ushort v54, v[69:70], off
	v_mad_u64_u32 v[2:3], s[0:1], v48, 18, v[57:58]
	v_mad_u64_u32 v[23:24], s[0:1], v49, 18, v[57:58]
	v_mad_u64_u32 v[25:26], s[0:1], v50, 18, v[57:58]
	global_load_ushort v2, v[2:3], off
	s_nop 0
	global_load_ushort v3, v[23:24], off
	s_nop 0
	global_load_ushort v23, v[25:26], off
	s_waitcnt vmcnt(19)
	ds_write_b32 v29, v11
	v_add_u32_e32 v11, 0x420, v29
	s_waitcnt vmcnt(18)
	ds_write_b32 v11, v9
	v_add_u32_e32 v9, 0x840, v29
	;; [unrolled: 3-line block ×15, first 2 shown]
	s_waitcnt vmcnt(3)
	v_cvt_f32_f16_e32 v4, v54
	ds_write_b32 v1, v53
	s_waitcnt vmcnt(2)
	v_cvt_f32_f16_e32 v1, v2
	s_waitcnt vmcnt(1)
	v_cvt_f32_f16_e32 v2, v3
	;; [unrolled: 2-line block ×3, first 2 shown]
	ds_write_b32 v88, v4
	ds_write_b32 v89, v1
	;; [unrolled: 1-line block ×4, first 2 shown]
	s_cbranch_scc0 .LBB137_5
; %bb.7:                                ;   in Loop: Header=BB137_6 Depth=1
	buffer_load_dword v1, off, s[20:23], 0 offset:64 ; 4-byte Folded Reload
	buffer_load_dword v2, off, s[20:23], 0 offset:68 ; 4-byte Folded Reload
	v_mov_b32_e32 v110, v73
	v_mul_u32_u24_e32 v115, 0x84, v0
	buffer_load_dword v3, off, s[20:23], 0 offset:8 ; 4-byte Folded Reload
	buffer_load_dword v5, off, s[20:23], 0 offset:12 ; 4-byte Folded Reload
	;; [unrolled: 1-line block ×4, first 2 shown]
	s_waitcnt vmcnt(5)
	v_add_u32_e32 v11, s7, v1
	v_lshrrev_b32_e32 v1, 3, v0
	v_add_u32_e32 v9, s7, v1
	buffer_load_dword v1, off, s[20:23], 0 offset:4 ; 4-byte Folded Reload
	v_mad_u64_u32 v[51:52], s[0:1], v11, 36, s[2:3]
	s_waitcnt vmcnt(4)
	v_add_u32_e32 v3, v9, v3
	s_waitcnt vmcnt(1)
	v_add_u32_e32 v12, v9, v12
	v_add_u32_e32 v5, v9, v5
	;; [unrolled: 1-line block ×3, first 2 shown]
	v_mad_i64_i32 v[23:24], s[0:1], v12, 36, v[13:14]
	buffer_load_dword v12, off, s[20:23], 0 offset:24 ; 4-byte Folded Reload
	v_mad_i64_i32 v[3:4], s[0:1], v3, 36, v[13:14]
	v_mad_i64_i32 v[5:6], s[0:1], v5, 36, v[13:14]
	;; [unrolled: 1-line block ×3, first 2 shown]
	s_waitcnt vmcnt(1)
	v_add_u32_e32 v1, v9, v1
	v_mad_i64_i32 v[1:2], s[0:1], v1, 36, v[13:14]
	s_waitcnt vmcnt(0)
	v_add_u32_e32 v12, v9, v12
	v_mad_i64_i32 v[25:26], s[0:1], v12, 36, v[13:14]
	buffer_load_dword v12, off, s[20:23], 0 offset:28 ; 4-byte Folded Reload
	s_waitcnt vmcnt(0)
	v_add_u32_e32 v12, v9, v12
	v_mad_i64_i32 v[45:46], s[0:1], v12, 36, v[13:14]
	buffer_load_dword v12, off, s[20:23], 0 offset:32 ; 4-byte Folded Reload
	s_waitcnt vmcnt(0)
	v_add_u32_e32 v9, v9, v12
	v_mad_i64_i32 v[53:54], s[0:1], v9, 36, v[13:14]
	global_load_dword v9, v[51:52], off
	s_nop 0
	global_load_dword v1, v[1:2], off offset:4
	s_nop 0
	global_load_dword v2, v[3:4], off offset:4
	;; [unrolled: 2-line block ×3, first 2 shown]
	global_load_dword v4, v[7:8], off offset:4
	s_nop 0
	global_load_dword v5, v[23:24], off offset:4
	global_load_dword v6, v[25:26], off offset:4
	;; [unrolled: 1-line block ×4, first 2 shown]
	buffer_load_dword v12, off, s[20:23], 0 offset:60 ; 4-byte Folded Reload
	s_nop 0
	buffer_load_dword v23, off, s[20:23], 0 offset:72 ; 4-byte Folded Reload
	buffer_load_dword v109, off, s[20:23], 0 offset:36 ; 4-byte Folded Reload
	;; [unrolled: 1-line block ×6, first 2 shown]
	s_mov_b32 s0, -4
	s_waitcnt vmcnt(5)
	v_add_u32_e32 v108, v12, v23
	buffer_load_dword v12, off, s[20:23], 0 ; 4-byte Folded Reload
	s_waitcnt vmcnt(0)
	ds_write_b32 v12, v9
	ds_write_b32 v108, v1
	buffer_load_dword v1, off, s[20:23], 0 offset:40 ; 4-byte Folded Reload
	s_waitcnt vmcnt(0)
	ds_write_b32 v1, v2
	buffer_load_dword v1, off, s[20:23], 0 offset:44 ; 4-byte Folded Reload
	s_waitcnt vmcnt(0)
	;; [unrolled: 3-line block ×5, first 2 shown]
	ds_write_b32 v1, v6
	ds_write_b32 v103, v7
	ds_write_b32 v104, v8
	s_waitcnt lgkmcnt(0)
	s_barrier
.LBB137_8:                              ;   Parent Loop BB137_6 Depth=1
                                        ; =>  This Inner Loop Header: Depth=2
	ds_read_b128 v[2:5], v109
	ds_read_b128 v[6:9], v109 offset:16
	ds_read2_b32 v[23:24], v110 offset1:32
	ds_read_b32 v116, v111
	ds_read2_b32 v[25:26], v115 offset1:1
	s_add_i32 s0, s0, 4
	v_add_u32_e32 v111, 4, v111
	s_waitcnt lgkmcnt(2)
	v_cvt_f32_f16_sdwa v96, v23 dst_sel:DWORD dst_unused:UNUSED_PAD src0_sel:WORD_1
	v_cvt_f32_f16_sdwa v98, v24 dst_sel:DWORD dst_unused:UNUSED_PAD src0_sel:WORD_1
	s_waitcnt lgkmcnt(0)
	v_and_b32_e32 v118, 0xf0f0f0f, v25
	v_lshrrev_b32_e32 v1, 4, v25
	v_and_b32_e32 v122, 0xf0f0f0f, v26
	v_lshrrev_b32_e32 v12, 4, v26
	ds_read2_b32 v[25:26], v115 offset0:2 offset1:3
	v_and_b32_e32 v119, 0xf0f0f0f, v1
	v_dot4_i32_i8 v1, v118, v2, 0
	v_dot4_i32_i8 v1, v119, v6, v1
	v_and_b32_e32 v123, 0xf0f0f0f, v12
	v_dot4_i32_i8 v1, v122, v3, v1
	v_dot4_i32_i8 v1, v123, v7, v1
	s_waitcnt lgkmcnt(0)
	v_and_b32_e32 v46, 0xf0f0f0f, v25
	v_lshrrev_b32_e32 v12, 4, v25
	v_and_b32_e32 v78, 0xf0f0f0f, v12
	v_dot4_i32_i8 v1, v46, v4, v1
	v_dot4_i32_i8 v1, v78, v8, v1
	v_and_b32_e32 v81, 0xf0f0f0f, v26
	v_lshrrev_b32_e32 v12, 4, v26
	v_and_b32_e32 v85, 0xf0f0f0f, v12
	v_dot4_i32_i8 v1, v81, v5, v1
	v_dot4_i32_i8 v58, v85, v9, v1
	v_add_u32_e32 v1, 0x1080, v115
	ds_read_b32 v117, v112
	ds_read2_b32 v[25:26], v1 offset1:1
	v_cvt_f32_i32_e32 v58, v58
	v_mul_f32_e32 v96, 0x41000000, v96
	v_mul_f32_e32 v98, 0x41000000, v98
	v_add_u32_e32 v112, 4, v112
	s_waitcnt lgkmcnt(0)
	v_lshrrev_b32_e32 v12, 4, v26
	v_and_b32_e32 v125, 0xf0f0f0f, v12
	v_add_u32_e32 v12, 0x1088, v115
	v_and_b32_e32 v120, 0xf0f0f0f, v25
	v_lshrrev_b32_e32 v1, 4, v25
	v_and_b32_e32 v124, 0xf0f0f0f, v26
	ds_read2_b32 v[25:26], v12 offset1:1
	v_and_b32_e32 v121, 0xf0f0f0f, v1
	v_dot4_i32_i8 v1, v120, v2, 0
	v_dot4_i32_i8 v1, v121, v6, v1
	;; [unrolled: 1-line block ×4, first 2 shown]
	s_waitcnt lgkmcnt(0)
	v_and_b32_e32 v126, 0xf0f0f0f, v25
	v_lshrrev_b32_e32 v12, 4, v25
	v_and_b32_e32 v127, 0xf0f0f0f, v12
	v_dot4_i32_i8 v1, v126, v4, v1
	v_dot4_i32_i8 v1, v127, v8, v1
	v_and_b32_e32 v62, 0xf0f0f0f, v26
	v_lshrrev_b32_e32 v12, 4, v26
	v_and_b32_e32 v79, 0xf0f0f0f, v12
	v_dot4_i32_i8 v1, v62, v5, v1
	v_dot4_i32_i8 v1, v79, v9, v1
	v_cvt_f32_i32_e32 v59, v1
	v_add_u32_e32 v1, 0x2100, v115
	ds_read_b32 v82, v113
	ds_read2_b32 v[25:26], v1 offset1:1
	v_fma_mix_f32 v58, v23, v58, -v96 op_sel_hi:[1,0,0]
	v_fma_mix_f32 v59, v23, v59, -v96 op_sel_hi:[1,0,0]
	v_fmac_f32_e32 v10, v117, v59
	v_fmac_f32_e32 v21, v116, v58
	s_waitcnt lgkmcnt(0)
	v_and_b32_e32 v54, 0xf0f0f0f, v25
	v_lshrrev_b32_e32 v1, 4, v25
	v_lshrrev_b32_e32 v25, 4, v26
	v_and_b32_e32 v77, 0xf0f0f0f, v26
	v_and_b32_e32 v26, 0xf0f0f0f, v25
	v_add_u32_e32 v25, 0x2108, v115
	ds_read2_b32 v[51:52], v25 offset1:1
	v_and_b32_e32 v1, 0xf0f0f0f, v1
	v_dot4_i32_i8 v12, v54, v2, 0
	v_dot4_i32_i8 v12, v1, v6, v12
	;; [unrolled: 1-line block ×4, first 2 shown]
	s_waitcnt lgkmcnt(0)
	v_and_b32_e32 v45, 0xf0f0f0f, v51
	v_lshrrev_b32_e32 v25, 4, v51
	v_and_b32_e32 v64, 0xf0f0f0f, v25
	v_dot4_i32_i8 v12, v45, v4, v12
	v_dot4_i32_i8 v12, v64, v8, v12
	v_and_b32_e32 v66, 0xf0f0f0f, v52
	v_lshrrev_b32_e32 v25, 4, v52
	v_and_b32_e32 v69, 0xf0f0f0f, v25
	v_dot4_i32_i8 v12, v66, v5, v12
	v_dot4_i32_i8 v12, v69, v9, v12
	v_cvt_f32_i32_e32 v60, v12
	v_add_u32_e32 v12, 0x3180, v115
	ds_read_b32 v25, v114
	ds_read2_b32 v[52:53], v12 offset1:1
	v_add_u32_e32 v114, 4, v114
	v_fma_mix_f32 v59, v23, v60, -v96 op_sel_hi:[1,0,0]
	v_fmac_f32_e32 v105, v82, v59
	v_add_u32_e32 v113, 4, v113
	s_waitcnt lgkmcnt(0)
	v_and_b32_e32 v55, 0xf0f0f0f, v52
	v_lshrrev_b32_e32 v12, 4, v52
	v_and_b32_e32 v56, 0xf0f0f0f, v12
	v_dot4_i32_i8 v2, v55, v2, 0
	v_dot4_i32_i8 v2, v56, v6, v2
	v_and_b32_e32 v52, 0xf0f0f0f, v53
	v_lshrrev_b32_e32 v6, 4, v53
	v_and_b32_e32 v12, 0xf0f0f0f, v6
	v_dot4_i32_i8 v2, v52, v3, v2
	v_dot4_i32_i8 v6, v12, v7, v2
	v_add_u32_e32 v2, 0x3188, v115
	ds_read2_b32 v[2:3], v2 offset1:1
	v_add_u32_e32 v115, 16, v115
	s_cmp_lt_u32 s0, 12
	s_waitcnt lgkmcnt(0)
	v_and_b32_e32 v57, 0xf0f0f0f, v2
	v_lshrrev_b32_e32 v2, 4, v2
	v_and_b32_e32 v53, 0xf0f0f0f, v2
	v_dot4_i32_i8 v2, v57, v4, v6
	v_dot4_i32_i8 v2, v53, v8, v2
	v_and_b32_e32 v70, 0xf0f0f0f, v3
	v_lshrrev_b32_e32 v3, 4, v3
	v_and_b32_e32 v51, 0xf0f0f0f, v3
	v_dot4_i32_i8 v2, v70, v5, v2
	v_dot4_i32_i8 v2, v51, v9, v2
	v_cvt_f32_i32_e32 v61, v2
	ds_read_b128 v[2:5], v109 offset:1024
	ds_read_b128 v[6:9], v109 offset:1040
	v_fma_mix_f32 v23, v23, v61, -v96 op_sel_hi:[1,0,0]
	v_fmac_f32_e32 v107, v25, v23
	s_waitcnt lgkmcnt(1)
	v_dot4_i32_i8 v23, v120, v2, 0
	s_waitcnt lgkmcnt(0)
	v_dot4_i32_i8 v23, v121, v6, v23
	v_dot4_i32_i8 v23, v124, v3, v23
	;; [unrolled: 1-line block ×7, first 2 shown]
	v_cvt_f32_i32_e32 v23, v23
	v_dot4_i32_i8 v95, v118, v2, 0
	v_dot4_i32_i8 v95, v119, v6, v95
	;; [unrolled: 1-line block ×3, first 2 shown]
	v_fma_mix_f32 v23, v24, v23, -v98 op_sel_hi:[1,0,0]
	v_fmac_f32_e32 v90, v117, v23
	v_dot4_i32_i8 v23, v54, v2, 0
	v_dot4_i32_i8 v2, v55, v2, 0
	;; [unrolled: 1-line block ×21, first 2 shown]
	v_cvt_f32_i32_e32 v23, v23
	v_cvt_f32_i32_e32 v2, v2
	;; [unrolled: 1-line block ×3, first 2 shown]
	v_fma_mix_f32 v23, v24, v23, -v98 op_sel_hi:[1,0,0]
	v_fma_mix_f32 v2, v24, v2, -v98 op_sel_hi:[1,0,0]
	;; [unrolled: 1-line block ×3, first 2 shown]
	v_fmac_f32_e32 v101, v82, v23
	v_fmac_f32_e32 v106, v25, v2
	ds_read_b128 v[2:5], v109 offset:2048
	ds_read_b128 v[6:9], v109 offset:2064
	ds_read2_b32 v[23:24], v110 offset0:64 offset1:96
	v_fma_f32 v22, v116, v95, v22
	s_waitcnt lgkmcnt(2)
	v_dot4_i32_i8 v59, v120, v2, 0
	v_dot4_i32_i8 v58, v118, v2, 0
	s_waitcnt lgkmcnt(1)
	v_dot4_i32_i8 v59, v121, v6, v59
	v_dot4_i32_i8 v60, v54, v2, 0
	;; [unrolled: 1-line block ×27, first 2 shown]
	s_waitcnt lgkmcnt(0)
	v_cvt_f32_f16_sdwa v96, v23 dst_sel:DWORD dst_unused:UNUSED_PAD src0_sel:WORD_1
	v_dot4_i32_i8 v58, v85, v9, v58
	v_cvt_f32_i32_e32 v59, v59
	v_dot4_i32_i8 v60, v69, v9, v60
	v_dot4_i32_i8 v2, v51, v9, v2
	v_cvt_f32_i32_e32 v60, v60
	v_cvt_f32_i32_e32 v61, v2
	;; [unrolled: 1-line block ×3, first 2 shown]
	ds_read_b128 v[2:5], v109 offset:3072
	ds_read_b128 v[6:9], v109 offset:3088
	v_mul_f32_e32 v96, 0x41000000, v96
	v_fma_mix_f32 v59, v23, v59, -v96 op_sel_hi:[1,0,0]
	v_fma_mix_f32 v58, v58, v23, -v96 op_sel_hi:[0,1,0]
	v_fmac_f32_e32 v80, v117, v59
	v_fma_mix_f32 v59, v23, v60, -v96 op_sel_hi:[1,0,0]
	v_fma_mix_f32 v23, v23, v61, -v96 op_sel_hi:[1,0,0]
	v_fmac_f32_e32 v102, v25, v23
	s_waitcnt lgkmcnt(1)
	v_dot4_i32_i8 v23, v120, v2, 0
	s_waitcnt lgkmcnt(0)
	v_dot4_i32_i8 v23, v121, v6, v23
	v_dot4_i32_i8 v23, v124, v3, v23
	;; [unrolled: 1-line block ×6, first 2 shown]
	v_cvt_f32_f16_sdwa v98, v24 dst_sel:DWORD dst_unused:UNUSED_PAD src0_sel:WORD_1
	v_dot4_i32_i8 v23, v79, v9, v23
	v_cvt_f32_i32_e32 v23, v23
	v_dot4_i32_i8 v95, v118, v2, 0
	v_mul_f32_e32 v98, 0x41000000, v98
	v_dot4_i32_i8 v95, v119, v6, v95
	v_fma_mix_f32 v23, v24, v23, -v98 op_sel_hi:[1,0,0]
	v_fmac_f32_e32 v74, v117, v23
	v_dot4_i32_i8 v23, v54, v2, 0
	v_dot4_i32_i8 v2, v55, v2, 0
	;; [unrolled: 1-line block ×22, first 2 shown]
	v_cvt_f32_i32_e32 v23, v23
	v_cvt_f32_i32_e32 v2, v2
	;; [unrolled: 1-line block ×3, first 2 shown]
	v_fmac_f32_e32 v91, v82, v59
	v_fma_mix_f32 v23, v24, v23, -v98 op_sel_hi:[1,0,0]
	v_fma_mix_f32 v2, v24, v2, -v98 op_sel_hi:[1,0,0]
	;; [unrolled: 1-line block ×3, first 2 shown]
	v_fmac_f32_e32 v86, v82, v23
	v_fmac_f32_e32 v97, v25, v2
	ds_read_b128 v[2:5], v109 offset:4096
	ds_read_b128 v[6:9], v109 offset:4112
	ds_read2_b32 v[23:24], v110 offset0:128 offset1:160
	v_fmac_f32_e32 v19, v116, v58
	v_fma_f32 v20, v116, v95, v20
	s_waitcnt lgkmcnt(2)
	v_dot4_i32_i8 v59, v120, v2, 0
	s_waitcnt lgkmcnt(1)
	v_dot4_i32_i8 v59, v121, v6, v59
	v_dot4_i32_i8 v59, v124, v3, v59
	;; [unrolled: 1-line block ×8, first 2 shown]
	v_cvt_f32_i32_e32 v60, v59
	v_dot4_i32_i8 v59, v54, v2, 0
	v_dot4_i32_i8 v2, v55, v2, 0
	;; [unrolled: 1-line block ×20, first 2 shown]
	s_waitcnt lgkmcnt(0)
	v_cvt_f32_f16_sdwa v98, v23 dst_sel:DWORD dst_unused:UNUSED_PAD src0_sel:WORD_1
	v_dot4_i32_i8 v58, v85, v9, v58
	v_dot4_i32_i8 v59, v69, v9, v59
	;; [unrolled: 1-line block ×3, first 2 shown]
	v_cvt_f32_i32_e32 v61, v59
	v_cvt_f32_i32_e32 v95, v2
	;; [unrolled: 1-line block ×3, first 2 shown]
	ds_read_b128 v[2:5], v109 offset:5120
	ds_read_b128 v[6:9], v109 offset:5136
	v_mul_f32_e32 v98, 0x41000000, v98
	v_fma_mix_f32 v60, v23, v60, -v98 op_sel_hi:[1,0,0]
	v_fma_mix_f32 v58, v58, v23, -v98 op_sel_hi:[0,1,0]
	v_fmac_f32_e32 v71, v117, v60
	v_fma_mix_f32 v60, v23, v61, -v98 op_sel_hi:[1,0,0]
	v_fma_mix_f32 v23, v23, v95, -v98 op_sel_hi:[1,0,0]
	s_waitcnt lgkmcnt(1)
	v_dot4_i32_i8 v59, v118, v2, 0
	v_fmac_f32_e32 v94, v25, v23
	v_dot4_i32_i8 v23, v120, v2, 0
	s_waitcnt lgkmcnt(0)
	v_dot4_i32_i8 v59, v119, v6, v59
	v_dot4_i32_i8 v23, v121, v6, v23
	;; [unrolled: 1-line block ×13, first 2 shown]
	v_cvt_f32_f16_sdwa v59, v24 dst_sel:DWORD dst_unused:UNUSED_PAD src0_sel:WORD_1
	v_dot4_i32_i8 v23, v79, v9, v23
	v_cvt_f32_i32_e32 v23, v23
	v_cvt_f32_i32_e32 v96, v96
	v_mul_f32_e32 v59, 0x41000000, v59
	v_fmac_f32_e32 v83, v82, v60
	v_fma_mix_f32 v23, v24, v23, -v59 op_sel_hi:[1,0,0]
	v_fmac_f32_e32 v67, v117, v23
	v_dot4_i32_i8 v23, v54, v2, 0
	v_dot4_i32_i8 v2, v55, v2, 0
	;; [unrolled: 1-line block ×16, first 2 shown]
	v_cvt_f32_i32_e32 v23, v23
	v_cvt_f32_i32_e32 v2, v2
	v_fma_mix_f32 v96, v96, v24, -v59 op_sel_hi:[0,1,0]
	v_fmac_f32_e32 v17, v116, v58
	v_fma_mix_f32 v23, v24, v23, -v59 op_sel_hi:[1,0,0]
	v_fma_mix_f32 v2, v24, v2, -v59 op_sel_hi:[1,0,0]
	v_fmac_f32_e32 v75, v82, v23
	v_fmac_f32_e32 v87, v25, v2
	ds_read_b128 v[2:5], v109 offset:6144
	ds_read_b128 v[6:9], v109 offset:6160
	ds_read2_b32 v[23:24], v110 offset0:192 offset1:224
	v_fma_f32 v18, v116, v96, v18
	v_add_u32_e32 v110, 4, v110
	s_waitcnt lgkmcnt(2)
	v_dot4_i32_i8 v58, v118, v2, 0
	v_dot4_i32_i8 v59, v120, v2, 0
	;; [unrolled: 1-line block ×4, first 2 shown]
	s_waitcnt lgkmcnt(1)
	v_dot4_i32_i8 v2, v56, v6, v2
	v_dot4_i32_i8 v58, v119, v6, v58
	;; [unrolled: 1-line block ×28, first 2 shown]
	v_cvt_f32_i32_e32 v61, v2
	ds_read_b128 v[2:5], v109 offset:7168
	ds_read_b128 v[6:9], v109 offset:7184
	v_cvt_f32_i32_e32 v59, v59
	v_cvt_f32_i32_e32 v60, v60
	;; [unrolled: 1-line block ×3, first 2 shown]
	s_waitcnt lgkmcnt(1)
	v_dot4_i32_i8 v95, v118, v2, 0
	s_waitcnt lgkmcnt(0)
	v_dot4_i32_i8 v95, v119, v6, v95
	v_dot4_i32_i8 v95, v122, v3, v95
	;; [unrolled: 1-line block ×6, first 2 shown]
	v_cvt_f32_f16_sdwa v81, v23 dst_sel:DWORD dst_unused:UNUSED_PAD src0_sel:WORD_1
	v_dot4_i32_i8 v78, v85, v9, v46
	v_cvt_f32_f16_sdwa v46, v24 dst_sel:DWORD dst_unused:UNUSED_PAD src0_sel:WORD_1
	v_cvt_f32_i32_e32 v78, v78
	v_mul_f32_e32 v81, 0x41000000, v81
	v_fma_mix_f32 v59, v23, v59, -v81 op_sel_hi:[1,0,0]
	v_fma_mix_f32 v58, v58, v23, -v81 op_sel_hi:[0,1,0]
	v_fmac_f32_e32 v65, v117, v59
	v_fma_mix_f32 v59, v23, v60, -v81 op_sel_hi:[1,0,0]
	v_fma_mix_f32 v23, v23, v61, -v81 op_sel_hi:[1,0,0]
	v_fmac_f32_e32 v84, v25, v23
	v_dot4_i32_i8 v23, v120, v2, 0
	v_dot4_i32_i8 v23, v121, v6, v23
	;; [unrolled: 1-line block ×8, first 2 shown]
	v_cvt_f32_i32_e32 v23, v23
	v_mul_f32_e32 v46, 0x41000000, v46
	v_fma_mix_f32 v78, v78, v24, -v46 op_sel_hi:[0,1,0]
	v_fmac_f32_e32 v72, v82, v59
	v_fma_mix_f32 v23, v24, v23, -v46 op_sel_hi:[1,0,0]
	v_fmac_f32_e32 v63, v117, v23
	v_dot4_i32_i8 v23, v54, v2, 0
	v_dot4_i32_i8 v1, v1, v6, v23
	;; [unrolled: 1-line block ×8, first 2 shown]
	v_cvt_f32_i32_e32 v1, v1
	v_fma_f32 v16, v116, v78, v16
	v_fmac_f32_e32 v15, v116, v58
	v_add_u32_e32 v109, 32, v109
	v_fma_mix_f32 v1, v24, v1, -v46 op_sel_hi:[1,0,0]
	v_fmac_f32_e32 v68, v82, v1
	v_dot4_i32_i8 v1, v55, v2, 0
	v_dot4_i32_i8 v1, v56, v6, v1
	;; [unrolled: 1-line block ×8, first 2 shown]
	v_cvt_f32_i32_e32 v1, v1
	v_fma_mix_f32 v1, v24, v1, -v46 op_sel_hi:[1,0,0]
	v_fmac_f32_e32 v76, v25, v1
	s_cbranch_scc1 .LBB137_8
; %bb.9:                                ;   in Loop: Header=BB137_6 Depth=1
	s_and_b32 s0, s14, -4
	s_cmp_eq_u32 s0, 4
	s_barrier
	s_cbranch_scc1 .LBB137_5
; %bb.10:                               ;   in Loop: Header=BB137_6 Depth=1
	buffer_load_dword v1, off, s[20:23], 0 offset:92 ; 4-byte Folded Reload
	v_add_u32_e32 v11, 4, v11
	buffer_load_dword v3, off, s[20:23], 0 offset:8 ; 4-byte Folded Reload
	buffer_load_dword v5, off, s[20:23], 0 offset:12 ; 4-byte Folded Reload
	;; [unrolled: 1-line block ×5, first 2 shown]
	s_waitcnt vmcnt(5)
	v_add_u32_e32 v9, s7, v1
	buffer_load_dword v1, off, s[20:23], 0 offset:4 ; 4-byte Folded Reload
	s_waitcnt vmcnt(5)
	v_add_u32_e32 v3, v9, v3
	s_waitcnt vmcnt(4)
	v_add_u32_e32 v5, v9, v5
	;; [unrolled: 2-line block ×4, first 2 shown]
	v_mad_i64_i32 v[23:24], s[0:1], v12, 36, v[13:14]
	buffer_load_dword v12, off, s[20:23], 0 offset:24 ; 4-byte Folded Reload
	v_mad_i64_i32 v[3:4], s[0:1], v3, 36, v[13:14]
	v_mad_i64_i32 v[5:6], s[0:1], v5, 36, v[13:14]
	;; [unrolled: 1-line block ×3, first 2 shown]
	s_waitcnt vmcnt(1)
	v_add_u32_e32 v1, v9, v1
	v_mad_i64_i32 v[1:2], s[0:1], v1, 36, v[13:14]
	s_waitcnt vmcnt(0)
	v_add_u32_e32 v12, v9, v12
	v_mad_i64_i32 v[25:26], s[0:1], v12, 36, v[13:14]
	buffer_load_dword v12, off, s[20:23], 0 offset:28 ; 4-byte Folded Reload
	s_waitcnt vmcnt(0)
	v_add_u32_e32 v12, v9, v12
	v_add_u32_e32 v9, v9, v51
	v_mad_i64_i32 v[45:46], s[0:1], v12, 36, v[13:14]
	v_mad_u64_u32 v[11:12], s[0:1], v11, 36, s[2:3]
	v_mad_i64_i32 v[51:52], s[0:1], v9, 36, v[13:14]
	s_mov_b32 s0, 12
	global_load_dword v9, v[11:12], off
	s_nop 0
	global_load_dword v1, v[1:2], off offset:4
	s_nop 0
	global_load_dword v2, v[3:4], off offset:4
	;; [unrolled: 2-line block ×3, first 2 shown]
	global_load_dword v4, v[7:8], off offset:4
	s_nop 0
	global_load_dword v5, v[23:24], off offset:4
	global_load_dword v6, v[25:26], off offset:4
	;; [unrolled: 1-line block ×4, first 2 shown]
	buffer_load_dword v109, off, s[20:23], 0 offset:36 ; 4-byte Folded Reload
	buffer_load_dword v110, off, s[20:23], 0 offset:112 ; 4-byte Folded Reload
	;; [unrolled: 1-line block ×5, first 2 shown]
	buffer_load_dword v12, off, s[20:23], 0 ; 4-byte Folded Reload
	v_mov_b32_e32 v11, v73
	s_waitcnt vmcnt(0)
	ds_write_b32 v12, v9
	ds_write_b32 v108, v1
	buffer_load_dword v1, off, s[20:23], 0 offset:40 ; 4-byte Folded Reload
	s_waitcnt vmcnt(0)
	ds_write_b32 v1, v2
	buffer_load_dword v1, off, s[20:23], 0 offset:44 ; 4-byte Folded Reload
	s_waitcnt vmcnt(0)
	;; [unrolled: 3-line block ×5, first 2 shown]
	ds_write_b32 v1, v6
	ds_write_b32 v103, v7
	;; [unrolled: 1-line block ×3, first 2 shown]
	s_waitcnt lgkmcnt(0)
	s_barrier
	buffer_load_dword v108, off, s[20:23], 0 offset:96 ; 4-byte Folded Reload
.LBB137_11:                             ;   Parent Loop BB137_6 Depth=1
                                        ; =>  This Inner Loop Header: Depth=2
	ds_read_b128 v[2:5], v109
	ds_read_b128 v[6:9], v109 offset:16
	ds_read2_b32 v[23:24], v11 offset1:32
	ds_read_b32 v114, v110
	s_waitcnt vmcnt(0)
	ds_read2_b32 v[25:26], v108 offset1:1
	s_add_i32 s0, s0, 4
	v_add_u32_e32 v110, 4, v110
	s_waitcnt lgkmcnt(2)
	v_cvt_f32_f16_sdwa v96, v23 dst_sel:DWORD dst_unused:UNUSED_PAD src0_sel:WORD_1
	v_cvt_f32_f16_sdwa v98, v24 dst_sel:DWORD dst_unused:UNUSED_PAD src0_sel:WORD_1
	s_waitcnt lgkmcnt(0)
	v_and_b32_e32 v116, 0xf0f0f0f, v25
	v_lshrrev_b32_e32 v1, 4, v25
	v_and_b32_e32 v120, 0xf0f0f0f, v26
	v_lshrrev_b32_e32 v12, 4, v26
	ds_read2_b32 v[25:26], v108 offset0:2 offset1:3
	v_and_b32_e32 v117, 0xf0f0f0f, v1
	v_dot4_i32_i8 v1, v116, v2, 0
	v_dot4_i32_i8 v1, v117, v6, v1
	v_and_b32_e32 v121, 0xf0f0f0f, v12
	v_dot4_i32_i8 v1, v120, v3, v1
	v_dot4_i32_i8 v1, v121, v7, v1
	s_waitcnt lgkmcnt(0)
	v_and_b32_e32 v46, 0xf0f0f0f, v25
	v_lshrrev_b32_e32 v12, 4, v25
	v_and_b32_e32 v78, 0xf0f0f0f, v12
	v_dot4_i32_i8 v1, v46, v4, v1
	v_dot4_i32_i8 v1, v78, v8, v1
	v_and_b32_e32 v81, 0xf0f0f0f, v26
	v_lshrrev_b32_e32 v12, 4, v26
	v_and_b32_e32 v85, 0xf0f0f0f, v12
	v_dot4_i32_i8 v1, v81, v5, v1
	v_dot4_i32_i8 v58, v85, v9, v1
	v_add_u32_e32 v1, 0x1080, v108
	ds_read_b32 v115, v111
	ds_read2_b32 v[25:26], v1 offset1:1
	v_cvt_f32_i32_e32 v58, v58
	v_mul_f32_e32 v96, 0x41000000, v96
	v_mul_f32_e32 v98, 0x41000000, v98
	v_add_u32_e32 v111, 4, v111
	s_waitcnt lgkmcnt(0)
	v_lshrrev_b32_e32 v12, 4, v26
	v_and_b32_e32 v123, 0xf0f0f0f, v12
	v_add_u32_e32 v12, 0x1088, v108
	v_and_b32_e32 v118, 0xf0f0f0f, v25
	v_lshrrev_b32_e32 v1, 4, v25
	v_and_b32_e32 v122, 0xf0f0f0f, v26
	ds_read2_b32 v[25:26], v12 offset1:1
	v_and_b32_e32 v119, 0xf0f0f0f, v1
	v_dot4_i32_i8 v1, v118, v2, 0
	v_dot4_i32_i8 v1, v119, v6, v1
	;; [unrolled: 1-line block ×4, first 2 shown]
	s_waitcnt lgkmcnt(0)
	v_and_b32_e32 v124, 0xf0f0f0f, v25
	v_lshrrev_b32_e32 v12, 4, v25
	v_and_b32_e32 v125, 0xf0f0f0f, v12
	v_dot4_i32_i8 v1, v124, v4, v1
	v_dot4_i32_i8 v1, v125, v8, v1
	v_and_b32_e32 v62, 0xf0f0f0f, v26
	v_lshrrev_b32_e32 v12, 4, v26
	v_and_b32_e32 v79, 0xf0f0f0f, v12
	v_dot4_i32_i8 v1, v62, v5, v1
	v_dot4_i32_i8 v1, v79, v9, v1
	v_cvt_f32_i32_e32 v59, v1
	v_add_u32_e32 v1, 0x2100, v108
	ds_read_b32 v82, v112
	ds_read2_b32 v[25:26], v1 offset1:1
	v_fma_mix_f32 v58, v23, v58, -v96 op_sel_hi:[1,0,0]
	v_fma_mix_f32 v59, v23, v59, -v96 op_sel_hi:[1,0,0]
	v_fmac_f32_e32 v10, v115, v59
	v_fmac_f32_e32 v21, v114, v58
	s_waitcnt lgkmcnt(0)
	v_and_b32_e32 v54, 0xf0f0f0f, v25
	v_lshrrev_b32_e32 v1, 4, v25
	v_and_b32_e32 v1, 0xf0f0f0f, v1
	v_dot4_i32_i8 v12, v54, v2, 0
	v_dot4_i32_i8 v12, v1, v6, v12
	v_and_b32_e32 v77, 0xf0f0f0f, v26
	v_lshrrev_b32_e32 v25, 4, v26
	v_and_b32_e32 v26, 0xf0f0f0f, v25
	v_dot4_i32_i8 v12, v77, v3, v12
	v_dot4_i32_i8 v25, v26, v7, v12
	v_add_u32_e32 v12, 0x2108, v108
	ds_read2_b32 v[51:52], v12 offset1:1
	v_add_u32_e32 v112, 4, v112
	s_cmp_lt_u32 s0, 28
	s_waitcnt lgkmcnt(0)
	v_and_b32_e32 v12, 0xf0f0f0f, v51
	v_lshrrev_b32_e32 v45, 4, v51
	v_and_b32_e32 v64, 0xf0f0f0f, v45
	v_dot4_i32_i8 v25, v12, v4, v25
	v_dot4_i32_i8 v25, v64, v8, v25
	v_and_b32_e32 v66, 0xf0f0f0f, v52
	v_lshrrev_b32_e32 v45, 4, v52
	v_and_b32_e32 v69, 0xf0f0f0f, v45
	v_dot4_i32_i8 v25, v66, v5, v25
	v_dot4_i32_i8 v25, v69, v9, v25
	v_cvt_f32_i32_e32 v60, v25
	v_add_u32_e32 v45, 0x3180, v108
	ds_read_b32 v25, v113
	ds_read2_b32 v[52:53], v45 offset1:1
	v_add_u32_e32 v113, 4, v113
	v_fma_mix_f32 v59, v23, v60, -v96 op_sel_hi:[1,0,0]
	v_fmac_f32_e32 v105, v82, v59
	s_waitcnt lgkmcnt(0)
	v_and_b32_e32 v55, 0xf0f0f0f, v52
	v_lshrrev_b32_e32 v45, 4, v52
	v_and_b32_e32 v56, 0xf0f0f0f, v45
	v_dot4_i32_i8 v2, v55, v2, 0
	v_dot4_i32_i8 v2, v56, v6, v2
	v_and_b32_e32 v52, 0xf0f0f0f, v53
	v_lshrrev_b32_e32 v6, 4, v53
	v_and_b32_e32 v45, 0xf0f0f0f, v6
	v_dot4_i32_i8 v2, v52, v3, v2
	v_dot4_i32_i8 v6, v45, v7, v2
	v_add_u32_e32 v2, 0x3188, v108
	ds_read2_b32 v[2:3], v2 offset1:1
	v_add_u32_e32 v108, 16, v108
	s_waitcnt lgkmcnt(0)
	v_and_b32_e32 v57, 0xf0f0f0f, v2
	v_lshrrev_b32_e32 v2, 4, v2
	v_and_b32_e32 v53, 0xf0f0f0f, v2
	v_dot4_i32_i8 v2, v57, v4, v6
	v_dot4_i32_i8 v2, v53, v8, v2
	v_and_b32_e32 v70, 0xf0f0f0f, v3
	v_lshrrev_b32_e32 v3, 4, v3
	v_and_b32_e32 v51, 0xf0f0f0f, v3
	v_dot4_i32_i8 v2, v70, v5, v2
	v_dot4_i32_i8 v2, v51, v9, v2
	v_cvt_f32_i32_e32 v61, v2
	ds_read_b128 v[2:5], v109 offset:1024
	ds_read_b128 v[6:9], v109 offset:1040
	v_fma_mix_f32 v23, v23, v61, -v96 op_sel_hi:[1,0,0]
	v_fmac_f32_e32 v107, v25, v23
	s_waitcnt lgkmcnt(1)
	v_dot4_i32_i8 v23, v118, v2, 0
	s_waitcnt lgkmcnt(0)
	v_dot4_i32_i8 v23, v119, v6, v23
	v_dot4_i32_i8 v23, v122, v3, v23
	;; [unrolled: 1-line block ×7, first 2 shown]
	v_cvt_f32_i32_e32 v23, v23
	v_dot4_i32_i8 v95, v116, v2, 0
	v_dot4_i32_i8 v95, v117, v6, v95
	;; [unrolled: 1-line block ×3, first 2 shown]
	v_fma_mix_f32 v23, v24, v23, -v98 op_sel_hi:[1,0,0]
	v_fmac_f32_e32 v90, v115, v23
	v_dot4_i32_i8 v23, v54, v2, 0
	v_dot4_i32_i8 v2, v55, v2, 0
	;; [unrolled: 1-line block ×21, first 2 shown]
	v_cvt_f32_i32_e32 v23, v23
	v_cvt_f32_i32_e32 v2, v2
	;; [unrolled: 1-line block ×3, first 2 shown]
	v_fma_mix_f32 v23, v24, v23, -v98 op_sel_hi:[1,0,0]
	v_fma_mix_f32 v2, v24, v2, -v98 op_sel_hi:[1,0,0]
	;; [unrolled: 1-line block ×3, first 2 shown]
	v_fmac_f32_e32 v101, v82, v23
	v_fmac_f32_e32 v106, v25, v2
	ds_read_b128 v[2:5], v109 offset:2048
	ds_read_b128 v[6:9], v109 offset:2064
	ds_read2_b32 v[23:24], v11 offset0:64 offset1:96
	v_fma_f32 v22, v114, v95, v22
	s_waitcnt lgkmcnt(2)
	v_dot4_i32_i8 v59, v118, v2, 0
	v_dot4_i32_i8 v58, v116, v2, 0
	s_waitcnt lgkmcnt(1)
	v_dot4_i32_i8 v59, v119, v6, v59
	v_dot4_i32_i8 v60, v54, v2, 0
	;; [unrolled: 1-line block ×27, first 2 shown]
	s_waitcnt lgkmcnt(0)
	v_cvt_f32_f16_sdwa v96, v23 dst_sel:DWORD dst_unused:UNUSED_PAD src0_sel:WORD_1
	v_dot4_i32_i8 v58, v85, v9, v58
	v_cvt_f32_i32_e32 v59, v59
	v_dot4_i32_i8 v60, v69, v9, v60
	v_dot4_i32_i8 v2, v51, v9, v2
	v_cvt_f32_i32_e32 v60, v60
	v_cvt_f32_i32_e32 v61, v2
	;; [unrolled: 1-line block ×3, first 2 shown]
	ds_read_b128 v[2:5], v109 offset:3072
	ds_read_b128 v[6:9], v109 offset:3088
	v_mul_f32_e32 v96, 0x41000000, v96
	v_fma_mix_f32 v59, v23, v59, -v96 op_sel_hi:[1,0,0]
	v_fma_mix_f32 v58, v58, v23, -v96 op_sel_hi:[0,1,0]
	v_fmac_f32_e32 v80, v115, v59
	v_fma_mix_f32 v59, v23, v60, -v96 op_sel_hi:[1,0,0]
	v_fma_mix_f32 v23, v23, v61, -v96 op_sel_hi:[1,0,0]
	v_fmac_f32_e32 v102, v25, v23
	s_waitcnt lgkmcnt(1)
	v_dot4_i32_i8 v23, v118, v2, 0
	s_waitcnt lgkmcnt(0)
	v_dot4_i32_i8 v23, v119, v6, v23
	v_dot4_i32_i8 v23, v122, v3, v23
	;; [unrolled: 1-line block ×6, first 2 shown]
	v_cvt_f32_f16_sdwa v98, v24 dst_sel:DWORD dst_unused:UNUSED_PAD src0_sel:WORD_1
	v_dot4_i32_i8 v23, v79, v9, v23
	v_cvt_f32_i32_e32 v23, v23
	v_dot4_i32_i8 v95, v116, v2, 0
	v_mul_f32_e32 v98, 0x41000000, v98
	v_dot4_i32_i8 v95, v117, v6, v95
	v_fma_mix_f32 v23, v24, v23, -v98 op_sel_hi:[1,0,0]
	v_fmac_f32_e32 v74, v115, v23
	v_dot4_i32_i8 v23, v54, v2, 0
	v_dot4_i32_i8 v2, v55, v2, 0
	;; [unrolled: 1-line block ×22, first 2 shown]
	v_cvt_f32_i32_e32 v23, v23
	v_cvt_f32_i32_e32 v2, v2
	;; [unrolled: 1-line block ×3, first 2 shown]
	v_fmac_f32_e32 v91, v82, v59
	v_fma_mix_f32 v23, v24, v23, -v98 op_sel_hi:[1,0,0]
	v_fma_mix_f32 v2, v24, v2, -v98 op_sel_hi:[1,0,0]
	;; [unrolled: 1-line block ×3, first 2 shown]
	v_fmac_f32_e32 v86, v82, v23
	v_fmac_f32_e32 v97, v25, v2
	ds_read_b128 v[2:5], v109 offset:4096
	ds_read_b128 v[6:9], v109 offset:4112
	ds_read2_b32 v[23:24], v11 offset0:128 offset1:160
	v_fmac_f32_e32 v19, v114, v58
	v_fma_f32 v20, v114, v95, v20
	s_waitcnt lgkmcnt(2)
	v_dot4_i32_i8 v59, v118, v2, 0
	s_waitcnt lgkmcnt(1)
	v_dot4_i32_i8 v59, v119, v6, v59
	v_dot4_i32_i8 v59, v122, v3, v59
	;; [unrolled: 1-line block ×8, first 2 shown]
	v_cvt_f32_i32_e32 v60, v59
	v_dot4_i32_i8 v59, v54, v2, 0
	v_dot4_i32_i8 v2, v55, v2, 0
	v_dot4_i32_i8 v58, v117, v6, v58
	v_dot4_i32_i8 v59, v1, v6, v59
	v_dot4_i32_i8 v2, v56, v6, v2
	v_dot4_i32_i8 v58, v120, v3, v58
	v_dot4_i32_i8 v59, v77, v3, v59
	v_dot4_i32_i8 v2, v52, v3, v2
	v_dot4_i32_i8 v58, v121, v7, v58
	v_dot4_i32_i8 v59, v26, v7, v59
	v_dot4_i32_i8 v2, v45, v7, v2
	v_dot4_i32_i8 v58, v46, v4, v58
	v_dot4_i32_i8 v59, v12, v4, v59
	v_dot4_i32_i8 v2, v57, v4, v2
	v_dot4_i32_i8 v58, v78, v8, v58
	v_dot4_i32_i8 v59, v64, v8, v59
	v_dot4_i32_i8 v2, v53, v8, v2
	v_dot4_i32_i8 v58, v81, v5, v58
	v_dot4_i32_i8 v59, v66, v5, v59
	v_dot4_i32_i8 v2, v70, v5, v2
	s_waitcnt lgkmcnt(0)
	v_cvt_f32_f16_sdwa v98, v23 dst_sel:DWORD dst_unused:UNUSED_PAD src0_sel:WORD_1
	v_dot4_i32_i8 v58, v85, v9, v58
	v_dot4_i32_i8 v59, v69, v9, v59
	;; [unrolled: 1-line block ×3, first 2 shown]
	v_cvt_f32_i32_e32 v61, v59
	v_cvt_f32_i32_e32 v95, v2
	;; [unrolled: 1-line block ×3, first 2 shown]
	ds_read_b128 v[2:5], v109 offset:5120
	ds_read_b128 v[6:9], v109 offset:5136
	v_mul_f32_e32 v98, 0x41000000, v98
	v_fma_mix_f32 v60, v23, v60, -v98 op_sel_hi:[1,0,0]
	v_fma_mix_f32 v58, v58, v23, -v98 op_sel_hi:[0,1,0]
	v_fmac_f32_e32 v71, v115, v60
	v_fma_mix_f32 v60, v23, v61, -v98 op_sel_hi:[1,0,0]
	v_fma_mix_f32 v23, v23, v95, -v98 op_sel_hi:[1,0,0]
	s_waitcnt lgkmcnt(1)
	v_dot4_i32_i8 v59, v116, v2, 0
	v_fmac_f32_e32 v94, v25, v23
	v_dot4_i32_i8 v23, v118, v2, 0
	s_waitcnt lgkmcnt(0)
	v_dot4_i32_i8 v59, v117, v6, v59
	v_dot4_i32_i8 v23, v119, v6, v23
	;; [unrolled: 1-line block ×13, first 2 shown]
	v_cvt_f32_f16_sdwa v59, v24 dst_sel:DWORD dst_unused:UNUSED_PAD src0_sel:WORD_1
	v_dot4_i32_i8 v23, v79, v9, v23
	v_cvt_f32_i32_e32 v23, v23
	v_cvt_f32_i32_e32 v96, v96
	v_mul_f32_e32 v59, 0x41000000, v59
	v_fmac_f32_e32 v83, v82, v60
	v_fma_mix_f32 v23, v24, v23, -v59 op_sel_hi:[1,0,0]
	v_fmac_f32_e32 v67, v115, v23
	v_dot4_i32_i8 v23, v54, v2, 0
	v_dot4_i32_i8 v2, v55, v2, 0
	;; [unrolled: 1-line block ×16, first 2 shown]
	v_cvt_f32_i32_e32 v23, v23
	v_cvt_f32_i32_e32 v2, v2
	v_fma_mix_f32 v96, v96, v24, -v59 op_sel_hi:[0,1,0]
	v_fmac_f32_e32 v17, v114, v58
	v_fma_mix_f32 v23, v24, v23, -v59 op_sel_hi:[1,0,0]
	v_fma_mix_f32 v2, v24, v2, -v59 op_sel_hi:[1,0,0]
	v_fmac_f32_e32 v75, v82, v23
	v_fmac_f32_e32 v87, v25, v2
	ds_read_b128 v[2:5], v109 offset:6144
	ds_read_b128 v[6:9], v109 offset:6160
	ds_read2_b32 v[23:24], v11 offset0:192 offset1:224
	v_fma_f32 v18, v114, v96, v18
	v_add_u32_e32 v11, 4, v11
	s_waitcnt lgkmcnt(2)
	v_dot4_i32_i8 v58, v116, v2, 0
	v_dot4_i32_i8 v59, v118, v2, 0
	;; [unrolled: 1-line block ×4, first 2 shown]
	s_waitcnt lgkmcnt(1)
	v_dot4_i32_i8 v2, v56, v6, v2
	v_dot4_i32_i8 v58, v117, v6, v58
	v_dot4_i32_i8 v59, v119, v6, v59
	v_dot4_i32_i8 v60, v1, v6, v60
	v_dot4_i32_i8 v2, v52, v3, v2
	v_dot4_i32_i8 v58, v120, v3, v58
	v_dot4_i32_i8 v59, v122, v3, v59
	v_dot4_i32_i8 v60, v77, v3, v60
	v_dot4_i32_i8 v2, v45, v7, v2
	v_dot4_i32_i8 v58, v121, v7, v58
	v_dot4_i32_i8 v59, v123, v7, v59
	v_dot4_i32_i8 v60, v26, v7, v60
	v_dot4_i32_i8 v2, v57, v4, v2
	v_dot4_i32_i8 v58, v46, v4, v58
	v_dot4_i32_i8 v59, v124, v4, v59
	v_dot4_i32_i8 v60, v12, v4, v60
	v_dot4_i32_i8 v2, v53, v8, v2
	v_dot4_i32_i8 v58, v78, v8, v58
	v_dot4_i32_i8 v59, v125, v8, v59
	v_dot4_i32_i8 v60, v64, v8, v60
	v_dot4_i32_i8 v2, v70, v5, v2
	v_dot4_i32_i8 v58, v81, v5, v58
	v_dot4_i32_i8 v59, v62, v5, v59
	v_dot4_i32_i8 v60, v66, v5, v60
	v_dot4_i32_i8 v2, v51, v9, v2
	v_dot4_i32_i8 v58, v85, v9, v58
	v_dot4_i32_i8 v59, v79, v9, v59
	v_dot4_i32_i8 v60, v69, v9, v60
	v_cvt_f32_i32_e32 v61, v2
	ds_read_b128 v[2:5], v109 offset:7168
	ds_read_b128 v[6:9], v109 offset:7184
	v_cvt_f32_i32_e32 v59, v59
	v_cvt_f32_i32_e32 v60, v60
	;; [unrolled: 1-line block ×3, first 2 shown]
	s_waitcnt lgkmcnt(1)
	v_dot4_i32_i8 v95, v116, v2, 0
	s_waitcnt lgkmcnt(0)
	v_dot4_i32_i8 v95, v117, v6, v95
	v_dot4_i32_i8 v95, v120, v3, v95
	;; [unrolled: 1-line block ×6, first 2 shown]
	v_cvt_f32_f16_sdwa v81, v23 dst_sel:DWORD dst_unused:UNUSED_PAD src0_sel:WORD_1
	v_dot4_i32_i8 v78, v85, v9, v46
	v_cvt_f32_f16_sdwa v46, v24 dst_sel:DWORD dst_unused:UNUSED_PAD src0_sel:WORD_1
	v_cvt_f32_i32_e32 v78, v78
	v_mul_f32_e32 v81, 0x41000000, v81
	v_fma_mix_f32 v59, v23, v59, -v81 op_sel_hi:[1,0,0]
	v_fma_mix_f32 v58, v58, v23, -v81 op_sel_hi:[0,1,0]
	v_fmac_f32_e32 v65, v115, v59
	v_fma_mix_f32 v59, v23, v60, -v81 op_sel_hi:[1,0,0]
	v_fma_mix_f32 v23, v23, v61, -v81 op_sel_hi:[1,0,0]
	v_fmac_f32_e32 v84, v25, v23
	v_dot4_i32_i8 v23, v118, v2, 0
	v_dot4_i32_i8 v23, v119, v6, v23
	;; [unrolled: 1-line block ×8, first 2 shown]
	v_cvt_f32_i32_e32 v23, v23
	v_mul_f32_e32 v46, 0x41000000, v46
	v_fma_mix_f32 v78, v78, v24, -v46 op_sel_hi:[0,1,0]
	v_fmac_f32_e32 v72, v82, v59
	v_fma_mix_f32 v23, v24, v23, -v46 op_sel_hi:[1,0,0]
	v_fmac_f32_e32 v63, v115, v23
	v_dot4_i32_i8 v23, v54, v2, 0
	v_dot4_i32_i8 v1, v1, v6, v23
	;; [unrolled: 1-line block ×8, first 2 shown]
	v_cvt_f32_i32_e32 v1, v1
	v_fma_f32 v16, v114, v78, v16
	v_fmac_f32_e32 v15, v114, v58
	v_add_u32_e32 v109, 32, v109
	v_fma_mix_f32 v1, v24, v1, -v46 op_sel_hi:[1,0,0]
	v_fmac_f32_e32 v68, v82, v1
	v_dot4_i32_i8 v1, v55, v2, 0
	v_dot4_i32_i8 v1, v56, v6, v1
	;; [unrolled: 1-line block ×8, first 2 shown]
	v_cvt_f32_i32_e32 v1, v1
	v_fma_mix_f32 v1, v24, v1, -v46 op_sel_hi:[1,0,0]
	v_fmac_f32_e32 v76, v25, v1
	s_cbranch_scc1 .LBB137_11
; %bb.12:                               ;   in Loop: Header=BB137_6 Depth=1
	s_barrier
	s_branch .LBB137_5
.LBB137_13:
	v_mov_b32_e32 v34, 0
	v_mov_b32_e32 v4, 0
	;; [unrolled: 1-line block ×28, first 2 shown]
	v_cmp_gt_u32_e32 vcc, s8, v9
	s_and_saveexec_b64 s[0:1], vcc
	s_cbranch_execnz .LBB137_16
.LBB137_14:
	s_endpgm
.LBB137_15:
	v_cvt_f16_f32_e32 v1, v22
	v_cvt_f16_f32_e32 v2, v21
	v_cvt_f16_f32_e32 v4, v18
	v_cvt_f16_f32_e32 v9, v17
	v_cvt_f16_f32_e32 v16, v16
	v_pack_b32_f16 v31, v2, v1
	v_cvt_f16_f32_e32 v1, v20
	v_cvt_f16_f32_e32 v2, v19
	v_pack_b32_f16 v14, v9, v4
	v_cvt_f16_f32_e32 v15, v15
	v_cvt_f16_f32_e32 v10, v10
	v_pack_b32_f16 v24, v2, v1
	buffer_load_dword v9, off, s[20:23], 0 offset:120 ; 4-byte Folded Reload
	buffer_load_dword v1, off, s[20:23], 0 offset:116 ; 4-byte Folded Reload
	v_cvt_f16_f32_e32 v11, v105
	v_cvt_f16_f32_e32 v33, v107
	;; [unrolled: 1-line block ×23, first 2 shown]
	v_pack_b32_f16 v4, v15, v16
	s_waitcnt vmcnt(1)
	v_cmp_gt_u32_e32 vcc, s8, v9
	s_and_saveexec_b64 s[0:1], vcc
	s_cbranch_execz .LBB137_14
.LBB137_16:
	v_mul_lo_u32 v15, v9, s10
	v_add_u32_e32 v0, s6, v0
	v_cmp_gt_u32_e32 vcc, s10, v0
	s_and_saveexec_b64 s[2:3], vcc
	s_cbranch_execz .LBB137_18
; %bb.17:
	v_add_u32_e32 v16, v0, v15
	v_mov_b32_e32 v17, 0
	v_lshlrev_b64 v[16:17], 1, v[16:17]
	s_waitcnt lgkmcnt(0)
	v_mov_b32_e32 v9, s13
	v_add_co_u32_e64 v16, s[0:1], s12, v16
	v_addc_co_u32_e64 v17, s[0:1], v9, v17, s[0:1]
	global_store_short v[16:17], v31, off
.LBB137_18:
	s_or_b64 exec, exec, s[2:3]
	v_add_u32_e32 v9, 32, v0
	v_cmp_gt_u32_e64 s[0:1], s10, v9
	s_and_saveexec_b64 s[4:5], s[0:1]
	s_cbranch_execz .LBB137_20
; %bb.19:
	v_add_u32_e32 v16, v9, v15
	v_mov_b32_e32 v17, 0
	v_lshlrev_b64 v[16:17], 1, v[16:17]
	s_waitcnt lgkmcnt(0)
	v_mov_b32_e32 v18, s13
	v_add_co_u32_e64 v16, s[2:3], s12, v16
	v_addc_co_u32_e64 v17, s[2:3], v18, v17, s[2:3]
	global_store_short v[16:17], v10, off
.LBB137_20:
	s_or_b64 exec, exec, s[4:5]
	v_add_u32_e32 v10, 64, v0
	v_cmp_gt_u32_e64 s[2:3], s10, v10
	s_and_saveexec_b64 s[6:7], s[2:3]
	;; [unrolled: 15-line block ×3, first 2 shown]
	s_cbranch_execz .LBB137_24
; %bb.23:
	v_add_u32_e32 v15, v11, v15
	v_mov_b32_e32 v16, 0
	v_lshlrev_b64 v[15:16], 1, v[15:16]
	s_waitcnt lgkmcnt(0)
	v_mov_b32_e32 v17, s13
	v_add_co_u32_e64 v15, s[6:7], s12, v15
	v_addc_co_u32_e64 v16, s[6:7], v17, v16, s[6:7]
	global_store_short v[15:16], v33, off
.LBB137_24:
	s_or_b64 exec, exec, s[14:15]
	s_waitcnt vmcnt(0)
	v_add3_u32 v15, v1, s11, 8
	v_cmp_gt_u32_e64 s[6:7], s8, v15
	s_and_b64 exec, exec, s[6:7]
	s_cbranch_execz .LBB137_14
; %bb.25:
	v_mul_lo_u32 v15, v15, s10
	s_and_saveexec_b64 s[14:15], vcc
	s_cbranch_execnz .LBB137_65
; %bb.26:
	s_or_b64 exec, exec, s[14:15]
	s_and_saveexec_b64 s[14:15], s[0:1]
	s_cbranch_execnz .LBB137_66
.LBB137_27:
	s_or_b64 exec, exec, s[14:15]
	s_and_saveexec_b64 s[14:15], s[2:3]
	s_cbranch_execnz .LBB137_67
.LBB137_28:
	s_or_b64 exec, exec, s[14:15]
	s_and_saveexec_b64 s[14:15], s[4:5]
	s_cbranch_execz .LBB137_30
.LBB137_29:
	v_add_u32_e32 v15, v15, v11
	v_mov_b32_e32 v16, 0
	v_lshlrev_b64 v[15:16], 1, v[15:16]
	s_waitcnt lgkmcnt(0)
	v_mov_b32_e32 v17, s13
	v_add_co_u32_e64 v15, s[6:7], s12, v15
	v_addc_co_u32_e64 v16, s[6:7], v17, v16, s[6:7]
	global_store_short v[15:16], v29, off
.LBB137_30:
	s_or_b64 exec, exec, s[14:15]
	v_add3_u32 v15, v1, s11, 16
	v_cmp_gt_u32_e64 s[6:7], s8, v15
	s_and_b64 exec, exec, s[6:7]
	s_cbranch_execz .LBB137_14
; %bb.31:
	v_mul_lo_u32 v15, v15, s10
	s_and_saveexec_b64 s[14:15], vcc
	s_cbranch_execnz .LBB137_68
; %bb.32:
	s_or_b64 exec, exec, s[14:15]
	s_and_saveexec_b64 s[14:15], s[0:1]
	s_cbranch_execnz .LBB137_69
.LBB137_33:
	s_or_b64 exec, exec, s[14:15]
	s_and_saveexec_b64 s[14:15], s[2:3]
	s_cbranch_execnz .LBB137_70
.LBB137_34:
	s_or_b64 exec, exec, s[14:15]
	s_and_saveexec_b64 s[14:15], s[4:5]
	s_cbranch_execz .LBB137_36
.LBB137_35:
	v_add_u32_e32 v15, v15, v11
	v_mov_b32_e32 v16, 0
	v_lshlrev_b64 v[15:16], 1, v[15:16]
	s_waitcnt lgkmcnt(0)
	v_mov_b32_e32 v17, s13
	v_add_co_u32_e64 v15, s[6:7], s12, v15
	v_addc_co_u32_e64 v16, s[6:7], v17, v16, s[6:7]
	global_store_short v[15:16], v26, off
.LBB137_36:
	s_or_b64 exec, exec, s[14:15]
	v_add3_u32 v15, v1, s11, 24
	v_cmp_gt_u32_e64 s[6:7], s8, v15
	s_and_b64 exec, exec, s[6:7]
	s_cbranch_execz .LBB137_14
; %bb.37:
	v_mul_lo_u32 v15, v15, s10
	s_and_saveexec_b64 s[14:15], vcc
	s_cbranch_execnz .LBB137_71
; %bb.38:
	s_or_b64 exec, exec, s[14:15]
	s_and_saveexec_b64 s[14:15], s[0:1]
	s_cbranch_execnz .LBB137_72
.LBB137_39:
	s_or_b64 exec, exec, s[14:15]
	s_and_saveexec_b64 s[14:15], s[2:3]
	s_cbranch_execnz .LBB137_73
.LBB137_40:
	s_or_b64 exec, exec, s[14:15]
	s_and_saveexec_b64 s[14:15], s[4:5]
	s_cbranch_execz .LBB137_42
.LBB137_41:
	v_add_u32_e32 v15, v15, v11
	v_mov_b32_e32 v16, 0
	v_lshlrev_b64 v[15:16], 1, v[15:16]
	s_waitcnt lgkmcnt(0)
	v_mov_b32_e32 v17, s13
	v_add_co_u32_e64 v15, s[6:7], s12, v15
	v_addc_co_u32_e64 v16, s[6:7], v17, v16, s[6:7]
	global_store_short v[15:16], v22, off
.LBB137_42:
	s_or_b64 exec, exec, s[14:15]
	v_add3_u32 v15, v1, s11, 32
	v_cmp_gt_u32_e64 s[6:7], s8, v15
	s_and_b64 exec, exec, s[6:7]
	s_cbranch_execz .LBB137_14
; %bb.43:
	v_mul_lo_u32 v15, v15, s10
	s_and_saveexec_b64 s[14:15], vcc
	s_cbranch_execnz .LBB137_74
; %bb.44:
	s_or_b64 exec, exec, s[14:15]
	s_and_saveexec_b64 s[14:15], s[0:1]
	s_cbranch_execnz .LBB137_75
.LBB137_45:
	s_or_b64 exec, exec, s[14:15]
	s_and_saveexec_b64 s[14:15], s[2:3]
	s_cbranch_execnz .LBB137_76
.LBB137_46:
	s_or_b64 exec, exec, s[14:15]
	s_and_saveexec_b64 s[14:15], s[4:5]
	s_cbranch_execz .LBB137_48
.LBB137_47:
	v_add_u32_e32 v15, v15, v11
	v_mov_b32_e32 v16, 0
	v_lshlrev_b64 v[15:16], 1, v[15:16]
	s_waitcnt lgkmcnt(0)
	v_mov_b32_e32 v17, s13
	v_add_co_u32_e64 v15, s[6:7], s12, v15
	v_addc_co_u32_e64 v16, s[6:7], v17, v16, s[6:7]
	global_store_short v[15:16], v19, off
.LBB137_48:
	s_or_b64 exec, exec, s[14:15]
	v_add3_u32 v15, v1, s11, 40
	v_cmp_gt_u32_e64 s[6:7], s8, v15
	s_and_b64 exec, exec, s[6:7]
	s_cbranch_execz .LBB137_14
; %bb.49:
	v_mul_lo_u32 v15, v15, s10
	s_and_saveexec_b64 s[14:15], vcc
	s_cbranch_execnz .LBB137_77
; %bb.50:
	s_or_b64 exec, exec, s[14:15]
	s_and_saveexec_b64 s[14:15], s[0:1]
	s_cbranch_execnz .LBB137_78
.LBB137_51:
	s_or_b64 exec, exec, s[14:15]
	s_and_saveexec_b64 s[14:15], s[2:3]
	s_cbranch_execnz .LBB137_79
.LBB137_52:
	s_or_b64 exec, exec, s[14:15]
	s_and_saveexec_b64 s[14:15], s[4:5]
	s_cbranch_execz .LBB137_54
.LBB137_53:
	v_add_u32_e32 v12, v15, v11
	v_mov_b32_e32 v13, 0
	v_lshlrev_b64 v[12:13], 1, v[12:13]
	s_waitcnt lgkmcnt(0)
	v_mov_b32_e32 v14, s13
	v_add_co_u32_e64 v12, s[6:7], s12, v12
	v_addc_co_u32_e64 v13, s[6:7], v14, v13, s[6:7]
	global_store_short v[12:13], v8, off
.LBB137_54:
	s_or_b64 exec, exec, s[14:15]
	v_add3_u32 v8, v1, s11, 48
	v_cmp_gt_u32_e64 s[6:7], s8, v8
	s_and_b64 exec, exec, s[6:7]
	s_cbranch_execz .LBB137_14
; %bb.55:
	v_mul_lo_u32 v8, v8, s10
	s_and_saveexec_b64 s[14:15], vcc
	s_cbranch_execnz .LBB137_80
; %bb.56:
	s_or_b64 exec, exec, s[14:15]
	s_and_saveexec_b64 s[14:15], s[0:1]
	s_cbranch_execnz .LBB137_81
.LBB137_57:
	s_or_b64 exec, exec, s[14:15]
	s_and_saveexec_b64 s[14:15], s[2:3]
	s_cbranch_execnz .LBB137_82
.LBB137_58:
	s_or_b64 exec, exec, s[14:15]
	s_and_saveexec_b64 s[14:15], s[4:5]
	s_cbranch_execz .LBB137_60
.LBB137_59:
	v_add_u32_e32 v6, v8, v11
	v_mov_b32_e32 v7, 0
	v_lshlrev_b64 v[6:7], 1, v[6:7]
	s_waitcnt lgkmcnt(0)
	v_mov_b32_e32 v8, s13
	v_add_co_u32_e64 v6, s[6:7], s12, v6
	v_addc_co_u32_e64 v7, s[6:7], v8, v7, s[6:7]
	global_store_short v[6:7], v5, off
.LBB137_60:
	s_or_b64 exec, exec, s[14:15]
	v_add3_u32 v5, v1, s11, 56
	v_cmp_gt_u32_e64 s[6:7], s8, v5
	s_and_b64 exec, exec, s[6:7]
	s_cbranch_execz .LBB137_14
; %bb.61:
	v_mul_lo_u32 v5, v5, s10
	s_and_saveexec_b64 s[6:7], vcc
	s_cbranch_execnz .LBB137_83
; %bb.62:
	s_or_b64 exec, exec, s[6:7]
	s_and_saveexec_b64 s[6:7], s[0:1]
	s_cbranch_execnz .LBB137_84
.LBB137_63:
	s_or_b64 exec, exec, s[6:7]
	s_and_saveexec_b64 s[0:1], s[2:3]
	s_cbranch_execnz .LBB137_85
.LBB137_64:
	s_or_b64 exec, exec, s[0:1]
	s_and_b64 exec, exec, s[4:5]
	s_cbranch_execz .LBB137_14
	s_branch .LBB137_86
.LBB137_65:
	v_add_u32_e32 v16, v15, v0
	v_mov_b32_e32 v17, 0
	v_lshlrev_b64 v[16:17], 1, v[16:17]
	s_waitcnt lgkmcnt(0)
	v_mov_b32_e32 v18, s13
	v_add_co_u32_e64 v16, s[6:7], s12, v16
	v_addc_co_u32_e64 v17, s[6:7], v18, v17, s[6:7]
	global_store_short_d16_hi v[16:17], v31, off
	s_or_b64 exec, exec, s[14:15]
	s_and_saveexec_b64 s[14:15], s[0:1]
	s_cbranch_execz .LBB137_27
.LBB137_66:
	v_add_u32_e32 v16, v15, v9
	v_mov_b32_e32 v17, 0
	v_lshlrev_b64 v[16:17], 1, v[16:17]
	s_waitcnt lgkmcnt(0)
	v_mov_b32_e32 v18, s13
	v_add_co_u32_e64 v16, s[6:7], s12, v16
	v_addc_co_u32_e64 v17, s[6:7], v18, v17, s[6:7]
	global_store_short v[16:17], v32, off
	s_or_b64 exec, exec, s[14:15]
	s_and_saveexec_b64 s[14:15], s[2:3]
	s_cbranch_execz .LBB137_28
.LBB137_67:
	v_add_u32_e32 v16, v15, v10
	v_mov_b32_e32 v17, 0
	v_lshlrev_b64 v[16:17], 1, v[16:17]
	s_waitcnt lgkmcnt(0)
	v_mov_b32_e32 v18, s13
	v_add_co_u32_e64 v16, s[6:7], s12, v16
	v_addc_co_u32_e64 v17, s[6:7], v18, v17, s[6:7]
	global_store_short v[16:17], v30, off
	s_or_b64 exec, exec, s[14:15]
	s_and_saveexec_b64 s[14:15], s[4:5]
	s_cbranch_execnz .LBB137_29
	s_branch .LBB137_30
.LBB137_68:
	v_add_u32_e32 v16, v15, v0
	v_mov_b32_e32 v17, 0
	v_lshlrev_b64 v[16:17], 1, v[16:17]
	s_waitcnt lgkmcnt(0)
	v_mov_b32_e32 v18, s13
	v_add_co_u32_e64 v16, s[6:7], s12, v16
	v_addc_co_u32_e64 v17, s[6:7], v18, v17, s[6:7]
	global_store_short v[16:17], v24, off
	s_or_b64 exec, exec, s[14:15]
	s_and_saveexec_b64 s[14:15], s[0:1]
	s_cbranch_execz .LBB137_33
.LBB137_69:
	v_add_u32_e32 v16, v15, v9
	v_mov_b32_e32 v17, 0
	v_lshlrev_b64 v[16:17], 1, v[16:17]
	s_waitcnt lgkmcnt(0)
	v_mov_b32_e32 v18, s13
	v_add_co_u32_e64 v16, s[6:7], s12, v16
	v_addc_co_u32_e64 v17, s[6:7], v18, v17, s[6:7]
	global_store_short v[16:17], v28, off
	s_or_b64 exec, exec, s[14:15]
	s_and_saveexec_b64 s[14:15], s[2:3]
	s_cbranch_execz .LBB137_34
.LBB137_70:
	v_add_u32_e32 v16, v15, v10
	v_mov_b32_e32 v17, 0
	v_lshlrev_b64 v[16:17], 1, v[16:17]
	s_waitcnt lgkmcnt(0)
	v_mov_b32_e32 v18, s13
	v_add_co_u32_e64 v16, s[6:7], s12, v16
	v_addc_co_u32_e64 v17, s[6:7], v18, v17, s[6:7]
	global_store_short v[16:17], v27, off
	s_or_b64 exec, exec, s[14:15]
	s_and_saveexec_b64 s[14:15], s[4:5]
	s_cbranch_execnz .LBB137_35
	s_branch .LBB137_36
.LBB137_71:
	v_add_u32_e32 v16, v15, v0
	v_mov_b32_e32 v17, 0
	v_lshlrev_b64 v[16:17], 1, v[16:17]
	s_waitcnt lgkmcnt(0)
	v_mov_b32_e32 v18, s13
	v_add_co_u32_e64 v16, s[6:7], s12, v16
	v_addc_co_u32_e64 v17, s[6:7], v18, v17, s[6:7]
	global_store_short_d16_hi v[16:17], v24, off
	s_or_b64 exec, exec, s[14:15]
	s_and_saveexec_b64 s[14:15], s[0:1]
	s_cbranch_execz .LBB137_39
.LBB137_72:
	v_add_u32_e32 v16, v15, v9
	v_mov_b32_e32 v17, 0
	v_lshlrev_b64 v[16:17], 1, v[16:17]
	s_waitcnt lgkmcnt(0)
	v_mov_b32_e32 v18, s13
	v_add_co_u32_e64 v16, s[6:7], s12, v16
	v_addc_co_u32_e64 v17, s[6:7], v18, v17, s[6:7]
	global_store_short v[16:17], v25, off
	s_or_b64 exec, exec, s[14:15]
	s_and_saveexec_b64 s[14:15], s[2:3]
	s_cbranch_execz .LBB137_40
.LBB137_73:
	v_add_u32_e32 v16, v15, v10
	v_mov_b32_e32 v17, 0
	v_lshlrev_b64 v[16:17], 1, v[16:17]
	s_waitcnt lgkmcnt(0)
	v_mov_b32_e32 v18, s13
	v_add_co_u32_e64 v16, s[6:7], s12, v16
	v_addc_co_u32_e64 v17, s[6:7], v18, v17, s[6:7]
	global_store_short v[16:17], v23, off
	s_or_b64 exec, exec, s[14:15]
	s_and_saveexec_b64 s[14:15], s[4:5]
	s_cbranch_execnz .LBB137_41
	s_branch .LBB137_42
.LBB137_74:
	v_add_u32_e32 v16, v15, v0
	v_mov_b32_e32 v17, 0
	v_lshlrev_b64 v[16:17], 1, v[16:17]
	s_waitcnt lgkmcnt(0)
	v_mov_b32_e32 v18, s13
	v_add_co_u32_e64 v16, s[6:7], s12, v16
	v_addc_co_u32_e64 v17, s[6:7], v18, v17, s[6:7]
	global_store_short v[16:17], v14, off
	s_or_b64 exec, exec, s[14:15]
	s_and_saveexec_b64 s[14:15], s[0:1]
	s_cbranch_execz .LBB137_45
.LBB137_75:
	v_add_u32_e32 v16, v15, v9
	v_mov_b32_e32 v17, 0
	v_lshlrev_b64 v[16:17], 1, v[16:17]
	s_waitcnt lgkmcnt(0)
	v_mov_b32_e32 v18, s13
	v_add_co_u32_e64 v16, s[6:7], s12, v16
	v_addc_co_u32_e64 v17, s[6:7], v18, v17, s[6:7]
	global_store_short v[16:17], v21, off
	s_or_b64 exec, exec, s[14:15]
	s_and_saveexec_b64 s[14:15], s[2:3]
	s_cbranch_execz .LBB137_46
.LBB137_76:
	v_add_u32_e32 v16, v15, v10
	v_mov_b32_e32 v17, 0
	v_lshlrev_b64 v[16:17], 1, v[16:17]
	s_waitcnt lgkmcnt(0)
	v_mov_b32_e32 v18, s13
	v_add_co_u32_e64 v16, s[6:7], s12, v16
	v_addc_co_u32_e64 v17, s[6:7], v18, v17, s[6:7]
	global_store_short v[16:17], v20, off
	s_or_b64 exec, exec, s[14:15]
	s_and_saveexec_b64 s[14:15], s[4:5]
	s_cbranch_execnz .LBB137_47
	s_branch .LBB137_48
.LBB137_77:
	v_add_u32_e32 v16, v15, v0
	v_mov_b32_e32 v17, 0
	v_lshlrev_b64 v[16:17], 1, v[16:17]
	s_waitcnt lgkmcnt(0)
	v_mov_b32_e32 v18, s13
	v_add_co_u32_e64 v16, s[6:7], s12, v16
	v_addc_co_u32_e64 v17, s[6:7], v18, v17, s[6:7]
	global_store_short_d16_hi v[16:17], v14, off
	s_or_b64 exec, exec, s[14:15]
	s_and_saveexec_b64 s[14:15], s[0:1]
	s_cbranch_execz .LBB137_51
.LBB137_78:
	v_add_u32_e32 v16, v15, v9
	v_mov_b32_e32 v17, 0
	v_lshlrev_b64 v[16:17], 1, v[16:17]
	s_waitcnt lgkmcnt(0)
	v_mov_b32_e32 v14, s13
	v_add_co_u32_e64 v16, s[6:7], s12, v16
	v_addc_co_u32_e64 v17, s[6:7], v14, v17, s[6:7]
	global_store_short v[16:17], v13, off
	s_or_b64 exec, exec, s[14:15]
	s_and_saveexec_b64 s[14:15], s[2:3]
	s_cbranch_execz .LBB137_52
.LBB137_79:
	v_add_u32_e32 v13, v15, v10
	v_mov_b32_e32 v14, 0
	v_lshlrev_b64 v[13:14], 1, v[13:14]
	s_waitcnt lgkmcnt(0)
	v_mov_b32_e32 v16, s13
	v_add_co_u32_e64 v13, s[6:7], s12, v13
	v_addc_co_u32_e64 v14, s[6:7], v16, v14, s[6:7]
	global_store_short v[13:14], v12, off
	s_or_b64 exec, exec, s[14:15]
	s_and_saveexec_b64 s[14:15], s[4:5]
	s_cbranch_execnz .LBB137_53
	s_branch .LBB137_54
.LBB137_80:
	v_add_u32_e32 v12, v8, v0
	v_mov_b32_e32 v13, 0
	v_lshlrev_b64 v[12:13], 1, v[12:13]
	s_waitcnt lgkmcnt(0)
	v_mov_b32_e32 v14, s13
	v_add_co_u32_e64 v12, s[6:7], s12, v12
	v_addc_co_u32_e64 v13, s[6:7], v14, v13, s[6:7]
	global_store_short v[12:13], v4, off
	s_or_b64 exec, exec, s[14:15]
	s_and_saveexec_b64 s[14:15], s[0:1]
	s_cbranch_execz .LBB137_57
.LBB137_81:
	v_add_u32_e32 v12, v8, v9
	v_mov_b32_e32 v13, 0
	v_lshlrev_b64 v[12:13], 1, v[12:13]
	s_waitcnt lgkmcnt(0)
	v_mov_b32_e32 v14, s13
	v_add_co_u32_e64 v12, s[6:7], s12, v12
	v_addc_co_u32_e64 v13, s[6:7], v14, v13, s[6:7]
	global_store_short v[12:13], v7, off
	s_or_b64 exec, exec, s[14:15]
	s_and_saveexec_b64 s[14:15], s[2:3]
	s_cbranch_execz .LBB137_58
.LBB137_82:
	v_add_u32_e32 v12, v8, v10
	v_mov_b32_e32 v13, 0
	v_lshlrev_b64 v[12:13], 1, v[12:13]
	s_waitcnt lgkmcnt(0)
	v_mov_b32_e32 v7, s13
	v_add_co_u32_e64 v12, s[6:7], s12, v12
	v_addc_co_u32_e64 v13, s[6:7], v7, v13, s[6:7]
	global_store_short v[12:13], v6, off
	s_or_b64 exec, exec, s[14:15]
	s_and_saveexec_b64 s[14:15], s[4:5]
	s_cbranch_execnz .LBB137_59
	s_branch .LBB137_60
.LBB137_83:
	v_add_u32_e32 v6, v5, v0
	v_mov_b32_e32 v7, 0
	v_lshlrev_b64 v[6:7], 1, v[6:7]
	s_waitcnt lgkmcnt(0)
	v_mov_b32_e32 v0, s13
	v_add_co_u32_e32 v6, vcc, s12, v6
	v_addc_co_u32_e32 v7, vcc, v0, v7, vcc
	global_store_short_d16_hi v[6:7], v4, off
	s_or_b64 exec, exec, s[6:7]
	s_and_saveexec_b64 s[6:7], s[0:1]
	s_cbranch_execz .LBB137_63
.LBB137_84:
	v_add_u32_e32 v6, v5, v9
	v_mov_b32_e32 v7, 0
	v_lshlrev_b64 v[6:7], 1, v[6:7]
	s_waitcnt lgkmcnt(0)
	v_mov_b32_e32 v0, s13
	v_add_co_u32_e32 v6, vcc, s12, v6
	v_addc_co_u32_e32 v7, vcc, v0, v7, vcc
	global_store_short v[6:7], v3, off
	s_or_b64 exec, exec, s[6:7]
	s_and_saveexec_b64 s[0:1], s[2:3]
	s_cbranch_execz .LBB137_64
.LBB137_85:
	v_add_u32_e32 v3, v5, v10
	v_mov_b32_e32 v4, 0
	v_lshlrev_b64 v[3:4], 1, v[3:4]
	s_waitcnt lgkmcnt(0)
	v_mov_b32_e32 v0, s13
	v_add_co_u32_e32 v3, vcc, s12, v3
	v_addc_co_u32_e32 v4, vcc, v0, v4, vcc
	global_store_short v[3:4], v2, off
	s_or_b64 exec, exec, s[0:1]
	s_and_b64 exec, exec, s[4:5]
	s_cbranch_execz .LBB137_14
.LBB137_86:
	v_add_u32_e32 v2, v5, v11
	v_mov_b32_e32 v3, 0
	v_lshlrev_b64 v[2:3], 1, v[2:3]
	s_waitcnt lgkmcnt(0)
	v_mov_b32_e32 v0, s13
	v_add_co_u32_e32 v2, vcc, s12, v2
	v_addc_co_u32_e32 v3, vcc, v0, v3, vcc
	global_store_short v[2:3], v34, off
	s_endpgm
	.section	.rodata,"a",@progbits
	.p2align	6, 0x0
	.amdhsa_kernel _ZL12mul_mat_q4_0IN3c104HalfELb0EEvPKvS3_PT_iiiii
		.amdhsa_group_segment_fixed_size 30336
		.amdhsa_private_segment_fixed_size 128
		.amdhsa_kernarg_size 44
		.amdhsa_user_sgpr_count 6
		.amdhsa_user_sgpr_private_segment_buffer 1
		.amdhsa_user_sgpr_dispatch_ptr 0
		.amdhsa_user_sgpr_queue_ptr 0
		.amdhsa_user_sgpr_kernarg_segment_ptr 1
		.amdhsa_user_sgpr_dispatch_id 0
		.amdhsa_user_sgpr_flat_scratch_init 0
		.amdhsa_user_sgpr_private_segment_size 0
		.amdhsa_uses_dynamic_stack 0
		.amdhsa_system_sgpr_private_segment_wavefront_offset 1
		.amdhsa_system_sgpr_workgroup_id_x 1
		.amdhsa_system_sgpr_workgroup_id_y 1
		.amdhsa_system_sgpr_workgroup_id_z 0
		.amdhsa_system_sgpr_workgroup_info 0
		.amdhsa_system_vgpr_workitem_id 1
		.amdhsa_next_free_vgpr 128
		.amdhsa_next_free_sgpr 98
		.amdhsa_reserve_vcc 1
		.amdhsa_reserve_flat_scratch 0
		.amdhsa_float_round_mode_32 0
		.amdhsa_float_round_mode_16_64 0
		.amdhsa_float_denorm_mode_32 3
		.amdhsa_float_denorm_mode_16_64 3
		.amdhsa_dx10_clamp 1
		.amdhsa_ieee_mode 1
		.amdhsa_fp16_overflow 0
		.amdhsa_exception_fp_ieee_invalid_op 0
		.amdhsa_exception_fp_denorm_src 0
		.amdhsa_exception_fp_ieee_div_zero 0
		.amdhsa_exception_fp_ieee_overflow 0
		.amdhsa_exception_fp_ieee_underflow 0
		.amdhsa_exception_fp_ieee_inexact 0
		.amdhsa_exception_int_div_zero 0
	.end_amdhsa_kernel
	.section	.text._ZL12mul_mat_q4_0IN3c104HalfELb0EEvPKvS3_PT_iiiii,"axG",@progbits,_ZL12mul_mat_q4_0IN3c104HalfELb0EEvPKvS3_PT_iiiii,comdat
.Lfunc_end137:
	.size	_ZL12mul_mat_q4_0IN3c104HalfELb0EEvPKvS3_PT_iiiii, .Lfunc_end137-_ZL12mul_mat_q4_0IN3c104HalfELb0EEvPKvS3_PT_iiiii
                                        ; -- End function
	.set _ZL12mul_mat_q4_0IN3c104HalfELb0EEvPKvS3_PT_iiiii.num_vgpr, 128
	.set _ZL12mul_mat_q4_0IN3c104HalfELb0EEvPKvS3_PT_iiiii.num_agpr, 0
	.set _ZL12mul_mat_q4_0IN3c104HalfELb0EEvPKvS3_PT_iiiii.numbered_sgpr, 24
	.set _ZL12mul_mat_q4_0IN3c104HalfELb0EEvPKvS3_PT_iiiii.num_named_barrier, 0
	.set _ZL12mul_mat_q4_0IN3c104HalfELb0EEvPKvS3_PT_iiiii.private_seg_size, 128
	.set _ZL12mul_mat_q4_0IN3c104HalfELb0EEvPKvS3_PT_iiiii.uses_vcc, 1
	.set _ZL12mul_mat_q4_0IN3c104HalfELb0EEvPKvS3_PT_iiiii.uses_flat_scratch, 0
	.set _ZL12mul_mat_q4_0IN3c104HalfELb0EEvPKvS3_PT_iiiii.has_dyn_sized_stack, 0
	.set _ZL12mul_mat_q4_0IN3c104HalfELb0EEvPKvS3_PT_iiiii.has_recursion, 0
	.set _ZL12mul_mat_q4_0IN3c104HalfELb0EEvPKvS3_PT_iiiii.has_indirect_call, 0
	.section	.AMDGPU.csdata,"",@progbits
; Kernel info:
; codeLenInByte = 13076
; TotalNumSgprs: 28
; NumVgprs: 128
; ScratchSize: 128
; MemoryBound: 0
; FloatMode: 240
; IeeeMode: 1
; LDSByteSize: 30336 bytes/workgroup (compile time only)
; SGPRBlocks: 12
; VGPRBlocks: 31
; NumSGPRsForWavesPerEU: 102
; NumVGPRsForWavesPerEU: 128
; Occupancy: 2
; WaveLimiterHint : 0
; COMPUTE_PGM_RSRC2:SCRATCH_EN: 1
; COMPUTE_PGM_RSRC2:USER_SGPR: 6
; COMPUTE_PGM_RSRC2:TRAP_HANDLER: 0
; COMPUTE_PGM_RSRC2:TGID_X_EN: 1
; COMPUTE_PGM_RSRC2:TGID_Y_EN: 1
; COMPUTE_PGM_RSRC2:TGID_Z_EN: 0
; COMPUTE_PGM_RSRC2:TIDIG_COMP_CNT: 1
	.section	.text._ZL12mul_mat_q4_0IN3c104HalfELb1EEvPKvS3_PT_iiiii,"axG",@progbits,_ZL12mul_mat_q4_0IN3c104HalfELb1EEvPKvS3_PT_iiiii,comdat
	.globl	_ZL12mul_mat_q4_0IN3c104HalfELb1EEvPKvS3_PT_iiiii ; -- Begin function _ZL12mul_mat_q4_0IN3c104HalfELb1EEvPKvS3_PT_iiiii
	.p2align	8
	.type	_ZL12mul_mat_q4_0IN3c104HalfELb1EEvPKvS3_PT_iiiii,@function
_ZL12mul_mat_q4_0IN3c104HalfELb1EEvPKvS3_PT_iiiii: ; @_ZL12mul_mat_q4_0IN3c104HalfELb1EEvPKvS3_PT_iiiii
; %bb.0:
	s_mov_b64 s[22:23], s[2:3]
	s_mov_b64 s[20:21], s[0:1]
	s_add_u32 s20, s20, s8
	s_addc_u32 s21, s21, 0
	buffer_store_dword v0, off, s[20:23], 0 offset:72 ; 4-byte Folded Spill
	s_load_dwordx4 s[8:11], s[4:5], 0x18
	s_load_dword s14, s[4:5], 0x28
	v_mov_b32_e32 v46, v1
	s_lshl_b32 s15, s7, 6
	v_add_u32_e32 v15, s15, v46
	s_waitcnt lgkmcnt(0)
	s_cmp_gt_i32 s8, 31
	s_cbranch_scc1 .LBB138_2
; %bb.1:
	v_add_u32_e32 v8, s15, v46
	s_mov_b64 s[0:1], 0
	s_branch .LBB138_3
.LBB138_2:
	s_mov_b64 s[0:1], -1
                                        ; implicit-def: $vgpr8
.LBB138_3:
	s_load_dwordx2 s[12:13], s[4:5], 0x10
	s_lshl_b32 s6, s6, 7
	s_andn2_b64 vcc, exec, s[0:1]
	s_mov_b32 s7, 0
	s_cbranch_vccnz .LBB138_14
; %bb.4:
	buffer_load_dword v14, off, s[20:23], 0 offset:72 ; 4-byte Folded Reload
	s_load_dwordx4 s[0:3], s[4:5], 0x0
	s_ashr_i32 s4, s8, 31
	s_lshr_b32 s4, s4, 27
	s_ashr_i32 s5, s11, 31
	s_add_i32 s4, s8, s4
	s_lshr_b32 s5, s5, 27
	s_ashr_i32 s4, s4, 5
	s_add_i32 s5, s11, s5
	s_ashr_i32 s11, s5, 5
	s_mul_i32 s5, s4, s6
	s_mul_hi_i32 s8, s5, 18
	s_mul_i32 s5, s5, 18
	s_waitcnt lgkmcnt(0)
	s_add_u32 s5, s0, s5
	s_addc_u32 s8, s1, s8
	s_not_b32 s0, s6
	s_add_i32 s1, s9, s0
	v_min_i32_e32 v1, s1, v46
	s_movk_i32 s0, 0x84
	v_add_u32_e32 v9, 8, v46
	v_mul_lo_u32 v49, v1, s4
	v_add_u32_e32 v11, 16, v46
	v_add_u32_e32 v13, 24, v46
	;; [unrolled: 1-line block ×6, first 2 shown]
	s_movk_i32 s9, 0x6200
	v_add_u32_e32 v7, 16, v15
	v_cvt_f64_u32_e32 v[7:8], v7
	v_lshlrev_b32_e32 v44, 7, v11
	v_lshlrev_b32_e32 v70, 7, v46
	v_mov_b32_e32 v10, 0
	v_mov_b32_e32 v105, v10
	;; [unrolled: 1-line block ×24, first 2 shown]
	s_waitcnt vmcnt(0)
	v_lshlrev_b32_e32 v0, 2, v14
	v_mad_u64_u32 v[17:18], s[16:17], v1, s0, v[0:1]
	v_min_i32_e32 v1, s1, v9
	v_mul_lo_u32 v18, v1, s4
	v_mad_u64_u32 v[50:51], s[16:17], v1, s0, v[0:1]
	v_min_i32_e32 v1, s1, v11
	v_mul_lo_u32 v51, v1, s4
	;; [unrolled: 3-line block ×7, first 2 shown]
	v_mad_u64_u32 v[56:57], s[16:17], v1, s0, v[0:1]
	v_add_u32_e32 v1, 64, v46
	v_min_i32_e32 v1, s1, v1
	v_mul_lo_u32 v57, v1, s4
	v_mad_u64_u32 v[25:26], s[16:17], v1, s0, v[0:1]
	v_add_u32_e32 v1, 0x48, v46
	v_min_i32_e32 v1, s1, v1
	v_mul_lo_u32 v26, v1, s4
	;; [unrolled: 4-line block ×8, first 2 shown]
	v_mad_u64_u32 v[60:61], s[16:17], v1, s0, v[0:1]
	v_lshrrev_b32_e32 v1, 3, v14
	buffer_store_dword v1, off, s[20:23], 0 offset:100 ; 4-byte Folded Spill
	v_lshl_add_u32 v1, v46, 2, v1
	v_min_i32_e32 v2, s1, v1
	v_ashrrev_i32_e32 v3, 31, v2
	v_lshrrev_b32_e32 v3, 30, v3
	v_and_b32_e32 v61, 7, v14
	v_mul_lo_u32 v48, v2, s4
	v_add_u32_e32 v3, v2, v3
	v_lshlrev_b32_e32 v35, 5, v2
	v_add_u32_e32 v2, 32, v1
	v_and_b32_e32 v3, -4, v3
	v_lshlrev_b32_e32 v4, 2, v61
	v_min_i32_e32 v2, s1, v2
	v_add3_u32 v34, v3, v4, s9
	v_ashrrev_i32_e32 v3, 31, v2
	v_lshrrev_b32_e32 v3, 30, v3
	v_mul_lo_u32 v66, v2, s4
	v_add_u32_e32 v3, v2, v3
	v_lshlrev_b32_e32 v37, 5, v2
	v_add_u32_e32 v2, 64, v1
	v_and_b32_e32 v3, -4, v3
	v_min_i32_e32 v2, s1, v2
	v_add3_u32 v36, v3, v4, s9
	v_ashrrev_i32_e32 v3, 31, v2
	v_add_u32_e32 v1, 0x60, v1
	v_lshrrev_b32_e32 v3, 30, v3
	v_min_i32_e32 v1, s1, v1
	v_mul_lo_u32 v67, v2, s4
	v_add_u32_e32 v3, v2, v3
	v_lshlrev_b32_e32 v39, 5, v2
	v_ashrrev_i32_e32 v2, 31, v1
	v_lshrrev_b32_e32 v2, 30, v2
	v_and_b32_e32 v3, -4, v3
	v_add_u32_e32 v2, v1, v2
	v_lshrrev_b32_e32 v16, 2, v14
	v_and_b32_e32 v43, 12, v0
	v_add3_u32 v38, v3, v4, s9
	v_and_b32_e32 v2, -4, v2
	s_add_i32 s1, s10, -1
	v_and_b32_e32 v3, 31, v14
	v_and_b32_e32 v42, 28, v0
	v_mov_b32_e32 v0, 0x4200
	v_mul_lo_u32 v68, v1, s4
	v_add3_u32 v40, v2, v4, s9
	v_lshlrev_b32_e32 v41, 5, v1
	v_cvt_f64_i32_e32 v[1:2], s1
	v_lshl_or_b32 v69, v3, 2, v0
	v_lshl_add_u32 v0, v46, 3, v16
	v_cvt_f64_u32_e32 v[3:4], v15
	v_and_b32_e32 v12, 63, v0
	v_or_b32_e32 v5, s15, v12
	v_min_i32_e32 v28, s1, v5
	v_add_u32_e32 v5, 8, v15
	v_cvt_f64_u32_e32 v[5:6], v5
	v_min_f64 v[3:4], v[3:4], v[1:2]
	v_and_b32_e32 v0, 3, v14
	v_mad_u64_u32 v[28:29], s[16:17], v28, s11, v[0:1]
	v_min_f64 v[5:6], v[5:6], v[1:2]
	v_min_f64 v[7:8], v[7:8], v[1:2]
	v_lshlrev_b32_e32 v0, 2, v0
	v_lshl_or_b32 v0, v12, 4, v0
	v_cvt_i32_f64_e32 v3, v[3:4]
	v_add_u32_e32 v0, 0x7280, v0
	buffer_store_dword v28, off, s[20:23], 0 offset:120 ; 4-byte Folded Spill
	s_nop 0
	buffer_store_dword v29, off, s[20:23], 0 offset:124 ; 4-byte Folded Spill
	buffer_store_dword v0, off, s[20:23], 0 ; 4-byte Folded Spill
	v_cvt_i32_f64_e32 v0, v[5:6]
	v_mul_lo_u32 v3, s11, v3
	buffer_store_dword v15, off, s[20:23], 0 offset:192 ; 4-byte Folded Spill
	buffer_store_dword v46, off, s[20:23], 0 offset:188 ; 4-byte Folded Spill
	v_mul_lo_u32 v0, s11, v0
	buffer_store_dword v3, off, s[20:23], 0 offset:4 ; 4-byte Folded Spill
	v_cvt_i32_f64_e32 v3, v[7:8]
	v_lshlrev_b32_e32 v9, 7, v9
	buffer_store_dword v0, off, s[20:23], 0 offset:8 ; 4-byte Folded Spill
	v_add_u32_e32 v9, v69, v9
	v_mul_lo_u32 v0, s11, v3
	s_add_i32 s9, s4, 3
	buffer_store_dword v0, off, s[20:23], 0 offset:12 ; 4-byte Folded Spill
	v_add_u32_e32 v0, 24, v15
	v_cvt_f64_u32_e32 v[3:4], v0
	v_add_u32_e32 v0, 32, v15
	v_cvt_f64_u32_e32 v[5:6], v0
	;; [unrolled: 2-line block ×3, first 2 shown]
	v_min_f64 v[3:4], v[3:4], v[1:2]
	v_add_u32_e32 v0, 48, v15
	v_min_f64 v[5:6], v[5:6], v[1:2]
	v_min_f64 v[7:8], v[7:8], v[1:2]
	v_cvt_f64_u32_e32 v[11:12], v0
	v_add_u32_e32 v0, 56, v15
	v_cvt_f64_u32_e32 v[28:29], v0
	v_cvt_i32_f64_e32 v45, v[3:4]
	v_min_f64 v[3:4], v[11:12], v[1:2]
	v_cvt_i32_f64_e32 v5, v[5:6]
	v_cvt_i32_f64_e32 v6, v[7:8]
	v_min_f64 v[0:1], v[28:29], v[1:2]
	v_add_u32_e32 v7, 0x60, v14
	v_mul_lo_u32 v5, s11, v5
	v_add_co_u32_e32 v29, vcc, s2, v42
	v_cvt_i32_f64_e32 v3, v[3:4]
	v_mul_lo_u32 v4, s11, v6
	buffer_store_dword v5, off, s[20:23], 0 offset:20 ; 4-byte Folded Spill
	v_lshlrev_b32_e32 v5, 7, v30
	v_add_u32_e32 v6, 64, v14
	buffer_store_dword v4, off, s[20:23], 0 offset:24 ; 4-byte Folded Spill
	v_add_u32_e32 v4, 32, v14
	v_lshrrev_b32_e32 v8, 3, v4
	buffer_store_dword v8, off, s[20:23], 0 offset:164 ; 4-byte Folded Spill
	v_mov_b32_e32 v8, s3
	v_addc_co_u32_e32 v30, vcc, 0, v8, vcc
	v_lshlrev_b32_e32 v8, 5, v14
	v_and_b32_e32 v7, 0x1fc, v7
	v_add_u32_e32 v7, v8, v7
	v_and_b32_e32 v6, 0x1fc, v6
	v_cvt_i32_f64_e32 v0, v[0:1]
	v_add_u32_e32 v11, 0x6e00, v7
	v_add_u32_e32 v6, v8, v6
	v_and_b32_e32 v4, 0x1fc, v4
	buffer_store_dword v11, off, s[20:23], 0 offset:132 ; 4-byte Folded Spill
	v_add_u32_e32 v11, 0x6a00, v6
	v_add_u32_e32 v4, v8, v4
	buffer_store_dword v11, off, s[20:23], 0 offset:136 ; 4-byte Folded Spill
	v_add_u32_e32 v11, 0x6600, v4
	buffer_store_dword v11, off, s[20:23], 0 offset:140 ; 4-byte Folded Spill
	v_and_b32_e32 v11, 0xfc, v14
	v_mul_lo_u32 v2, s11, v45
	v_mul_lo_u32 v3, s11, v3
	;; [unrolled: 1-line block ×3, first 2 shown]
	v_add_u32_e32 v8, v8, v11
	v_add_u32_e32 v11, 0x6200, v8
	buffer_store_dword v11, off, s[20:23], 0 offset:144 ; 4-byte Folded Spill
	v_mov_b32_e32 v11, 0x7280
	v_lshl_add_u32 v11, v46, 4, v11
	buffer_store_dword v2, off, s[20:23], 0 offset:16 ; 4-byte Folded Spill
	buffer_store_dword v3, off, s[20:23], 0 offset:28 ; 4-byte Folded Spill
	buffer_store_dword v0, off, s[20:23], 0 offset:32 ; 4-byte Folded Spill
	buffer_store_dword v11, off, s[20:23], 0 offset:36 ; 4-byte Folded Spill
	buffer_store_dword v70, off, s[20:23], 0 offset:128 ; 4-byte Folded Spill
	v_add_u32_e32 v11, 0x4200, v70
	buffer_store_dword v11, off, s[20:23], 0 offset:40 ; 4-byte Folded Spill
	v_mad_u32_u24 v11, v14, s0, 64
	v_add_u32_e32 v4, 0x6610, v4
	v_lshlrev_b32_e32 v2, 7, v13
	v_lshlrev_b32_e32 v1, 7, v31
	buffer_store_dword v11, off, s[20:23], 0 offset:168 ; 4-byte Folded Spill
	v_add_u32_e32 v7, 0x6e10, v7
	v_add_u32_e32 v6, 0x6a10, v6
	buffer_store_dword v4, off, s[20:23], 0 offset:180 ; 4-byte Folded Spill
	v_add_u32_e32 v4, 0x6210, v8
	v_mov_b32_e32 v11, v10
	v_lshlrev_b32_e32 v3, 7, v32
	v_lshlrev_b32_e32 v0, 7, v33
	buffer_store_dword v7, off, s[20:23], 0 offset:172 ; 4-byte Folded Spill
	buffer_store_dword v6, off, s[20:23], 0 offset:176 ; 4-byte Folded Spill
	;; [unrolled: 1-line block ×3, first 2 shown]
	v_add_u32_e32 v4, v34, v35
	v_add_u32_e32 v6, v36, v37
	;; [unrolled: 1-line block ×5, first 2 shown]
	v_mov_b32_e32 v38, v11
	v_mov_b32_e32 v36, v11
	;; [unrolled: 1-line block ×4, first 2 shown]
	v_add_u32_e32 v8, v40, v41
	buffer_store_dword v9, off, s[20:23], 0 offset:44 ; 4-byte Folded Spill
	v_add_u32_e32 v9, v69, v44
	buffer_store_dword v2, off, s[20:23], 0 offset:52 ; 4-byte Folded Spill
	v_add_u32_e32 v2, v69, v5
	buffer_store_dword v1, off, s[20:23], 0 offset:60 ; 4-byte Folded Spill
	v_add_u32_e32 v1, v69, v3
	v_add_u32_e32 v0, v69, v0
	v_mov_b32_e32 v37, v10
	v_mov_b32_e32 v35, v10
	;; [unrolled: 1-line block ×4, first 2 shown]
	buffer_store_dword v9, off, s[20:23], 0 offset:48 ; 4-byte Folded Spill
	buffer_store_dword v2, off, s[20:23], 0 offset:56 ; 4-byte Folded Spill
	;; [unrolled: 1-line block ×6, first 2 shown]
	s_nop 0
	buffer_store_dword v48, off, s[20:23], 0 offset:80 ; 4-byte Folded Spill
	buffer_store_dword v60, off, s[20:23], 0 offset:84 ; 4-byte Folded Spill
	s_nop 0
	buffer_store_dword v61, off, s[20:23], 0 offset:88 ; 4-byte Folded Spill
	buffer_store_dword v48, off, s[20:23], 0 offset:92 ; 4-byte Folded Spill
	;; [unrolled: 1-line block ×10, first 2 shown]
	s_branch .LBB138_7
.LBB138_5:                              ;   in Loop: Header=BB138_7 Depth=1
	buffer_load_dword v47, off, s[20:23], 0 offset:76 ; 4-byte Folded Reload
	buffer_load_dword v48, off, s[20:23], 0 offset:80 ; 4-byte Folded Reload
	;; [unrolled: 1-line block ×13, first 2 shown]
.LBB138_6:                              ;   in Loop: Header=BB138_7 Depth=1
	s_add_i32 s7, s7, 8
	s_add_i32 s9, s9, -8
	s_cmp_ge_i32 s7, s4
	s_cbranch_scc1 .LBB138_16
.LBB138_7:                              ; =>This Loop Header: Depth=1
                                        ;     Child Loop BB138_9 Depth 2
                                        ;     Child Loop BB138_12 Depth 2
	s_mul_i32 s0, s7, 18
	s_mul_hi_u32 s1, s7, 18
	s_add_u32 s0, s5, s0
	s_addc_u32 s1, s8, s1
	v_mad_u64_u32 v[2:3], s[16:17], v16, 18, s[0:1]
	s_cmp_gt_u32 s9, 3
	v_mad_i64_i32 v[0:1], s[16:17], v49, 18, v[2:3]
	v_add_co_u32_e32 v0, vcc, v0, v43
	v_addc_co_u32_e32 v1, vcc, 0, v1, vcc
	global_load_dword v0, v[0:1], off offset:2
	s_waitcnt vmcnt(0)
	ds_write_b32 v17, v0
	v_mad_i64_i32 v[0:1], s[16:17], v18, 18, v[2:3]
	v_add_co_u32_e32 v0, vcc, v0, v43
	v_addc_co_u32_e32 v1, vcc, 0, v1, vcc
	global_load_dword v0, v[0:1], off offset:2
	s_waitcnt vmcnt(0)
	ds_write_b32 v50, v0
	;; [unrolled: 6-line block ×16, first 2 shown]
	v_mad_u64_u32 v[0:1], s[0:1], v61, 18, s[0:1]
	v_mad_i64_i32 v[2:3], s[0:1], v48, 18, v[0:1]
	global_load_ushort v2, v[2:3], off
	s_waitcnt vmcnt(0)
	v_cvt_f32_f16_e32 v2, v2
	ds_write_b32 v4, v2
	v_mad_i64_i32 v[2:3], s[0:1], v66, 18, v[0:1]
	global_load_ushort v2, v[2:3], off
	s_waitcnt vmcnt(0)
	v_cvt_f32_f16_e32 v2, v2
	ds_write_b32 v6, v2
	v_mad_i64_i32 v[2:3], s[0:1], v67, 18, v[0:1]
	v_mad_i64_i32 v[0:1], s[0:1], v68, 18, v[0:1]
	global_load_ushort v2, v[2:3], off
	s_nop 0
	global_load_ushort v0, v[0:1], off
	s_waitcnt vmcnt(1)
	v_cvt_f32_f16_e32 v2, v2
	s_waitcnt vmcnt(0)
	v_cvt_f32_f16_e32 v0, v0
	ds_write_b32 v7, v2
	ds_write_b32 v8, v0
	s_cbranch_scc0 .LBB138_6
; %bb.8:                                ;   in Loop: Header=BB138_7 Depth=1
	buffer_load_dword v0, off, s[20:23], 0 offset:120 ; 4-byte Folded Reload
	buffer_load_dword v1, off, s[20:23], 0 offset:124 ; 4-byte Folded Reload
	s_waitcnt vmcnt(1)
	v_add_u32_e32 v11, s7, v0
	buffer_load_dword v0, off, s[20:23], 0 offset:100 ; 4-byte Folded Reload
	s_waitcnt vmcnt(0)
	v_add_u32_e32 v2, s7, v0
	;; [unrolled: 3-line block ×3, first 2 shown]
	v_mad_i64_i32 v[0:1], s[0:1], v0, 36, v[29:30]
	global_load_dword v0, v[0:1], off offset:4
	s_nop 0
	buffer_load_dword v1, off, s[20:23], 0 offset:116 ; 4-byte Folded Reload
	buffer_load_dword v3, off, s[20:23], 0 offset:128 ; 4-byte Folded Reload
	s_waitcnt vmcnt(0)
	v_add_u32_e32 v123, v1, v3
	ds_write_b32 v123, v0
	buffer_load_dword v0, off, s[20:23], 0 offset:8 ; 4-byte Folded Reload
	s_waitcnt vmcnt(0)
	v_add_u32_e32 v0, v2, v0
	v_mad_i64_i32 v[0:1], s[0:1], v0, 36, v[29:30]
	global_load_dword v0, v[0:1], off offset:4
	s_nop 0
	buffer_load_dword v1, off, s[20:23], 0 offset:44 ; 4-byte Folded Reload
	s_waitcnt vmcnt(0)
	ds_write_b32 v1, v0
	buffer_load_dword v0, off, s[20:23], 0 offset:12 ; 4-byte Folded Reload
	s_waitcnt vmcnt(0)
	v_add_u32_e32 v0, v2, v0
	v_mad_i64_i32 v[0:1], s[0:1], v0, 36, v[29:30]
	global_load_dword v0, v[0:1], off offset:4
	s_nop 0
	buffer_load_dword v1, off, s[20:23], 0 offset:48 ; 4-byte Folded Reload
	s_waitcnt vmcnt(0)
	;; [unrolled: 9-line block ×7, first 2 shown]
	ds_write_b32 v1, v0
	v_mad_u64_u32 v[0:1], s[0:1], v11, 36, s[2:3]
	s_mov_b32 s0, -4
	global_load_dword v0, v[0:1], off
	s_nop 0
	buffer_load_dword v1, off, s[20:23], 0  ; 4-byte Folded Reload
	s_waitcnt vmcnt(0)
	ds_write_b32 v1, v0
	s_waitcnt lgkmcnt(0)
	s_barrier
	buffer_load_dword v124, off, s[20:23], 0 offset:40 ; 4-byte Folded Reload
	buffer_load_dword v125, off, s[20:23], 0 offset:36 ; 4-byte Folded Reload
	;; [unrolled: 1-line block ×7, first 2 shown]
	s_waitcnt vmcnt(0)
	v_mul_u32_u24_e32 v77, 0x84, v0
.LBB138_9:                              ;   Parent Loop BB138_7 Depth=1
                                        ; =>  This Inner Loop Header: Depth=2
	ds_read_b128 v[2:5], v124
	ds_read_b128 v[6:9], v124 offset:16
	ds_read2_b32 v[39:40], v125 offset1:32
	ds_read_b32 v93, v126
	ds_read2_b32 v[0:1], v77 offset1:1
	ds_read2_b32 v[12:13], v77 offset0:2 offset1:3
	s_add_i32 s0, s0, 4
	s_waitcnt lgkmcnt(3)
	v_cvt_f32_f16_sdwa v15, v39 dst_sel:DWORD dst_unused:UNUSED_PAD src0_sel:WORD_1
	v_cvt_f32_f16_sdwa v48, v40 dst_sel:DWORD dst_unused:UNUSED_PAD src0_sel:WORD_1
	s_waitcnt lgkmcnt(1)
	v_and_b32_e32 v96, 0xf0f0f0f, v0
	v_lshrrev_b32_e32 v0, 4, v0
	v_and_b32_e32 v97, 0xf0f0f0f, v0
	v_dot4_i32_i8 v0, v96, v2, 0
	v_dot4_i32_i8 v0, v97, v6, v0
	v_and_b32_e32 v92, 0xf0f0f0f, v1
	v_lshrrev_b32_e32 v1, 4, v1
	v_and_b32_e32 v42, 0xf0f0f0f, v1
	v_dot4_i32_i8 v0, v92, v3, v0
	v_dot4_i32_i8 v0, v42, v7, v0
	s_waitcnt lgkmcnt(0)
	v_and_b32_e32 v84, 0xf0f0f0f, v12
	v_lshrrev_b32_e32 v1, 4, v12
	v_and_b32_e32 v66, 0xf0f0f0f, v1
	v_dot4_i32_i8 v0, v84, v4, v0
	v_dot4_i32_i8 v0, v66, v8, v0
	v_and_b32_e32 v1, 0xf0f0f0f, v13
	v_lshrrev_b32_e32 v12, 4, v13
	v_and_b32_e32 v70, 0xf0f0f0f, v12
	v_dot4_i32_i8 v0, v1, v5, v0
	v_dot4_i32_i8 v45, v70, v9, v0
	v_add_u32_e32 v0, 0x1080, v77
	ds_read_b32 v94, v127
	ds_read2_b32 v[12:13], v0 offset1:1
	v_mul_f32_e32 v15, 0x41000000, v15
	v_mul_f32_e32 v48, 0x41000000, v48
	v_cvt_f32_i32_e32 v45, v45
	v_add_u32_e32 v127, 4, v127
	s_waitcnt lgkmcnt(0)
	v_and_b32_e32 v100, 0xf0f0f0f, v12
	v_lshrrev_b32_e32 v0, 4, v12
	v_lshrrev_b32_e32 v12, 4, v13
	v_and_b32_e32 v28, 0xf0f0f0f, v12
	v_add_u32_e32 v12, 0x1088, v77
	v_and_b32_e32 v60, 0xf0f0f0f, v13
	ds_read2_b32 v[12:13], v12 offset1:1
	v_and_b32_e32 v41, 0xf0f0f0f, v0
	v_dot4_i32_i8 v0, v100, v2, 0
	v_dot4_i32_i8 v0, v41, v6, v0
	;; [unrolled: 1-line block ×4, first 2 shown]
	s_waitcnt lgkmcnt(0)
	v_and_b32_e32 v69, 0xf0f0f0f, v12
	v_lshrrev_b32_e32 v12, 4, v12
	v_and_b32_e32 v61, 0xf0f0f0f, v12
	v_dot4_i32_i8 v0, v69, v4, v0
	v_dot4_i32_i8 v0, v61, v8, v0
	v_and_b32_e32 v85, 0xf0f0f0f, v13
	v_lshrrev_b32_e32 v12, 4, v13
	v_and_b32_e32 v67, 0xf0f0f0f, v12
	v_dot4_i32_i8 v0, v85, v5, v0
	v_dot4_i32_i8 v0, v67, v9, v0
	v_cvt_f32_i32_e32 v13, v0
	v_add_u32_e32 v0, 0x2100, v77
	ds_read_b32 v68, v81
	ds_read2_b32 v[74:75], v0 offset1:1
	v_fma_mix_f32 v45, v39, v45, -v15 op_sel_hi:[1,0,0]
	v_fma_mix_f32 v13, v39, v13, -v15 op_sel_hi:[1,0,0]
	v_fmac_f32_e32 v10, v94, v13
	v_fmac_f32_e32 v37, v93, v45
	s_waitcnt lgkmcnt(0)
	v_lshrrev_b32_e32 v12, 4, v75
	v_and_b32_e32 v72, 0xf0f0f0f, v74
	v_lshrrev_b32_e32 v0, 4, v74
	v_and_b32_e32 v74, 0xf0f0f0f, v75
	v_and_b32_e32 v75, 0xf0f0f0f, v12
	v_add_u32_e32 v12, 0x2108, v77
	ds_read2_b32 v[113:114], v12 offset1:1
	v_and_b32_e32 v73, 0xf0f0f0f, v0
	v_dot4_i32_i8 v0, v72, v2, 0
	v_dot4_i32_i8 v0, v73, v6, v0
	;; [unrolled: 1-line block ×4, first 2 shown]
	s_waitcnt lgkmcnt(0)
	v_and_b32_e32 v76, 0xf0f0f0f, v113
	v_lshrrev_b32_e32 v12, 4, v113
	v_and_b32_e32 v111, 0xf0f0f0f, v12
	v_dot4_i32_i8 v0, v76, v4, v0
	v_dot4_i32_i8 v0, v111, v8, v0
	v_and_b32_e32 v113, 0xf0f0f0f, v114
	v_lshrrev_b32_e32 v12, 4, v114
	v_and_b32_e32 v114, 0xf0f0f0f, v12
	v_dot4_i32_i8 v0, v113, v5, v0
	v_dot4_i32_i8 v0, v114, v9, v0
	v_cvt_f32_i32_e32 v14, v0
	v_add_u32_e32 v0, 0x3180, v77
	ds_read_b32 v71, v79
	ds_read2_b32 v[46:47], v0 offset1:1
	v_add_u32_e32 v79, 4, v79
	v_fma_mix_f32 v13, v39, v14, -v15 op_sel_hi:[1,0,0]
	v_fmac_f32_e32 v120, v68, v13
	v_add_u32_e32 v81, 4, v81
	s_waitcnt lgkmcnt(0)
	v_and_b32_e32 v44, 0xf0f0f0f, v46
	v_lshrrev_b32_e32 v0, 4, v46
	v_and_b32_e32 v0, 0xf0f0f0f, v0
	v_dot4_i32_i8 v2, v44, v2, 0
	v_dot4_i32_i8 v2, v0, v6, v2
	v_and_b32_e32 v119, 0xf0f0f0f, v47
	v_lshrrev_b32_e32 v6, 4, v47
	v_and_b32_e32 v110, 0xf0f0f0f, v6
	v_dot4_i32_i8 v2, v119, v3, v2
	v_dot4_i32_i8 v6, v110, v7, v2
	v_add_u32_e32 v2, 0x3188, v77
	ds_read2_b32 v[2:3], v2 offset1:1
	v_add_u32_e32 v77, 16, v77
	v_add_u32_e32 v126, 4, v126
	s_cmp_lt_u32 s0, 12
	s_waitcnt lgkmcnt(0)
	v_and_b32_e32 v12, 0xf0f0f0f, v2
	v_lshrrev_b32_e32 v2, 4, v2
	v_and_b32_e32 v88, 0xf0f0f0f, v2
	v_dot4_i32_i8 v2, v12, v4, v6
	v_dot4_i32_i8 v2, v88, v8, v2
	v_and_b32_e32 v115, 0xf0f0f0f, v3
	v_lshrrev_b32_e32 v3, 4, v3
	v_and_b32_e32 v118, 0xf0f0f0f, v3
	v_dot4_i32_i8 v2, v115, v5, v2
	v_dot4_i32_i8 v2, v118, v9, v2
	v_cvt_f32_i32_e32 v46, v2
	ds_read_b128 v[2:5], v124 offset:1024
	ds_read_b128 v[6:9], v124 offset:1040
	v_fma_mix_f32 v13, v39, v46, -v15 op_sel_hi:[1,0,0]
	v_fmac_f32_e32 v122, v71, v13
	s_waitcnt lgkmcnt(1)
	v_dot4_i32_i8 v13, v100, v2, 0
	s_waitcnt lgkmcnt(0)
	v_dot4_i32_i8 v13, v41, v6, v13
	v_dot4_i32_i8 v13, v60, v3, v13
	;; [unrolled: 1-line block ×7, first 2 shown]
	v_cvt_f32_i32_e32 v13, v13
	v_dot4_i32_i8 v47, v96, v2, 0
	v_dot4_i32_i8 v47, v97, v6, v47
	;; [unrolled: 1-line block ×3, first 2 shown]
	v_fma_mix_f32 v13, v40, v13, -v48 op_sel_hi:[1,0,0]
	v_fmac_f32_e32 v105, v94, v13
	v_dot4_i32_i8 v13, v72, v2, 0
	v_dot4_i32_i8 v2, v44, v2, 0
	;; [unrolled: 1-line block ×21, first 2 shown]
	v_cvt_f32_i32_e32 v2, v2
	v_cvt_f32_i32_e32 v47, v47
	;; [unrolled: 1-line block ×3, first 2 shown]
	v_fma_mix_f32 v2, v40, v2, -v48 op_sel_hi:[1,0,0]
	v_fma_mix_f32 v47, v40, v47, -v48 op_sel_hi:[1,0,0]
	;; [unrolled: 1-line block ×3, first 2 shown]
	v_fmac_f32_e32 v121, v71, v2
	ds_read_b128 v[2:5], v124 offset:2048
	ds_read_b128 v[6:9], v124 offset:2064
	ds_read2_b32 v[39:40], v125 offset0:64 offset1:96
	v_fmac_f32_e32 v116, v68, v13
	v_fma_f32 v38, v93, v47, v38
	s_waitcnt lgkmcnt(2)
	v_dot4_i32_i8 v13, v96, v2, 0
	s_waitcnt lgkmcnt(1)
	v_dot4_i32_i8 v13, v97, v6, v13
	v_dot4_i32_i8 v14, v100, v2, 0
	;; [unrolled: 1-line block ×26, first 2 shown]
	s_waitcnt lgkmcnt(0)
	v_cvt_f32_f16_sdwa v47, v39 dst_sel:DWORD dst_unused:UNUSED_PAD src0_sel:WORD_1
	v_dot4_i32_i8 v14, v85, v5, v14
	v_dot4_i32_i8 v15, v113, v5, v15
	;; [unrolled: 1-line block ×3, first 2 shown]
	v_cvt_f32_i32_e32 v13, v13
	v_dot4_i32_i8 v14, v67, v9, v14
	v_dot4_i32_i8 v15, v114, v9, v15
	v_cvt_f32_i32_e32 v45, v2
	ds_read_b128 v[2:5], v124 offset:3072
	ds_read_b128 v[6:9], v124 offset:3088
	v_mul_f32_e32 v47, 0x41000000, v47
	v_fma_mix_f32 v13, v13, v39, -v47 op_sel_hi:[0,1,0]
	v_fmac_f32_e32 v35, v93, v13
	s_waitcnt lgkmcnt(1)
	v_dot4_i32_i8 v13, v100, v2, 0
	s_waitcnt lgkmcnt(0)
	v_dot4_i32_i8 v13, v41, v6, v13
	v_dot4_i32_i8 v13, v60, v3, v13
	;; [unrolled: 1-line block ×6, first 2 shown]
	v_cvt_f32_f16_sdwa v48, v40 dst_sel:DWORD dst_unused:UNUSED_PAD src0_sel:WORD_1
	v_dot4_i32_i8 v13, v67, v9, v13
	v_cvt_f32_i32_e32 v13, v13
	v_dot4_i32_i8 v46, v96, v2, 0
	v_mul_f32_e32 v48, 0x41000000, v48
	v_dot4_i32_i8 v46, v97, v6, v46
	v_fma_mix_f32 v13, v40, v13, -v48 op_sel_hi:[1,0,0]
	v_fmac_f32_e32 v89, v94, v13
	v_dot4_i32_i8 v13, v72, v2, 0
	v_dot4_i32_i8 v2, v44, v2, 0
	;; [unrolled: 1-line block ×17, first 2 shown]
	v_cvt_f32_i32_e32 v14, v14
	v_dot4_i32_i8 v46, v1, v5, v46
	v_dot4_i32_i8 v13, v113, v5, v13
	;; [unrolled: 1-line block ×3, first 2 shown]
	v_cvt_f32_i32_e32 v15, v15
	v_dot4_i32_i8 v46, v70, v9, v46
	v_dot4_i32_i8 v13, v114, v9, v13
	v_cvt_f32_i32_e32 v2, v2
	v_cvt_f32_i32_e32 v46, v46
	;; [unrolled: 1-line block ×3, first 2 shown]
	v_fma_mix_f32 v14, v39, v14, -v47 op_sel_hi:[1,0,0]
	v_fmac_f32_e32 v95, v94, v14
	v_fma_mix_f32 v14, v39, v15, -v47 op_sel_hi:[1,0,0]
	v_fma_mix_f32 v2, v40, v2, -v48 op_sel_hi:[1,0,0]
	;; [unrolled: 1-line block ×3, first 2 shown]
	v_fmac_f32_e32 v106, v68, v14
	v_fma_mix_f32 v14, v39, v45, -v47 op_sel_hi:[1,0,0]
	v_fma_mix_f32 v13, v40, v13, -v48 op_sel_hi:[1,0,0]
	v_fmac_f32_e32 v112, v71, v2
	ds_read_b128 v[2:5], v124 offset:4096
	ds_read_b128 v[6:9], v124 offset:4112
	ds_read2_b32 v[39:40], v125 offset0:128 offset1:160
	v_fmac_f32_e32 v101, v68, v13
	v_fmac_f32_e32 v117, v71, v14
	s_waitcnt lgkmcnt(2)
	v_dot4_i32_i8 v13, v96, v2, 0
	s_waitcnt lgkmcnt(1)
	v_dot4_i32_i8 v13, v97, v6, v13
	v_dot4_i32_i8 v14, v100, v2, 0
	;; [unrolled: 1-line block ×26, first 2 shown]
	s_waitcnt lgkmcnt(0)
	v_cvt_f32_f16_sdwa v48, v39 dst_sel:DWORD dst_unused:UNUSED_PAD src0_sel:WORD_1
	v_dot4_i32_i8 v14, v85, v5, v14
	v_dot4_i32_i8 v15, v113, v5, v15
	;; [unrolled: 1-line block ×3, first 2 shown]
	v_cvt_f32_i32_e32 v13, v13
	v_fma_f32 v36, v93, v46, v36
	v_dot4_i32_i8 v14, v67, v9, v14
	v_dot4_i32_i8 v15, v114, v9, v15
	v_cvt_f32_i32_e32 v46, v2
	ds_read_b128 v[2:5], v124 offset:5120
	ds_read_b128 v[6:9], v124 offset:5136
	v_mul_f32_e32 v48, 0x41000000, v48
	v_fma_mix_f32 v13, v13, v39, -v48 op_sel_hi:[0,1,0]
	v_fmac_f32_e32 v33, v93, v13
	s_waitcnt lgkmcnt(1)
	v_dot4_i32_i8 v45, v96, v2, 0
	v_dot4_i32_i8 v13, v100, v2, 0
	s_waitcnt lgkmcnt(0)
	v_dot4_i32_i8 v45, v97, v6, v45
	v_dot4_i32_i8 v13, v41, v6, v13
	;; [unrolled: 1-line block ×13, first 2 shown]
	v_cvt_f32_f16_sdwa v45, v40 dst_sel:DWORD dst_unused:UNUSED_PAD src0_sel:WORD_1
	v_dot4_i32_i8 v13, v67, v9, v13
	v_cvt_f32_i32_e32 v13, v13
	v_cvt_f32_i32_e32 v14, v14
	v_mul_f32_e32 v45, 0x41000000, v45
	v_cvt_f32_i32_e32 v15, v15
	v_fma_mix_f32 v13, v40, v13, -v45 op_sel_hi:[1,0,0]
	v_fmac_f32_e32 v82, v94, v13
	v_dot4_i32_i8 v13, v72, v2, 0
	v_dot4_i32_i8 v2, v44, v2, 0
	v_dot4_i32_i8 v2, v0, v6, v2
	v_dot4_i32_i8 v13, v73, v6, v13
	v_dot4_i32_i8 v2, v119, v3, v2
	v_dot4_i32_i8 v13, v74, v3, v13
	v_dot4_i32_i8 v2, v110, v7, v2
	v_dot4_i32_i8 v13, v75, v7, v13
	v_dot4_i32_i8 v2, v12, v4, v2
	v_dot4_i32_i8 v13, v76, v4, v13
	v_dot4_i32_i8 v2, v88, v8, v2
	v_dot4_i32_i8 v13, v111, v8, v13
	v_dot4_i32_i8 v2, v115, v5, v2
	v_dot4_i32_i8 v13, v113, v5, v13
	v_dot4_i32_i8 v2, v118, v9, v2
	v_dot4_i32_i8 v13, v114, v9, v13
	v_cvt_f32_i32_e32 v2, v2
	v_cvt_f32_i32_e32 v47, v47
	;; [unrolled: 1-line block ×3, first 2 shown]
	v_fma_mix_f32 v14, v39, v14, -v48 op_sel_hi:[1,0,0]
	v_fmac_f32_e32 v86, v94, v14
	v_fma_mix_f32 v14, v39, v15, -v48 op_sel_hi:[1,0,0]
	v_fma_mix_f32 v2, v40, v2, -v45 op_sel_hi:[1,0,0]
	;; [unrolled: 1-line block ×3, first 2 shown]
	v_fmac_f32_e32 v98, v68, v14
	v_fma_mix_f32 v14, v39, v46, -v48 op_sel_hi:[1,0,0]
	v_fma_mix_f32 v13, v40, v13, -v45 op_sel_hi:[1,0,0]
	v_fmac_f32_e32 v102, v71, v2
	ds_read_b128 v[2:5], v124 offset:6144
	ds_read_b128 v[6:9], v124 offset:6160
	ds_read2_b32 v[39:40], v125 offset0:192 offset1:224
	v_fmac_f32_e32 v109, v71, v14
	v_fmac_f32_e32 v90, v68, v13
	s_waitcnt lgkmcnt(2)
	v_dot4_i32_i8 v13, v96, v2, 0
	v_dot4_i32_i8 v14, v100, v2, 0
	;; [unrolled: 1-line block ×4, first 2 shown]
	s_waitcnt lgkmcnt(1)
	v_dot4_i32_i8 v2, v0, v6, v2
	v_dot4_i32_i8 v13, v97, v6, v13
	;; [unrolled: 1-line block ×28, first 2 shown]
	v_cvt_f32_i32_e32 v45, v2
	ds_read_b128 v[2:5], v124 offset:7168
	ds_read_b128 v[6:9], v124 offset:7184
	v_cvt_f32_i32_e32 v13, v13
	v_cvt_f32_i32_e32 v14, v14
	;; [unrolled: 1-line block ×3, first 2 shown]
	s_waitcnt lgkmcnt(1)
	v_dot4_i32_i8 v46, v96, v2, 0
	s_waitcnt lgkmcnt(0)
	v_dot4_i32_i8 v46, v97, v6, v46
	v_dot4_i32_i8 v46, v92, v3, v46
	;; [unrolled: 1-line block ×3, first 2 shown]
	v_cvt_f32_f16_sdwa v46, v39 dst_sel:DWORD dst_unused:UNUSED_PAD src0_sel:WORD_1
	v_dot4_i32_i8 v42, v84, v4, v42
	v_dot4_i32_i8 v42, v66, v8, v42
	;; [unrolled: 1-line block ×3, first 2 shown]
	v_mul_f32_e32 v46, 0x41000000, v46
	v_fma_mix_f32 v13, v13, v39, -v46 op_sel_hi:[0,1,0]
	v_fmac_f32_e32 v31, v93, v13
	v_dot4_i32_i8 v13, v100, v2, 0
	v_dot4_i32_i8 v13, v41, v6, v13
	;; [unrolled: 1-line block ×8, first 2 shown]
	v_cvt_f32_f16_sdwa v1, v40 dst_sel:DWORD dst_unused:UNUSED_PAD src0_sel:WORD_1
	v_dot4_i32_i8 v13, v67, v9, v13
	v_cvt_f32_i32_e32 v13, v13
	v_cvt_f32_i32_e32 v42, v42
	v_mul_f32_e32 v1, 0x41000000, v1
	v_fma_mix_f32 v14, v39, v14, -v46 op_sel_hi:[1,0,0]
	v_fma_mix_f32 v13, v40, v13, -v1 op_sel_hi:[1,0,0]
	v_fmac_f32_e32 v78, v94, v13
	v_dot4_i32_i8 v13, v72, v2, 0
	v_dot4_i32_i8 v2, v44, v2, 0
	;; [unrolled: 1-line block ×16, first 2 shown]
	v_cvt_f32_i32_e32 v13, v13
	v_cvt_f32_i32_e32 v0, v0
	v_fmac_f32_e32 v80, v94, v14
	v_fma_mix_f32 v14, v39, v15, -v46 op_sel_hi:[1,0,0]
	v_fma_mix_f32 v42, v42, v40, -v1 op_sel_hi:[0,1,0]
	v_fmac_f32_e32 v87, v68, v14
	v_fma_mix_f32 v14, v39, v45, -v46 op_sel_hi:[1,0,0]
	v_fma_mix_f32 v13, v40, v13, -v1 op_sel_hi:[1,0,0]
	;; [unrolled: 1-line block ×3, first 2 shown]
	v_fma_f32 v34, v93, v47, v34
	v_fmac_f32_e32 v99, v71, v14
	v_fma_f32 v32, v93, v42, v32
	v_fmac_f32_e32 v83, v68, v13
	v_fmac_f32_e32 v91, v71, v0
	v_add_u32_e32 v125, 4, v125
	v_add_u32_e32 v124, 32, v124
	s_cbranch_scc1 .LBB138_9
; %bb.10:                               ;   in Loop: Header=BB138_7 Depth=1
	s_and_b32 s0, s9, -4
	s_cmp_eq_u32 s0, 4
	s_barrier
	s_cbranch_scc1 .LBB138_5
; %bb.11:                               ;   in Loop: Header=BB138_7 Depth=1
	buffer_load_dword v0, off, s[20:23], 0 offset:164 ; 4-byte Folded Reload
	s_waitcnt vmcnt(0)
	v_add_u32_e32 v2, s7, v0
	buffer_load_dword v0, off, s[20:23], 0 offset:4 ; 4-byte Folded Reload
	s_waitcnt vmcnt(0)
	v_add_u32_e32 v0, v2, v0
	v_mad_i64_i32 v[0:1], s[0:1], v0, 36, v[29:30]
	global_load_dword v0, v[0:1], off offset:4
	s_waitcnt vmcnt(0)
	ds_write_b32 v123, v0
	buffer_load_dword v0, off, s[20:23], 0 offset:8 ; 4-byte Folded Reload
	s_waitcnt vmcnt(0)
	v_add_u32_e32 v0, v2, v0
	v_mad_i64_i32 v[0:1], s[0:1], v0, 36, v[29:30]
	global_load_dword v0, v[0:1], off offset:4
	s_nop 0
	buffer_load_dword v1, off, s[20:23], 0 offset:44 ; 4-byte Folded Reload
	s_waitcnt vmcnt(0)
	ds_write_b32 v1, v0
	buffer_load_dword v0, off, s[20:23], 0 offset:12 ; 4-byte Folded Reload
	s_waitcnt vmcnt(0)
	v_add_u32_e32 v0, v2, v0
	v_mad_i64_i32 v[0:1], s[0:1], v0, 36, v[29:30]
	global_load_dword v0, v[0:1], off offset:4
	s_nop 0
	buffer_load_dword v1, off, s[20:23], 0 offset:48 ; 4-byte Folded Reload
	;; [unrolled: 9-line block ×7, first 2 shown]
	s_waitcnt vmcnt(0)
	ds_write_b32 v1, v0
	v_add_u32_e32 v0, 4, v11
	v_mad_u64_u32 v[0:1], s[0:1], v0, 36, s[2:3]
	s_mov_b32 s0, 12
	global_load_dword v0, v[0:1], off
	s_nop 0
	buffer_load_dword v1, off, s[20:23], 0  ; 4-byte Folded Reload
	s_waitcnt vmcnt(0)
	ds_write_b32 v1, v0
	s_waitcnt lgkmcnt(0)
	s_barrier
	buffer_load_dword v11, off, s[20:23], 0 offset:36 ; 4-byte Folded Reload
	buffer_load_dword v123, off, s[20:23], 0 offset:40 ; 4-byte Folded Reload
	;; [unrolled: 1-line block ×7, first 2 shown]
.LBB138_12:                             ;   Parent Loop BB138_7 Depth=1
                                        ; =>  This Inner Loop Header: Depth=2
	s_waitcnt vmcnt(5)
	ds_read_b128 v[2:5], v123
	ds_read_b128 v[6:9], v123 offset:16
	ds_read2_b32 v[39:40], v11 offset1:32
	s_waitcnt vmcnt(4)
	ds_read_b32 v93, v124
	s_waitcnt vmcnt(0)
	ds_read2_b32 v[0:1], v77 offset1:1
	ds_read2_b32 v[12:13], v77 offset0:2 offset1:3
	s_add_i32 s0, s0, 4
	s_waitcnt lgkmcnt(3)
	v_cvt_f32_f16_sdwa v48, v40 dst_sel:DWORD dst_unused:UNUSED_PAD src0_sel:WORD_1
	v_add_u32_e32 v124, 4, v124
	s_waitcnt lgkmcnt(1)
	v_and_b32_e32 v96, 0xf0f0f0f, v0
	v_lshrrev_b32_e32 v0, 4, v0
	v_and_b32_e32 v97, 0xf0f0f0f, v0
	v_dot4_i32_i8 v0, v96, v2, 0
	v_dot4_i32_i8 v0, v97, v6, v0
	v_and_b32_e32 v92, 0xf0f0f0f, v1
	v_lshrrev_b32_e32 v1, 4, v1
	v_and_b32_e32 v42, 0xf0f0f0f, v1
	v_dot4_i32_i8 v0, v92, v3, v0
	v_dot4_i32_i8 v0, v42, v7, v0
	s_waitcnt lgkmcnt(0)
	v_and_b32_e32 v84, 0xf0f0f0f, v12
	v_lshrrev_b32_e32 v1, 4, v12
	v_and_b32_e32 v66, 0xf0f0f0f, v1
	v_dot4_i32_i8 v0, v84, v4, v0
	v_dot4_i32_i8 v0, v66, v8, v0
	v_and_b32_e32 v1, 0xf0f0f0f, v13
	v_lshrrev_b32_e32 v12, 4, v13
	v_and_b32_e32 v70, 0xf0f0f0f, v12
	v_dot4_i32_i8 v0, v1, v5, v0
	v_dot4_i32_i8 v45, v70, v9, v0
	v_add_u32_e32 v0, 0x1080, v77
	ds_read_b32 v94, v81
	ds_read2_b32 v[12:13], v0 offset1:1
	v_mul_f32_e32 v48, 0x41000000, v48
	v_cvt_f32_i32_e32 v45, v45
	v_add_u32_e32 v81, 4, v81
	s_cmp_lt_u32 s0, 28
	s_waitcnt lgkmcnt(0)
	v_and_b32_e32 v100, 0xf0f0f0f, v12
	v_lshrrev_b32_e32 v0, 4, v12
	v_lshrrev_b32_e32 v12, 4, v13
	v_and_b32_e32 v28, 0xf0f0f0f, v12
	v_add_u32_e32 v12, 0x1088, v77
	v_and_b32_e32 v60, 0xf0f0f0f, v13
	ds_read2_b32 v[12:13], v12 offset1:1
	v_and_b32_e32 v41, 0xf0f0f0f, v0
	v_dot4_i32_i8 v0, v100, v2, 0
	v_dot4_i32_i8 v0, v41, v6, v0
	;; [unrolled: 1-line block ×4, first 2 shown]
	s_waitcnt lgkmcnt(0)
	v_and_b32_e32 v69, 0xf0f0f0f, v12
	v_lshrrev_b32_e32 v12, 4, v12
	v_and_b32_e32 v61, 0xf0f0f0f, v12
	v_dot4_i32_i8 v0, v69, v4, v0
	v_dot4_i32_i8 v0, v61, v8, v0
	v_and_b32_e32 v85, 0xf0f0f0f, v13
	v_lshrrev_b32_e32 v12, 4, v13
	v_and_b32_e32 v67, 0xf0f0f0f, v12
	v_dot4_i32_i8 v0, v85, v5, v0
	v_dot4_i32_i8 v0, v67, v9, v0
	v_cvt_f32_i32_e32 v13, v0
	v_add_u32_e32 v0, 0x2100, v77
	ds_read_b32 v68, v79
	ds_read2_b32 v[46:47], v0 offset1:1
	v_add_u32_e32 v79, 4, v79
	s_waitcnt lgkmcnt(0)
	v_lshrrev_b32_e32 v12, 4, v47
	v_and_b32_e32 v75, 0xf0f0f0f, v12
	v_add_u32_e32 v12, 0x2108, v77
	v_and_b32_e32 v72, 0xf0f0f0f, v46
	v_lshrrev_b32_e32 v0, 4, v46
	v_and_b32_e32 v74, 0xf0f0f0f, v47
	ds_read2_b32 v[46:47], v12 offset1:1
	v_and_b32_e32 v73, 0xf0f0f0f, v0
	v_dot4_i32_i8 v0, v72, v2, 0
	v_dot4_i32_i8 v0, v73, v6, v0
	;; [unrolled: 1-line block ×4, first 2 shown]
	s_waitcnt lgkmcnt(0)
	v_and_b32_e32 v76, 0xf0f0f0f, v46
	v_lshrrev_b32_e32 v12, 4, v46
	v_and_b32_e32 v111, 0xf0f0f0f, v12
	v_dot4_i32_i8 v0, v76, v4, v0
	v_dot4_i32_i8 v0, v111, v8, v0
	v_and_b32_e32 v113, 0xf0f0f0f, v47
	v_lshrrev_b32_e32 v12, 4, v47
	v_and_b32_e32 v114, 0xf0f0f0f, v12
	v_dot4_i32_i8 v0, v113, v5, v0
	v_dot4_i32_i8 v0, v114, v9, v0
	v_cvt_f32_i32_e32 v14, v0
	v_add_u32_e32 v0, 0x3180, v77
	ds_read_b32 v71, v125
	ds_read2_b32 v[46:47], v0 offset1:1
	v_add_u32_e32 v125, 4, v125
	s_waitcnt lgkmcnt(0)
	v_and_b32_e32 v44, 0xf0f0f0f, v46
	v_lshrrev_b32_e32 v0, 4, v46
	v_and_b32_e32 v0, 0xf0f0f0f, v0
	v_dot4_i32_i8 v2, v44, v2, 0
	v_dot4_i32_i8 v2, v0, v6, v2
	v_and_b32_e32 v119, 0xf0f0f0f, v47
	v_lshrrev_b32_e32 v6, 4, v47
	v_and_b32_e32 v110, 0xf0f0f0f, v6
	v_dot4_i32_i8 v2, v119, v3, v2
	v_dot4_i32_i8 v6, v110, v7, v2
	v_add_u32_e32 v2, 0x3188, v77
	ds_read2_b32 v[2:3], v2 offset1:1
	v_cvt_f32_f16_sdwa v47, v39 dst_sel:DWORD dst_unused:UNUSED_PAD src0_sel:WORD_1
	v_add_u32_e32 v77, 16, v77
	s_waitcnt lgkmcnt(0)
	v_and_b32_e32 v12, 0xf0f0f0f, v2
	v_lshrrev_b32_e32 v2, 4, v2
	v_and_b32_e32 v88, 0xf0f0f0f, v2
	v_dot4_i32_i8 v2, v12, v4, v6
	v_dot4_i32_i8 v2, v88, v8, v2
	v_and_b32_e32 v115, 0xf0f0f0f, v3
	v_lshrrev_b32_e32 v3, 4, v3
	v_and_b32_e32 v118, 0xf0f0f0f, v3
	v_dot4_i32_i8 v2, v115, v5, v2
	v_dot4_i32_i8 v2, v118, v9, v2
	v_cvt_f32_i32_e32 v15, v2
	ds_read_b128 v[2:5], v123 offset:1024
	ds_read_b128 v[6:9], v123 offset:1040
	v_mul_f32_e32 v47, 0x41000000, v47
	v_fma_mix_f32 v13, v39, v13, -v47 op_sel_hi:[1,0,0]
	v_fmac_f32_e32 v10, v94, v13
	v_fma_mix_f32 v13, v39, v14, -v47 op_sel_hi:[1,0,0]
	v_fmac_f32_e32 v120, v68, v13
	v_fma_mix_f32 v13, v39, v15, -v47 op_sel_hi:[1,0,0]
	v_fmac_f32_e32 v122, v71, v13
	s_waitcnt lgkmcnt(1)
	v_dot4_i32_i8 v13, v100, v2, 0
	s_waitcnt lgkmcnt(0)
	v_dot4_i32_i8 v13, v41, v6, v13
	v_dot4_i32_i8 v13, v60, v3, v13
	;; [unrolled: 1-line block ×7, first 2 shown]
	v_cvt_f32_i32_e32 v13, v13
	v_dot4_i32_i8 v46, v96, v2, 0
	v_dot4_i32_i8 v46, v97, v6, v46
	;; [unrolled: 1-line block ×3, first 2 shown]
	v_fma_mix_f32 v13, v40, v13, -v48 op_sel_hi:[1,0,0]
	v_fmac_f32_e32 v105, v94, v13
	v_dot4_i32_i8 v13, v72, v2, 0
	v_dot4_i32_i8 v2, v44, v2, 0
	;; [unrolled: 1-line block ×21, first 2 shown]
	v_cvt_f32_i32_e32 v2, v2
	v_cvt_f32_i32_e32 v46, v46
	v_cvt_f32_i32_e32 v13, v13
	v_fma_mix_f32 v45, v39, v45, -v47 op_sel_hi:[1,0,0]
	v_fma_mix_f32 v2, v40, v2, -v48 op_sel_hi:[1,0,0]
	v_fma_mix_f32 v46, v40, v46, -v48 op_sel_hi:[1,0,0]
	v_fma_mix_f32 v13, v40, v13, -v48 op_sel_hi:[1,0,0]
	v_fmac_f32_e32 v121, v71, v2
	ds_read_b128 v[2:5], v123 offset:2048
	ds_read_b128 v[6:9], v123 offset:2064
	ds_read2_b32 v[39:40], v11 offset0:64 offset1:96
	v_fmac_f32_e32 v116, v68, v13
	v_fmac_f32_e32 v37, v93, v45
	s_waitcnt lgkmcnt(2)
	v_dot4_i32_i8 v13, v96, v2, 0
	s_waitcnt lgkmcnt(1)
	v_dot4_i32_i8 v13, v97, v6, v13
	v_dot4_i32_i8 v14, v100, v2, 0
	;; [unrolled: 1-line block ×26, first 2 shown]
	s_waitcnt lgkmcnt(0)
	v_cvt_f32_f16_sdwa v47, v39 dst_sel:DWORD dst_unused:UNUSED_PAD src0_sel:WORD_1
	v_dot4_i32_i8 v14, v85, v5, v14
	v_dot4_i32_i8 v15, v113, v5, v15
	v_dot4_i32_i8 v2, v118, v9, v2
	v_cvt_f32_i32_e32 v13, v13
	v_dot4_i32_i8 v14, v67, v9, v14
	v_dot4_i32_i8 v15, v114, v9, v15
	v_cvt_f32_i32_e32 v45, v2
	ds_read_b128 v[2:5], v123 offset:3072
	ds_read_b128 v[6:9], v123 offset:3088
	v_mul_f32_e32 v47, 0x41000000, v47
	v_fma_mix_f32 v13, v13, v39, -v47 op_sel_hi:[0,1,0]
	v_fmac_f32_e32 v35, v93, v13
	s_waitcnt lgkmcnt(1)
	v_dot4_i32_i8 v13, v100, v2, 0
	s_waitcnt lgkmcnt(0)
	v_dot4_i32_i8 v13, v41, v6, v13
	v_dot4_i32_i8 v13, v60, v3, v13
	;; [unrolled: 1-line block ×6, first 2 shown]
	v_cvt_f32_f16_sdwa v48, v40 dst_sel:DWORD dst_unused:UNUSED_PAD src0_sel:WORD_1
	v_dot4_i32_i8 v13, v67, v9, v13
	v_cvt_f32_i32_e32 v13, v13
	v_fma_f32 v38, v93, v46, v38
	v_mul_f32_e32 v48, 0x41000000, v48
	v_dot4_i32_i8 v46, v96, v2, 0
	v_fma_mix_f32 v13, v40, v13, -v48 op_sel_hi:[1,0,0]
	v_fmac_f32_e32 v89, v94, v13
	v_dot4_i32_i8 v13, v72, v2, 0
	v_dot4_i32_i8 v2, v44, v2, 0
	;; [unrolled: 1-line block ×18, first 2 shown]
	v_cvt_f32_i32_e32 v14, v14
	v_dot4_i32_i8 v46, v1, v5, v46
	v_dot4_i32_i8 v13, v113, v5, v13
	;; [unrolled: 1-line block ×3, first 2 shown]
	v_cvt_f32_i32_e32 v15, v15
	v_dot4_i32_i8 v46, v70, v9, v46
	v_dot4_i32_i8 v13, v114, v9, v13
	v_cvt_f32_i32_e32 v2, v2
	v_cvt_f32_i32_e32 v46, v46
	v_cvt_f32_i32_e32 v13, v13
	v_fma_mix_f32 v14, v39, v14, -v47 op_sel_hi:[1,0,0]
	v_fmac_f32_e32 v95, v94, v14
	v_fma_mix_f32 v14, v39, v15, -v47 op_sel_hi:[1,0,0]
	v_fma_mix_f32 v2, v40, v2, -v48 op_sel_hi:[1,0,0]
	;; [unrolled: 1-line block ×3, first 2 shown]
	v_fmac_f32_e32 v106, v68, v14
	v_fma_mix_f32 v14, v39, v45, -v47 op_sel_hi:[1,0,0]
	v_fma_mix_f32 v13, v40, v13, -v48 op_sel_hi:[1,0,0]
	v_fmac_f32_e32 v112, v71, v2
	ds_read_b128 v[2:5], v123 offset:4096
	ds_read_b128 v[6:9], v123 offset:4112
	ds_read2_b32 v[39:40], v11 offset0:128 offset1:160
	v_fmac_f32_e32 v101, v68, v13
	v_fmac_f32_e32 v117, v71, v14
	s_waitcnt lgkmcnt(2)
	v_dot4_i32_i8 v13, v96, v2, 0
	s_waitcnt lgkmcnt(1)
	v_dot4_i32_i8 v13, v97, v6, v13
	v_dot4_i32_i8 v14, v100, v2, 0
	;; [unrolled: 1-line block ×26, first 2 shown]
	s_waitcnt lgkmcnt(0)
	v_cvt_f32_f16_sdwa v48, v39 dst_sel:DWORD dst_unused:UNUSED_PAD src0_sel:WORD_1
	v_dot4_i32_i8 v14, v85, v5, v14
	v_dot4_i32_i8 v15, v113, v5, v15
	v_dot4_i32_i8 v2, v118, v9, v2
	v_cvt_f32_i32_e32 v13, v13
	v_fma_f32 v36, v93, v46, v36
	v_dot4_i32_i8 v14, v67, v9, v14
	v_dot4_i32_i8 v15, v114, v9, v15
	v_cvt_f32_i32_e32 v46, v2
	ds_read_b128 v[2:5], v123 offset:5120
	ds_read_b128 v[6:9], v123 offset:5136
	v_mul_f32_e32 v48, 0x41000000, v48
	v_fma_mix_f32 v13, v13, v39, -v48 op_sel_hi:[0,1,0]
	v_fmac_f32_e32 v33, v93, v13
	s_waitcnt lgkmcnt(1)
	v_dot4_i32_i8 v45, v96, v2, 0
	v_dot4_i32_i8 v13, v100, v2, 0
	s_waitcnt lgkmcnt(0)
	v_dot4_i32_i8 v45, v97, v6, v45
	v_dot4_i32_i8 v13, v41, v6, v13
	;; [unrolled: 1-line block ×13, first 2 shown]
	v_cvt_f32_f16_sdwa v45, v40 dst_sel:DWORD dst_unused:UNUSED_PAD src0_sel:WORD_1
	v_dot4_i32_i8 v13, v67, v9, v13
	v_cvt_f32_i32_e32 v13, v13
	v_cvt_f32_i32_e32 v14, v14
	v_mul_f32_e32 v45, 0x41000000, v45
	v_cvt_f32_i32_e32 v15, v15
	v_fma_mix_f32 v13, v40, v13, -v45 op_sel_hi:[1,0,0]
	v_fmac_f32_e32 v82, v94, v13
	v_dot4_i32_i8 v13, v72, v2, 0
	v_dot4_i32_i8 v2, v44, v2, 0
	;; [unrolled: 1-line block ×16, first 2 shown]
	v_cvt_f32_i32_e32 v2, v2
	v_cvt_f32_i32_e32 v47, v47
	;; [unrolled: 1-line block ×3, first 2 shown]
	v_fma_mix_f32 v14, v39, v14, -v48 op_sel_hi:[1,0,0]
	v_fmac_f32_e32 v86, v94, v14
	v_fma_mix_f32 v14, v39, v15, -v48 op_sel_hi:[1,0,0]
	v_fma_mix_f32 v2, v40, v2, -v45 op_sel_hi:[1,0,0]
	;; [unrolled: 1-line block ×3, first 2 shown]
	v_fmac_f32_e32 v98, v68, v14
	v_fma_mix_f32 v14, v39, v46, -v48 op_sel_hi:[1,0,0]
	v_fma_mix_f32 v13, v40, v13, -v45 op_sel_hi:[1,0,0]
	v_fmac_f32_e32 v102, v71, v2
	ds_read_b128 v[2:5], v123 offset:6144
	ds_read_b128 v[6:9], v123 offset:6160
	ds_read2_b32 v[39:40], v11 offset0:192 offset1:224
	v_fmac_f32_e32 v109, v71, v14
	v_fmac_f32_e32 v90, v68, v13
	s_waitcnt lgkmcnt(2)
	v_dot4_i32_i8 v13, v96, v2, 0
	v_dot4_i32_i8 v14, v100, v2, 0
	;; [unrolled: 1-line block ×4, first 2 shown]
	s_waitcnt lgkmcnt(1)
	v_dot4_i32_i8 v2, v0, v6, v2
	v_dot4_i32_i8 v13, v97, v6, v13
	;; [unrolled: 1-line block ×28, first 2 shown]
	v_cvt_f32_i32_e32 v45, v2
	ds_read_b128 v[2:5], v123 offset:7168
	ds_read_b128 v[6:9], v123 offset:7184
	v_cvt_f32_i32_e32 v13, v13
	v_cvt_f32_i32_e32 v14, v14
	;; [unrolled: 1-line block ×3, first 2 shown]
	s_waitcnt lgkmcnt(1)
	v_dot4_i32_i8 v46, v96, v2, 0
	s_waitcnt lgkmcnt(0)
	v_dot4_i32_i8 v46, v97, v6, v46
	v_dot4_i32_i8 v46, v92, v3, v46
	;; [unrolled: 1-line block ×3, first 2 shown]
	v_cvt_f32_f16_sdwa v46, v39 dst_sel:DWORD dst_unused:UNUSED_PAD src0_sel:WORD_1
	v_dot4_i32_i8 v42, v84, v4, v42
	v_dot4_i32_i8 v42, v66, v8, v42
	;; [unrolled: 1-line block ×3, first 2 shown]
	v_mul_f32_e32 v46, 0x41000000, v46
	v_fma_mix_f32 v13, v13, v39, -v46 op_sel_hi:[0,1,0]
	v_fmac_f32_e32 v31, v93, v13
	v_dot4_i32_i8 v13, v100, v2, 0
	v_dot4_i32_i8 v13, v41, v6, v13
	;; [unrolled: 1-line block ×8, first 2 shown]
	v_cvt_f32_f16_sdwa v1, v40 dst_sel:DWORD dst_unused:UNUSED_PAD src0_sel:WORD_1
	v_dot4_i32_i8 v13, v67, v9, v13
	v_cvt_f32_i32_e32 v13, v13
	v_cvt_f32_i32_e32 v42, v42
	v_mul_f32_e32 v1, 0x41000000, v1
	v_fma_mix_f32 v14, v39, v14, -v46 op_sel_hi:[1,0,0]
	v_fma_mix_f32 v13, v40, v13, -v1 op_sel_hi:[1,0,0]
	v_fmac_f32_e32 v78, v94, v13
	v_dot4_i32_i8 v13, v72, v2, 0
	v_dot4_i32_i8 v2, v44, v2, 0
	;; [unrolled: 1-line block ×16, first 2 shown]
	v_cvt_f32_i32_e32 v13, v13
	v_cvt_f32_i32_e32 v0, v0
	v_fmac_f32_e32 v80, v94, v14
	v_fma_mix_f32 v14, v39, v15, -v46 op_sel_hi:[1,0,0]
	v_fma_mix_f32 v42, v42, v40, -v1 op_sel_hi:[0,1,0]
	v_fmac_f32_e32 v87, v68, v14
	v_fma_mix_f32 v14, v39, v45, -v46 op_sel_hi:[1,0,0]
	v_fma_mix_f32 v13, v40, v13, -v1 op_sel_hi:[1,0,0]
	;; [unrolled: 1-line block ×3, first 2 shown]
	v_fma_f32 v34, v93, v47, v34
	v_fmac_f32_e32 v99, v71, v14
	v_fma_f32 v32, v93, v42, v32
	v_fmac_f32_e32 v83, v68, v13
	v_fmac_f32_e32 v91, v71, v0
	v_add_u32_e32 v123, 32, v123
	v_add_u32_e32 v11, 4, v11
	s_cbranch_scc1 .LBB138_12
; %bb.13:                               ;   in Loop: Header=BB138_7 Depth=1
	s_barrier
	s_branch .LBB138_5
.LBB138_14:
	v_mov_b32_e32 v0, 0
	v_mov_b32_e32 v3, 0
	;; [unrolled: 1-line block ×28, first 2 shown]
	v_cmp_gt_u32_e32 vcc, s10, v8
	s_and_saveexec_b64 s[0:1], vcc
	s_cbranch_execnz .LBB138_17
.LBB138_15:
	s_endpgm
.LBB138_16:
	v_cvt_f16_f32_e32 v3, v34
	s_waitcnt vmcnt(2)
	v_cvt_f16_f32_e32 v8, v33
	v_cvt_f16_f32_e32 v0, v38
	;; [unrolled: 1-line block ×4, first 2 shown]
	v_pack_b32_f16 v14, v8, v3
	buffer_load_dword v8, off, s[20:23], 0 offset:192 ; 4-byte Folded Reload
	buffer_load_dword v46, off, s[20:23], 0 offset:188 ; 4-byte Folded Reload
	v_pack_b32_f16 v27, v1, v0
	v_cvt_f16_f32_e32 v0, v36
	v_cvt_f16_f32_e32 v1, v35
	v_cvt_f16_f32_e32 v30, v31
	v_cvt_f16_f32_e32 v10, v10
	v_cvt_f16_f32_e32 v11, v120
	v_cvt_f16_f32_e32 v29, v122
	v_cvt_f16_f32_e32 v28, v105
	v_cvt_f16_f32_e32 v26, v116
	v_cvt_f16_f32_e32 v25, v121
	v_cvt_f16_f32_e32 v24, v95
	v_cvt_f16_f32_e32 v23, v106
	v_cvt_f16_f32_e32 v22, v117
	v_pack_b32_f16 v20, v1, v0
	v_cvt_f16_f32_e32 v21, v89
	v_cvt_f16_f32_e32 v19, v101
	;; [unrolled: 1-line block ×15, first 2 shown]
	v_pack_b32_f16 v3, v30, v9
	s_waitcnt vmcnt(1)
	v_cmp_gt_u32_e32 vcc, s10, v8
	s_and_saveexec_b64 s[0:1], vcc
	s_cbranch_execz .LBB138_15
.LBB138_17:
	v_mul_lo_u32 v30, v8, s14
	buffer_load_dword v8, off, s[20:23], 0 offset:72 ; 4-byte Folded Reload
	s_waitcnt vmcnt(0)
	v_add_u32_e32 v8, s6, v8
	v_cmp_gt_u32_e32 vcc, s14, v8
	s_and_saveexec_b64 s[2:3], vcc
	s_cbranch_execz .LBB138_19
; %bb.18:
	v_add_u32_e32 v31, v8, v30
	v_mov_b32_e32 v32, 0
	v_lshlrev_b64 v[31:32], 1, v[31:32]
	s_waitcnt lgkmcnt(0)
	v_mov_b32_e32 v9, s13
	v_add_co_u32_e64 v31, s[0:1], s12, v31
	v_addc_co_u32_e64 v32, s[0:1], v9, v32, s[0:1]
	global_store_short v[31:32], v27, off
.LBB138_19:
	s_or_b64 exec, exec, s[2:3]
	v_add_u32_e32 v9, 32, v8
	v_cmp_gt_u32_e64 s[0:1], s14, v9
	s_and_saveexec_b64 s[4:5], s[0:1]
	s_cbranch_execz .LBB138_21
; %bb.20:
	v_add_u32_e32 v31, v9, v30
	v_mov_b32_e32 v32, 0
	v_lshlrev_b64 v[31:32], 1, v[31:32]
	s_waitcnt lgkmcnt(0)
	v_mov_b32_e32 v33, s13
	v_add_co_u32_e64 v31, s[2:3], s12, v31
	v_addc_co_u32_e64 v32, s[2:3], v33, v32, s[2:3]
	global_store_short v[31:32], v10, off
.LBB138_21:
	s_or_b64 exec, exec, s[4:5]
	v_add_u32_e32 v10, 64, v8
	v_cmp_gt_u32_e64 s[2:3], s14, v10
	s_and_saveexec_b64 s[6:7], s[2:3]
	;; [unrolled: 15-line block ×3, first 2 shown]
	s_cbranch_execz .LBB138_25
; %bb.24:
	v_add_u32_e32 v30, v11, v30
	v_mov_b32_e32 v31, 0
	v_lshlrev_b64 v[30:31], 1, v[30:31]
	s_waitcnt lgkmcnt(0)
	v_mov_b32_e32 v32, s13
	v_add_co_u32_e64 v30, s[6:7], s12, v30
	v_addc_co_u32_e64 v31, s[6:7], v32, v31, s[6:7]
	global_store_short v[30:31], v29, off
.LBB138_25:
	s_or_b64 exec, exec, s[8:9]
	v_add3_u32 v29, v46, s15, 8
	v_cmp_gt_u32_e64 s[6:7], s10, v29
	s_and_b64 exec, exec, s[6:7]
	s_cbranch_execz .LBB138_15
; %bb.26:
	v_mul_lo_u32 v29, v29, s14
	s_and_saveexec_b64 s[8:9], vcc
	s_cbranch_execnz .LBB138_66
; %bb.27:
	s_or_b64 exec, exec, s[8:9]
	s_and_saveexec_b64 s[8:9], s[0:1]
	s_cbranch_execnz .LBB138_67
.LBB138_28:
	s_or_b64 exec, exec, s[8:9]
	s_and_saveexec_b64 s[8:9], s[2:3]
	s_cbranch_execnz .LBB138_68
.LBB138_29:
	s_or_b64 exec, exec, s[8:9]
	s_and_saveexec_b64 s[8:9], s[4:5]
	s_cbranch_execz .LBB138_31
.LBB138_30:
	v_add_u32_e32 v26, v29, v11
	v_mov_b32_e32 v27, 0
	v_lshlrev_b64 v[26:27], 1, v[26:27]
	s_waitcnt lgkmcnt(0)
	v_mov_b32_e32 v28, s13
	v_add_co_u32_e64 v26, s[6:7], s12, v26
	v_addc_co_u32_e64 v27, s[6:7], v28, v27, s[6:7]
	global_store_short v[26:27], v25, off
.LBB138_31:
	s_or_b64 exec, exec, s[8:9]
	v_add3_u32 v25, v46, s15, 16
	v_cmp_gt_u32_e64 s[6:7], s10, v25
	s_and_b64 exec, exec, s[6:7]
	s_cbranch_execz .LBB138_15
; %bb.32:
	v_mul_lo_u32 v25, v25, s14
	s_and_saveexec_b64 s[8:9], vcc
	s_cbranch_execnz .LBB138_69
; %bb.33:
	s_or_b64 exec, exec, s[8:9]
	s_and_saveexec_b64 s[8:9], s[0:1]
	s_cbranch_execnz .LBB138_70
.LBB138_34:
	s_or_b64 exec, exec, s[8:9]
	s_and_saveexec_b64 s[8:9], s[2:3]
	s_cbranch_execnz .LBB138_71
.LBB138_35:
	s_or_b64 exec, exec, s[8:9]
	s_and_saveexec_b64 s[8:9], s[4:5]
	s_cbranch_execz .LBB138_37
.LBB138_36:
	v_add_u32_e32 v23, v25, v11
	v_mov_b32_e32 v24, 0
	v_lshlrev_b64 v[23:24], 1, v[23:24]
	s_waitcnt lgkmcnt(0)
	v_mov_b32_e32 v25, s13
	v_add_co_u32_e64 v23, s[6:7], s12, v23
	v_addc_co_u32_e64 v24, s[6:7], v25, v24, s[6:7]
	global_store_short v[23:24], v22, off
.LBB138_37:
	s_or_b64 exec, exec, s[8:9]
	v_add3_u32 v22, v46, s15, 24
	v_cmp_gt_u32_e64 s[6:7], s10, v22
	s_and_b64 exec, exec, s[6:7]
	s_cbranch_execz .LBB138_15
; %bb.38:
	v_mul_lo_u32 v22, v22, s14
	s_and_saveexec_b64 s[8:9], vcc
	s_cbranch_execnz .LBB138_72
; %bb.39:
	s_or_b64 exec, exec, s[8:9]
	s_and_saveexec_b64 s[8:9], s[0:1]
	s_cbranch_execnz .LBB138_73
.LBB138_40:
	s_or_b64 exec, exec, s[8:9]
	s_and_saveexec_b64 s[8:9], s[2:3]
	s_cbranch_execnz .LBB138_74
.LBB138_41:
	s_or_b64 exec, exec, s[8:9]
	s_and_saveexec_b64 s[8:9], s[4:5]
	s_cbranch_execz .LBB138_43
.LBB138_42:
	v_add_u32_e32 v19, v22, v11
	v_mov_b32_e32 v20, 0
	v_lshlrev_b64 v[19:20], 1, v[19:20]
	s_waitcnt lgkmcnt(0)
	v_mov_b32_e32 v21, s13
	v_add_co_u32_e64 v19, s[6:7], s12, v19
	v_addc_co_u32_e64 v20, s[6:7], v21, v20, s[6:7]
	global_store_short v[19:20], v18, off
.LBB138_43:
	s_or_b64 exec, exec, s[8:9]
	v_add3_u32 v18, v46, s15, 32
	v_cmp_gt_u32_e64 s[6:7], s10, v18
	s_and_b64 exec, exec, s[6:7]
	s_cbranch_execz .LBB138_15
; %bb.44:
	v_mul_lo_u32 v18, v18, s14
	s_and_saveexec_b64 s[8:9], vcc
	s_cbranch_execnz .LBB138_75
; %bb.45:
	s_or_b64 exec, exec, s[8:9]
	s_and_saveexec_b64 s[8:9], s[0:1]
	s_cbranch_execnz .LBB138_76
.LBB138_46:
	s_or_b64 exec, exec, s[8:9]
	s_and_saveexec_b64 s[8:9], s[2:3]
	s_cbranch_execnz .LBB138_77
.LBB138_47:
	s_or_b64 exec, exec, s[8:9]
	s_and_saveexec_b64 s[8:9], s[4:5]
	s_cbranch_execz .LBB138_49
.LBB138_48:
	v_add_u32_e32 v16, v18, v11
	v_mov_b32_e32 v17, 0
	v_lshlrev_b64 v[16:17], 1, v[16:17]
	s_waitcnt lgkmcnt(0)
	v_mov_b32_e32 v18, s13
	v_add_co_u32_e64 v16, s[6:7], s12, v16
	v_addc_co_u32_e64 v17, s[6:7], v18, v17, s[6:7]
	global_store_short v[16:17], v15, off
.LBB138_49:
	s_or_b64 exec, exec, s[8:9]
	v_add3_u32 v15, v46, s15, 40
	v_cmp_gt_u32_e64 s[6:7], s10, v15
	s_and_b64 exec, exec, s[6:7]
	s_cbranch_execz .LBB138_15
; %bb.50:
	v_mul_lo_u32 v15, v15, s14
	s_and_saveexec_b64 s[8:9], vcc
	s_cbranch_execnz .LBB138_78
; %bb.51:
	s_or_b64 exec, exec, s[8:9]
	s_and_saveexec_b64 s[8:9], s[0:1]
	s_cbranch_execnz .LBB138_79
.LBB138_52:
	s_or_b64 exec, exec, s[8:9]
	s_and_saveexec_b64 s[8:9], s[2:3]
	s_cbranch_execnz .LBB138_80
.LBB138_53:
	s_or_b64 exec, exec, s[8:9]
	s_and_saveexec_b64 s[8:9], s[4:5]
	s_cbranch_execz .LBB138_55
.LBB138_54:
	v_add_u32_e32 v12, v15, v11
	v_mov_b32_e32 v13, 0
	v_lshlrev_b64 v[12:13], 1, v[12:13]
	s_waitcnt lgkmcnt(0)
	v_mov_b32_e32 v14, s13
	v_add_co_u32_e64 v12, s[6:7], s12, v12
	v_addc_co_u32_e64 v13, s[6:7], v14, v13, s[6:7]
	global_store_short v[12:13], v7, off
.LBB138_55:
	s_or_b64 exec, exec, s[8:9]
	v_add3_u32 v7, v46, s15, 48
	v_cmp_gt_u32_e64 s[6:7], s10, v7
	s_and_b64 exec, exec, s[6:7]
	s_cbranch_execz .LBB138_15
; %bb.56:
	v_mul_lo_u32 v7, v7, s14
	s_and_saveexec_b64 s[8:9], vcc
	s_cbranch_execnz .LBB138_81
; %bb.57:
	s_or_b64 exec, exec, s[8:9]
	s_and_saveexec_b64 s[8:9], s[0:1]
	s_cbranch_execnz .LBB138_82
.LBB138_58:
	s_or_b64 exec, exec, s[8:9]
	s_and_saveexec_b64 s[8:9], s[2:3]
	s_cbranch_execnz .LBB138_83
.LBB138_59:
	s_or_b64 exec, exec, s[8:9]
	s_and_saveexec_b64 s[8:9], s[4:5]
	s_cbranch_execz .LBB138_61
.LBB138_60:
	v_add_u32_e32 v5, v7, v11
	v_mov_b32_e32 v6, 0
	v_lshlrev_b64 v[5:6], 1, v[5:6]
	s_waitcnt lgkmcnt(0)
	v_mov_b32_e32 v7, s13
	v_add_co_u32_e64 v5, s[6:7], s12, v5
	v_addc_co_u32_e64 v6, s[6:7], v7, v6, s[6:7]
	global_store_short v[5:6], v4, off
.LBB138_61:
	s_or_b64 exec, exec, s[8:9]
	v_add3_u32 v4, v46, s15, 56
	v_cmp_gt_u32_e64 s[6:7], s10, v4
	s_and_b64 exec, exec, s[6:7]
	s_cbranch_execz .LBB138_15
; %bb.62:
	v_mul_lo_u32 v4, v4, s14
	s_and_saveexec_b64 s[6:7], vcc
	s_cbranch_execnz .LBB138_84
; %bb.63:
	s_or_b64 exec, exec, s[6:7]
	s_and_saveexec_b64 s[6:7], s[0:1]
	s_cbranch_execnz .LBB138_85
.LBB138_64:
	s_or_b64 exec, exec, s[6:7]
	s_and_saveexec_b64 s[0:1], s[2:3]
	s_cbranch_execnz .LBB138_86
.LBB138_65:
	s_or_b64 exec, exec, s[0:1]
	s_and_b64 exec, exec, s[4:5]
	s_cbranch_execz .LBB138_15
	s_branch .LBB138_87
.LBB138_66:
	v_add_u32_e32 v30, v29, v8
	v_mov_b32_e32 v31, 0
	v_lshlrev_b64 v[30:31], 1, v[30:31]
	s_waitcnt lgkmcnt(0)
	v_mov_b32_e32 v32, s13
	v_add_co_u32_e64 v30, s[6:7], s12, v30
	v_addc_co_u32_e64 v31, s[6:7], v32, v31, s[6:7]
	global_store_short_d16_hi v[30:31], v27, off
	s_or_b64 exec, exec, s[8:9]
	s_and_saveexec_b64 s[8:9], s[0:1]
	s_cbranch_execz .LBB138_28
.LBB138_67:
	v_add_u32_e32 v30, v29, v9
	v_mov_b32_e32 v31, 0
	v_lshlrev_b64 v[30:31], 1, v[30:31]
	s_waitcnt lgkmcnt(0)
	v_mov_b32_e32 v27, s13
	v_add_co_u32_e64 v30, s[6:7], s12, v30
	v_addc_co_u32_e64 v31, s[6:7], v27, v31, s[6:7]
	global_store_short v[30:31], v28, off
	s_or_b64 exec, exec, s[8:9]
	s_and_saveexec_b64 s[8:9], s[2:3]
	s_cbranch_execz .LBB138_29
.LBB138_68:
	v_add_u32_e32 v27, v29, v10
	v_mov_b32_e32 v28, 0
	v_lshlrev_b64 v[27:28], 1, v[27:28]
	s_waitcnt lgkmcnt(0)
	v_mov_b32_e32 v30, s13
	v_add_co_u32_e64 v27, s[6:7], s12, v27
	v_addc_co_u32_e64 v28, s[6:7], v30, v28, s[6:7]
	global_store_short v[27:28], v26, off
	s_or_b64 exec, exec, s[8:9]
	s_and_saveexec_b64 s[8:9], s[4:5]
	s_cbranch_execnz .LBB138_30
	s_branch .LBB138_31
.LBB138_69:
	v_add_u32_e32 v26, v25, v8
	v_mov_b32_e32 v27, 0
	v_lshlrev_b64 v[26:27], 1, v[26:27]
	s_waitcnt lgkmcnt(0)
	v_mov_b32_e32 v28, s13
	v_add_co_u32_e64 v26, s[6:7], s12, v26
	v_addc_co_u32_e64 v27, s[6:7], v28, v27, s[6:7]
	global_store_short v[26:27], v20, off
	s_or_b64 exec, exec, s[8:9]
	s_and_saveexec_b64 s[8:9], s[0:1]
	s_cbranch_execz .LBB138_34
.LBB138_70:
	v_add_u32_e32 v26, v25, v9
	v_mov_b32_e32 v27, 0
	v_lshlrev_b64 v[26:27], 1, v[26:27]
	s_waitcnt lgkmcnt(0)
	v_mov_b32_e32 v28, s13
	v_add_co_u32_e64 v26, s[6:7], s12, v26
	v_addc_co_u32_e64 v27, s[6:7], v28, v27, s[6:7]
	global_store_short v[26:27], v24, off
	s_or_b64 exec, exec, s[8:9]
	s_and_saveexec_b64 s[8:9], s[2:3]
	s_cbranch_execz .LBB138_35
.LBB138_71:
	v_add_u32_e32 v26, v25, v10
	v_mov_b32_e32 v27, 0
	v_lshlrev_b64 v[26:27], 1, v[26:27]
	s_waitcnt lgkmcnt(0)
	v_mov_b32_e32 v24, s13
	v_add_co_u32_e64 v26, s[6:7], s12, v26
	v_addc_co_u32_e64 v27, s[6:7], v24, v27, s[6:7]
	global_store_short v[26:27], v23, off
	s_or_b64 exec, exec, s[8:9]
	s_and_saveexec_b64 s[8:9], s[4:5]
	s_cbranch_execnz .LBB138_36
	s_branch .LBB138_37
.LBB138_72:
	v_add_u32_e32 v23, v22, v8
	v_mov_b32_e32 v24, 0
	v_lshlrev_b64 v[23:24], 1, v[23:24]
	s_waitcnt lgkmcnt(0)
	v_mov_b32_e32 v25, s13
	v_add_co_u32_e64 v23, s[6:7], s12, v23
	v_addc_co_u32_e64 v24, s[6:7], v25, v24, s[6:7]
	global_store_short_d16_hi v[23:24], v20, off
	s_or_b64 exec, exec, s[8:9]
	s_and_saveexec_b64 s[8:9], s[0:1]
	s_cbranch_execz .LBB138_40
.LBB138_73:
	v_add_u32_e32 v23, v22, v9
	v_mov_b32_e32 v24, 0
	v_lshlrev_b64 v[23:24], 1, v[23:24]
	s_waitcnt lgkmcnt(0)
	v_mov_b32_e32 v20, s13
	v_add_co_u32_e64 v23, s[6:7], s12, v23
	v_addc_co_u32_e64 v24, s[6:7], v20, v24, s[6:7]
	global_store_short v[23:24], v21, off
	s_or_b64 exec, exec, s[8:9]
	s_and_saveexec_b64 s[8:9], s[2:3]
	s_cbranch_execz .LBB138_41
.LBB138_74:
	v_add_u32_e32 v20, v22, v10
	v_mov_b32_e32 v21, 0
	v_lshlrev_b64 v[20:21], 1, v[20:21]
	s_waitcnt lgkmcnt(0)
	v_mov_b32_e32 v23, s13
	v_add_co_u32_e64 v20, s[6:7], s12, v20
	v_addc_co_u32_e64 v21, s[6:7], v23, v21, s[6:7]
	global_store_short v[20:21], v19, off
	s_or_b64 exec, exec, s[8:9]
	s_and_saveexec_b64 s[8:9], s[4:5]
	s_cbranch_execnz .LBB138_42
	s_branch .LBB138_43
.LBB138_75:
	v_add_u32_e32 v19, v18, v8
	v_mov_b32_e32 v20, 0
	v_lshlrev_b64 v[19:20], 1, v[19:20]
	s_waitcnt lgkmcnt(0)
	v_mov_b32_e32 v21, s13
	v_add_co_u32_e64 v19, s[6:7], s12, v19
	v_addc_co_u32_e64 v20, s[6:7], v21, v20, s[6:7]
	global_store_short v[19:20], v14, off
	s_or_b64 exec, exec, s[8:9]
	s_and_saveexec_b64 s[8:9], s[0:1]
	s_cbranch_execz .LBB138_46
.LBB138_76:
	v_add_u32_e32 v19, v18, v9
	v_mov_b32_e32 v20, 0
	v_lshlrev_b64 v[19:20], 1, v[19:20]
	s_waitcnt lgkmcnt(0)
	v_mov_b32_e32 v21, s13
	v_add_co_u32_e64 v19, s[6:7], s12, v19
	v_addc_co_u32_e64 v20, s[6:7], v21, v20, s[6:7]
	global_store_short v[19:20], v17, off
	s_or_b64 exec, exec, s[8:9]
	s_and_saveexec_b64 s[8:9], s[2:3]
	s_cbranch_execz .LBB138_47
.LBB138_77:
	v_add_u32_e32 v19, v18, v10
	v_mov_b32_e32 v20, 0
	v_lshlrev_b64 v[19:20], 1, v[19:20]
	s_waitcnt lgkmcnt(0)
	v_mov_b32_e32 v17, s13
	v_add_co_u32_e64 v19, s[6:7], s12, v19
	v_addc_co_u32_e64 v20, s[6:7], v17, v20, s[6:7]
	global_store_short v[19:20], v16, off
	s_or_b64 exec, exec, s[8:9]
	s_and_saveexec_b64 s[8:9], s[4:5]
	s_cbranch_execnz .LBB138_48
	s_branch .LBB138_49
.LBB138_78:
	v_add_u32_e32 v16, v15, v8
	v_mov_b32_e32 v17, 0
	v_lshlrev_b64 v[16:17], 1, v[16:17]
	s_waitcnt lgkmcnt(0)
	v_mov_b32_e32 v18, s13
	v_add_co_u32_e64 v16, s[6:7], s12, v16
	v_addc_co_u32_e64 v17, s[6:7], v18, v17, s[6:7]
	global_store_short_d16_hi v[16:17], v14, off
	s_or_b64 exec, exec, s[8:9]
	s_and_saveexec_b64 s[8:9], s[0:1]
	s_cbranch_execz .LBB138_52
.LBB138_79:
	v_add_u32_e32 v16, v15, v9
	v_mov_b32_e32 v17, 0
	v_lshlrev_b64 v[16:17], 1, v[16:17]
	s_waitcnt lgkmcnt(0)
	v_mov_b32_e32 v14, s13
	v_add_co_u32_e64 v16, s[6:7], s12, v16
	v_addc_co_u32_e64 v17, s[6:7], v14, v17, s[6:7]
	global_store_short v[16:17], v13, off
	s_or_b64 exec, exec, s[8:9]
	s_and_saveexec_b64 s[8:9], s[2:3]
	s_cbranch_execz .LBB138_53
.LBB138_80:
	v_add_u32_e32 v13, v15, v10
	v_mov_b32_e32 v14, 0
	v_lshlrev_b64 v[13:14], 1, v[13:14]
	s_waitcnt lgkmcnt(0)
	v_mov_b32_e32 v16, s13
	v_add_co_u32_e64 v13, s[6:7], s12, v13
	v_addc_co_u32_e64 v14, s[6:7], v16, v14, s[6:7]
	global_store_short v[13:14], v12, off
	s_or_b64 exec, exec, s[8:9]
	s_and_saveexec_b64 s[8:9], s[4:5]
	s_cbranch_execnz .LBB138_54
	s_branch .LBB138_55
.LBB138_81:
	v_add_u32_e32 v12, v7, v8
	v_mov_b32_e32 v13, 0
	v_lshlrev_b64 v[12:13], 1, v[12:13]
	s_waitcnt lgkmcnt(0)
	v_mov_b32_e32 v14, s13
	v_add_co_u32_e64 v12, s[6:7], s12, v12
	v_addc_co_u32_e64 v13, s[6:7], v14, v13, s[6:7]
	global_store_short v[12:13], v3, off
	s_or_b64 exec, exec, s[8:9]
	s_and_saveexec_b64 s[8:9], s[0:1]
	s_cbranch_execz .LBB138_58
.LBB138_82:
	v_add_u32_e32 v12, v7, v9
	v_mov_b32_e32 v13, 0
	v_lshlrev_b64 v[12:13], 1, v[12:13]
	s_waitcnt lgkmcnt(0)
	v_mov_b32_e32 v14, s13
	v_add_co_u32_e64 v12, s[6:7], s12, v12
	v_addc_co_u32_e64 v13, s[6:7], v14, v13, s[6:7]
	global_store_short v[12:13], v6, off
	s_or_b64 exec, exec, s[8:9]
	s_and_saveexec_b64 s[8:9], s[2:3]
	s_cbranch_execz .LBB138_59
.LBB138_83:
	v_add_u32_e32 v12, v7, v10
	v_mov_b32_e32 v13, 0
	v_lshlrev_b64 v[12:13], 1, v[12:13]
	s_waitcnt lgkmcnt(0)
	v_mov_b32_e32 v6, s13
	v_add_co_u32_e64 v12, s[6:7], s12, v12
	v_addc_co_u32_e64 v13, s[6:7], v6, v13, s[6:7]
	global_store_short v[12:13], v5, off
	s_or_b64 exec, exec, s[8:9]
	s_and_saveexec_b64 s[8:9], s[4:5]
	s_cbranch_execnz .LBB138_60
	s_branch .LBB138_61
.LBB138_84:
	v_add_u32_e32 v5, v4, v8
	v_mov_b32_e32 v6, 0
	v_lshlrev_b64 v[5:6], 1, v[5:6]
	s_waitcnt lgkmcnt(0)
	v_mov_b32_e32 v7, s13
	v_add_co_u32_e32 v5, vcc, s12, v5
	v_addc_co_u32_e32 v6, vcc, v7, v6, vcc
	global_store_short_d16_hi v[5:6], v3, off
	s_or_b64 exec, exec, s[6:7]
	s_and_saveexec_b64 s[6:7], s[0:1]
	s_cbranch_execz .LBB138_64
.LBB138_85:
	v_add_u32_e32 v5, v4, v9
	v_mov_b32_e32 v6, 0
	v_lshlrev_b64 v[5:6], 1, v[5:6]
	s_waitcnt lgkmcnt(0)
	v_mov_b32_e32 v3, s13
	v_add_co_u32_e32 v5, vcc, s12, v5
	v_addc_co_u32_e32 v6, vcc, v3, v6, vcc
	global_store_short v[5:6], v2, off
	s_or_b64 exec, exec, s[6:7]
	s_and_saveexec_b64 s[0:1], s[2:3]
	s_cbranch_execz .LBB138_65
.LBB138_86:
	v_add_u32_e32 v2, v4, v10
	v_mov_b32_e32 v3, 0
	v_lshlrev_b64 v[2:3], 1, v[2:3]
	s_waitcnt lgkmcnt(0)
	v_mov_b32_e32 v5, s13
	v_add_co_u32_e32 v2, vcc, s12, v2
	v_addc_co_u32_e32 v3, vcc, v5, v3, vcc
	global_store_short v[2:3], v1, off
	s_or_b64 exec, exec, s[0:1]
	s_and_b64 exec, exec, s[4:5]
	s_cbranch_execz .LBB138_15
.LBB138_87:
	v_add_u32_e32 v1, v4, v11
	v_mov_b32_e32 v2, 0
	v_lshlrev_b64 v[1:2], 1, v[1:2]
	s_waitcnt lgkmcnt(0)
	v_mov_b32_e32 v3, s13
	v_add_co_u32_e32 v1, vcc, s12, v1
	v_addc_co_u32_e32 v2, vcc, v3, v2, vcc
	global_store_short v[1:2], v0, off
	s_endpgm
	.section	.rodata,"a",@progbits
	.p2align	6, 0x0
	.amdhsa_kernel _ZL12mul_mat_q4_0IN3c104HalfELb1EEvPKvS3_PT_iiiii
		.amdhsa_group_segment_fixed_size 30336
		.amdhsa_private_segment_fixed_size 200
		.amdhsa_kernarg_size 44
		.amdhsa_user_sgpr_count 6
		.amdhsa_user_sgpr_private_segment_buffer 1
		.amdhsa_user_sgpr_dispatch_ptr 0
		.amdhsa_user_sgpr_queue_ptr 0
		.amdhsa_user_sgpr_kernarg_segment_ptr 1
		.amdhsa_user_sgpr_dispatch_id 0
		.amdhsa_user_sgpr_flat_scratch_init 0
		.amdhsa_user_sgpr_private_segment_size 0
		.amdhsa_uses_dynamic_stack 0
		.amdhsa_system_sgpr_private_segment_wavefront_offset 1
		.amdhsa_system_sgpr_workgroup_id_x 1
		.amdhsa_system_sgpr_workgroup_id_y 1
		.amdhsa_system_sgpr_workgroup_id_z 0
		.amdhsa_system_sgpr_workgroup_info 0
		.amdhsa_system_vgpr_workitem_id 1
		.amdhsa_next_free_vgpr 128
		.amdhsa_next_free_sgpr 98
		.amdhsa_reserve_vcc 1
		.amdhsa_reserve_flat_scratch 0
		.amdhsa_float_round_mode_32 0
		.amdhsa_float_round_mode_16_64 0
		.amdhsa_float_denorm_mode_32 3
		.amdhsa_float_denorm_mode_16_64 3
		.amdhsa_dx10_clamp 1
		.amdhsa_ieee_mode 1
		.amdhsa_fp16_overflow 0
		.amdhsa_exception_fp_ieee_invalid_op 0
		.amdhsa_exception_fp_denorm_src 0
		.amdhsa_exception_fp_ieee_div_zero 0
		.amdhsa_exception_fp_ieee_overflow 0
		.amdhsa_exception_fp_ieee_underflow 0
		.amdhsa_exception_fp_ieee_inexact 0
		.amdhsa_exception_int_div_zero 0
	.end_amdhsa_kernel
	.section	.text._ZL12mul_mat_q4_0IN3c104HalfELb1EEvPKvS3_PT_iiiii,"axG",@progbits,_ZL12mul_mat_q4_0IN3c104HalfELb1EEvPKvS3_PT_iiiii,comdat
.Lfunc_end138:
	.size	_ZL12mul_mat_q4_0IN3c104HalfELb1EEvPKvS3_PT_iiiii, .Lfunc_end138-_ZL12mul_mat_q4_0IN3c104HalfELb1EEvPKvS3_PT_iiiii
                                        ; -- End function
	.set _ZL12mul_mat_q4_0IN3c104HalfELb1EEvPKvS3_PT_iiiii.num_vgpr, 128
	.set _ZL12mul_mat_q4_0IN3c104HalfELb1EEvPKvS3_PT_iiiii.num_agpr, 0
	.set _ZL12mul_mat_q4_0IN3c104HalfELb1EEvPKvS3_PT_iiiii.numbered_sgpr, 24
	.set _ZL12mul_mat_q4_0IN3c104HalfELb1EEvPKvS3_PT_iiiii.num_named_barrier, 0
	.set _ZL12mul_mat_q4_0IN3c104HalfELb1EEvPKvS3_PT_iiiii.private_seg_size, 200
	.set _ZL12mul_mat_q4_0IN3c104HalfELb1EEvPKvS3_PT_iiiii.uses_vcc, 1
	.set _ZL12mul_mat_q4_0IN3c104HalfELb1EEvPKvS3_PT_iiiii.uses_flat_scratch, 0
	.set _ZL12mul_mat_q4_0IN3c104HalfELb1EEvPKvS3_PT_iiiii.has_dyn_sized_stack, 0
	.set _ZL12mul_mat_q4_0IN3c104HalfELb1EEvPKvS3_PT_iiiii.has_recursion, 0
	.set _ZL12mul_mat_q4_0IN3c104HalfELb1EEvPKvS3_PT_iiiii.has_indirect_call, 0
	.section	.AMDGPU.csdata,"",@progbits
; Kernel info:
; codeLenInByte = 13716
; TotalNumSgprs: 28
; NumVgprs: 128
; ScratchSize: 200
; MemoryBound: 0
; FloatMode: 240
; IeeeMode: 1
; LDSByteSize: 30336 bytes/workgroup (compile time only)
; SGPRBlocks: 12
; VGPRBlocks: 31
; NumSGPRsForWavesPerEU: 102
; NumVGPRsForWavesPerEU: 128
; Occupancy: 2
; WaveLimiterHint : 0
; COMPUTE_PGM_RSRC2:SCRATCH_EN: 1
; COMPUTE_PGM_RSRC2:USER_SGPR: 6
; COMPUTE_PGM_RSRC2:TRAP_HANDLER: 0
; COMPUTE_PGM_RSRC2:TGID_X_EN: 1
; COMPUTE_PGM_RSRC2:TGID_Y_EN: 1
; COMPUTE_PGM_RSRC2:TGID_Z_EN: 0
; COMPUTE_PGM_RSRC2:TIDIG_COMP_CNT: 1
	.section	.text._ZL12mul_mat_q4_1IN3c104HalfELb0EEvPKvS3_PT_iiiii,"axG",@progbits,_ZL12mul_mat_q4_1IN3c104HalfELb0EEvPKvS3_PT_iiiii,comdat
	.globl	_ZL12mul_mat_q4_1IN3c104HalfELb0EEvPKvS3_PT_iiiii ; -- Begin function _ZL12mul_mat_q4_1IN3c104HalfELb0EEvPKvS3_PT_iiiii
	.p2align	8
	.type	_ZL12mul_mat_q4_1IN3c104HalfELb0EEvPKvS3_PT_iiiii,@function
_ZL12mul_mat_q4_1IN3c104HalfELb0EEvPKvS3_PT_iiiii: ; @_ZL12mul_mat_q4_1IN3c104HalfELb0EEvPKvS3_PT_iiiii
; %bb.0:
	s_mov_b64 s[22:23], s[2:3]
	s_mov_b64 s[20:21], s[0:1]
	s_add_u32 s20, s20, s8
	s_load_dword s14, s[4:5], 0x18
	s_load_dwordx4 s[8:11], s[4:5], 0x20
	s_addc_u32 s21, s21, 0
	s_waitcnt lgkmcnt(0)
	s_lshl_b32 s11, s7, 6
	v_add_u32_e32 v47, s11, v1
	s_cmp_gt_i32 s14, 31
	s_cbranch_scc1 .LBB139_2
; %bb.1:
	v_add_u32_e32 v33, s11, v1
	s_mov_b64 s[0:1], 0
	s_branch .LBB139_3
.LBB139_2:
	s_mov_b64 s[0:1], -1
                                        ; implicit-def: $vgpr33
.LBB139_3:
	s_load_dwordx2 s[12:13], s[4:5], 0x10
	s_lshl_b32 s6, s6, 7
	v_mov_b32_e32 v37, 0
	s_andn2_b64 vcc, exec, s[0:1]
	v_mov_b32_e32 v5, 0
	v_mov_b32_e32 v9, 0
	;; [unrolled: 1-line block ×31, first 2 shown]
	s_cbranch_vccnz .LBB139_14
; %bb.4:
	s_load_dwordx4 s[0:3], s[4:5], 0x0
	s_ashr_i32 s4, s14, 31
	s_lshr_b32 s4, s4, 27
	s_ashr_i32 s5, s9, 31
	s_add_i32 s14, s14, s4
	s_lshr_b32 s5, s5, 27
	s_ashr_i32 s4, s14, 5
	s_add_i32 s5, s9, s5
	s_ashr_i32 s16, s5, 5
	s_mul_i32 s5, s4, s6
	v_mul_lo_u32 v19, s4, v1
	s_mul_hi_i32 s7, s5, 20
	s_mul_i32 s5, s5, 20
	s_waitcnt lgkmcnt(0)
	s_add_u32 s5, s0, s5
	s_addc_u32 s7, s1, s7
	s_lshl_b32 s1, s4, 3
	v_add_u32_e32 v21, s1, v19
	v_add_u32_e32 v22, s1, v21
	;; [unrolled: 1-line block ×13, first 2 shown]
	v_lshrrev_b32_e32 v2, 3, v0
	v_add_u32_e32 v34, s1, v33
	v_and_b32_e32 v81, 7, v0
	v_lshl_add_u32 v6, v1, 2, v2
	v_add_u32_e32 v35, s1, v34
	v_and_b32_e32 v2, 0x7fc, v6
	v_lshlrev_b32_e32 v4, 2, v81
	s_movk_i32 s1, 0x6200
	v_add3_u32 v13, v2, v4, s1
	v_add_u32_e32 v2, 32, v6
	v_and_b32_e32 v5, 0xffc, v2
	v_lshlrev_b32_e32 v17, 5, v2
	v_add_u32_e32 v2, 64, v6
	v_add3_u32 v15, v5, v4, s1
	v_and_b32_e32 v5, 0xffc, v2
	v_add3_u32 v36, v5, v4, s1
	v_add_u32_e32 v5, 0x60, v6
	v_lshlrev_b32_e32 v3, 2, v0
	s_movk_i32 s0, 0x84
	v_lshlrev_b32_e32 v37, 5, v2
	v_and_b32_e32 v2, 0xffc, v5
	v_lshrrev_b32_e32 v79, 2, v0
	v_and_b32_e32 v18, 12, v3
	v_mad_u32_u24 v20, v1, s0, v3
	v_add3_u32 v42, v2, v4, s1
	s_add_i32 s1, s8, -1
	v_and_b32_e32 v4, 31, v0
	v_and_b32_e32 v44, 28, v3
	v_mov_b32_e32 v3, 0x4200
	v_lshlrev_b32_e32 v43, 5, v5
	v_cvt_f64_i32_e32 v[48:49], s1
	v_lshl_or_b32 v50, v4, 2, v3
	v_lshl_add_u32 v3, v1, 3, v79
	v_cvt_f64_u32_e32 v[4:5], v47
	v_and_b32_e32 v10, 63, v3
	v_mul_lo_u32 v38, s4, v6
	v_lshlrev_b32_e32 v14, 5, v6
	v_or_b32_e32 v6, s11, v10
	v_min_i32_e32 v11, s1, v6
	v_add_u32_e32 v6, 8, v47
	v_cvt_f64_u32_e32 v[6:7], v6
	v_min_f64 v[4:5], v[4:5], v[48:49]
	v_add_u32_e32 v8, 16, v47
	v_cvt_f64_u32_e32 v[8:9], v8
	v_min_f64 v[6:7], v[6:7], v[48:49]
	s_andn2_b32 s14, s14, 31
	v_add_u32_e32 v39, s14, v38
	v_add_u32_e32 v40, s14, v39
	v_and_b32_e32 v3, 3, v0
	v_add_u32_e32 v41, s14, v40
	v_mad_u64_u32 v[11:12], s[14:15], v11, s16, v[3:4]
	v_min_f64 v[8:9], v[8:9], v[48:49]
	v_cvt_i32_f64_e32 v4, v[4:5]
	v_lshlrev_b32_e32 v3, 2, v3
	v_lshl_or_b32 v3, v10, 4, v3
	v_add_u32_e32 v2, 0x7280, v3
	buffer_store_dword v11, off, s[20:23], 0 offset:52 ; 4-byte Folded Spill
	s_nop 0
	buffer_store_dword v12, off, s[20:23], 0 offset:56 ; 4-byte Folded Spill
	buffer_store_dword v2, off, s[20:23], 0 ; 4-byte Folded Spill
	v_cvt_i32_f64_e32 v3, v[6:7]
	v_mul_lo_u32 v2, s16, v4
	v_cvt_i32_f64_e32 v4, v[8:9]
	v_add_u32_e32 v9, 48, v47
	v_add_u32_e32 v11, 56, v47
	buffer_store_dword v2, off, s[20:23], 0 offset:4 ; 4-byte Folded Spill
	v_mul_lo_u32 v2, s16, v3
	v_add_u32_e32 v3, 24, v47
	v_cvt_f64_u32_e32 v[9:10], v9
	v_cvt_f64_u32_e32 v[11:12], v11
	buffer_store_dword v2, off, s[20:23], 0 offset:8 ; 4-byte Folded Spill
	v_mul_lo_u32 v2, s16, v4
	v_cvt_f64_u32_e32 v[3:4], v3
	v_add_u32_e32 v5, 32, v47
	v_cvt_f64_u32_e32 v[5:6], v5
	v_add_u32_e32 v7, 40, v47
	v_min_f64 v[3:4], v[3:4], v[48:49]
	buffer_store_dword v47, off, s[20:23], 0 offset:108 ; 4-byte Folded Spill
	v_cvt_f64_u32_e32 v[7:8], v7
	v_min_f64 v[5:6], v[5:6], v[48:49]
	buffer_store_dword v2, off, s[20:23], 0 offset:12 ; 4-byte Folded Spill
	v_lshlrev_b32_e32 v51, 7, v1
	v_min_f64 v[7:8], v[7:8], v[48:49]
	buffer_store_dword v1, off, s[20:23], 0 offset:104 ; 4-byte Folded Spill
	v_cvt_i32_f64_e32 v47, v[3:4]
	v_min_f64 v[3:4], v[9:10], v[48:49]
	v_min_f64 v[9:10], v[11:12], v[48:49]
	v_cvt_i32_f64_e32 v5, v[5:6]
	v_mul_lo_u32 v2, s16, v47
	v_add_co_u32_e32 v11, vcc, s2, v44
	v_cvt_i32_f64_e32 v7, v[7:8]
	buffer_store_dword v2, off, s[20:23], 0 offset:16 ; 4-byte Folded Spill
	v_cvt_i32_f64_e32 v3, v[3:4]
	v_cvt_i32_f64_e32 v4, v[9:10]
	v_mul_lo_u32 v2, s16, v5
	v_add_u32_e32 v8, 0x60, v0
	v_and_b32_e32 v8, 0x1fc, v8
	v_mul_lo_u32 v4, s16, v4
	buffer_store_dword v2, off, s[20:23], 0 offset:20 ; 4-byte Folded Spill
	v_mul_lo_u32 v2, s16, v7
	v_add_u32_e32 v7, 64, v0
	buffer_store_dword v4, off, s[20:23], 0 offset:32 ; 4-byte Folded Spill
	v_add_u32_e32 v4, 32, v0
	v_lshrrev_b32_e32 v9, 3, v4
	buffer_store_dword v9, off, s[20:23], 0 offset:80 ; 4-byte Folded Spill
	v_mov_b32_e32 v9, s3
	v_addc_co_u32_e32 v12, vcc, 0, v9, vcc
	v_lshlrev_b32_e32 v9, 5, v0
	v_add_u32_e32 v8, v9, v8
	v_and_b32_e32 v7, 0x1fc, v7
	v_add_u32_e32 v10, 0x6e00, v8
	v_add_u32_e32 v7, v9, v7
	v_and_b32_e32 v4, 0x1fc, v4
	buffer_store_dword v10, off, s[20:23], 0 offset:64 ; 4-byte Folded Spill
	v_add_u32_e32 v10, 0x6a00, v7
	v_add_u32_e32 v4, v9, v4
	buffer_store_dword v10, off, s[20:23], 0 offset:68 ; 4-byte Folded Spill
	v_add_u32_e32 v10, 0x6600, v4
	buffer_store_dword v10, off, s[20:23], 0 offset:72 ; 4-byte Folded Spill
	v_and_b32_e32 v10, 0xfc, v0
	v_add_u32_e32 v9, v9, v10
	v_add_u32_e32 v10, 0x6200, v9
	buffer_store_dword v10, off, s[20:23], 0 offset:76 ; 4-byte Folded Spill
	v_mov_b32_e32 v10, 0x7280
	v_lshl_add_u32 v60, v1, 4, v10
	v_add_u32_e32 v1, 0x4200, v51
	buffer_store_dword v1, off, s[20:23], 0 offset:36 ; 4-byte Folded Spill
	v_mad_u32_u24 v1, v0, s0, 64
	v_mul_lo_u32 v3, s16, v3
	buffer_store_dword v1, off, s[20:23], 0 offset:84 ; 4-byte Folded Spill
	v_add_u32_e32 v1, 0x6e10, v8
	buffer_store_dword v1, off, s[20:23], 0 offset:88 ; 4-byte Folded Spill
	v_add_u32_e32 v1, 0x6a10, v7
	buffer_store_dword v1, off, s[20:23], 0 offset:92 ; 4-byte Folded Spill
	v_add_u32_e32 v1, 0x6610, v4
	v_add_u32_e32 v45, 0x400, v51
	buffer_store_dword v1, off, s[20:23], 0 offset:96 ; 4-byte Folded Spill
	v_add_u32_e32 v1, 0x6210, v9
	v_add_u32_e32 v46, 0x800, v51
	;; [unrolled: 1-line block ×4, first 2 shown]
	buffer_store_dword v2, off, s[20:23], 0 offset:24 ; 4-byte Folded Spill
	v_add_u32_e32 v2, 0x1400, v51
	buffer_store_dword v3, off, s[20:23], 0 offset:28 ; 4-byte Folded Spill
	v_add_u32_e32 v3, 0x1800, v51
	v_add_u32_e32 v47, 0x1c00, v51
	buffer_store_dword v1, off, s[20:23], 0 offset:100 ; 4-byte Folded Spill
	v_add_u32_e32 v1, v50, v45
	v_mov_b32_e32 v16, 0
	s_add_i32 s9, s4, 3
	s_mov_b32 s14, 0
	v_add_u32_e32 v71, v13, v14
	v_add_u32_e32 v73, v15, v17
	;; [unrolled: 1-line block ×4, first 2 shown]
	buffer_store_dword v1, off, s[20:23], 0 offset:40 ; 4-byte Folded Spill
	v_add_u32_e32 v1, v50, v46
	v_add_u32_e32 v83, v50, v6
	;; [unrolled: 1-line block ×6, first 2 shown]
	v_mov_b32_e32 v84, 0
	v_mov_b32_e32 v78, 0
	v_mov_b32_e32 v72, 0
	v_mov_b32_e32 v68, 0
	v_mov_b32_e32 v63, 0
	v_mov_b32_e32 v59, 0
	v_mov_b32_e32 v57, 0
	v_mov_b32_e32 v98, 0
	v_mov_b32_e32 v95, 0
	v_mov_b32_e32 v92, 0
	v_mov_b32_e32 v86, 0
	v_mov_b32_e32 v80, 0
	v_mov_b32_e32 v74, 0
	v_mov_b32_e32 v70, 0
	v_mov_b32_e32 v65, 0
	v_mov_b32_e32 v103, 0
	v_mov_b32_e32 v101, 0
	v_mov_b32_e32 v99, 0
	v_mov_b32_e32 v96, 0
	v_mov_b32_e32 v93, 0
	v_mov_b32_e32 v88, 0
	v_mov_b32_e32 v82, 0
	v_mov_b32_e32 v76, 0
	v_mov_b32_e32 v106, 0
	v_mov_b32_e32 v105, 0
	v_mov_b32_e32 v104, 0
	v_mov_b32_e32 v102, 0
	v_mov_b32_e32 v100, 0
	v_mov_b32_e32 v97, 0
	v_mov_b32_e32 v94, 0
	v_mov_b32_e32 v90, 0
	buffer_store_dword v51, off, s[20:23], 0 offset:60 ; 4-byte Folded Spill
	buffer_store_dword v1, off, s[20:23], 0 offset:44 ; 4-byte Folded Spill
	;; [unrolled: 1-line block ×3, first 2 shown]
	s_branch .LBB139_6
.LBB139_5:                              ;   in Loop: Header=BB139_6 Depth=1
	s_add_i32 s14, s14, 8
	s_add_i32 s9, s9, -8
	s_cmp_ge_i32 s14, s4
	s_cbranch_scc1 .LBB139_13
.LBB139_6:                              ; =>This Loop Header: Depth=1
                                        ;     Child Loop BB139_8 Depth 2
                                        ;     Child Loop BB139_11 Depth 2
	s_mul_i32 s0, s14, 20
	s_mul_hi_u32 s1, s14, 20
	s_add_u32 s0, s5, s0
	s_addc_u32 s1, s7, s1
	v_mad_u64_u32 v[2:3], s[16:17], v79, 20, s[0:1]
	v_mad_u64_u32 v[52:53], s[0:1], v81, 20, s[0:1]
	;; [unrolled: 1-line block ×4, first 2 shown]
	v_add_co_u32_e32 v4, vcc, v4, v18
	v_mad_u64_u32 v[8:9], s[16:17], v22, 20, v[2:3]
	v_addc_co_u32_e32 v5, vcc, 0, v5, vcc
	v_add_co_u32_e32 v6, vcc, v6, v18
	v_addc_co_u32_e32 v7, vcc, 0, v7, vcc
	v_mad_u64_u32 v[13:14], s[16:17], v23, 20, v[2:3]
	v_add_co_u32_e32 v36, vcc, v8, v18
	v_addc_co_u32_e32 v37, vcc, 0, v9, vcc
	v_mad_u64_u32 v[8:9], s[16:17], v24, 20, v[2:3]
	;; [unrolled: 3-line block ×4, first 2 shown]
	v_add_co_u32_e32 v42, vcc, v42, v18
	v_mad_u64_u32 v[46:47], s[16:17], v27, 20, v[2:3]
	v_addc_co_u32_e32 v43, vcc, 0, v43, vcc
	v_add_co_u32_e32 v48, vcc, v8, v18
	v_addc_co_u32_e32 v49, vcc, 0, v9, vcc
	v_add_co_u32_e32 v46, vcc, v46, v18
	v_addc_co_u32_e32 v47, vcc, 0, v47, vcc
	global_load_dword v9, v[4:5], off offset:4
	global_load_dword v8, v[6:7], off offset:4
	s_nop 0
	global_load_dword v7, v[36:37], off offset:4
	global_load_dword v6, v[13:14], off offset:4
	;; [unrolled: 1-line block ×6, first 2 shown]
	v_mad_u64_u32 v[13:14], s[16:17], v28, 20, v[2:3]
	v_mad_u64_u32 v[36:37], s[16:17], v29, 20, v[2:3]
	v_add_co_u32_e32 v13, vcc, v13, v18
	v_mad_u64_u32 v[42:43], s[16:17], v30, 20, v[2:3]
	v_addc_co_u32_e32 v14, vcc, 0, v14, vcc
	v_add_co_u32_e32 v36, vcc, v36, v18
	v_mad_u64_u32 v[44:45], s[16:17], v31, 20, v[2:3]
	v_addc_co_u32_e32 v37, vcc, 0, v37, vcc
	;; [unrolled: 3-line block ×6, first 2 shown]
	v_add_co_u32_e32 v50, vcc, v50, v18
	v_addc_co_u32_e32 v51, vcc, 0, v51, vcc
	v_add_co_u32_e32 v2, vcc, v2, v18
	v_addc_co_u32_e32 v3, vcc, 0, v3, vcc
	global_load_dword v15, v[13:14], off offset:4
	global_load_dword v17, v[36:37], off offset:4
	;; [unrolled: 1-line block ×3, first 2 shown]
	s_nop 0
	global_load_dword v44, v[44:45], off offset:4
	s_nop 0
	global_load_dword v45, v[46:47], off offset:4
	;; [unrolled: 2-line block ×3, first 2 shown]
	global_load_dword v47, v[50:51], off offset:4
	s_nop 0
	global_load_dword v48, v[2:3], off offset:4
	v_mad_u64_u32 v[2:3], s[0:1], v38, 20, v[52:53]
	v_mad_u64_u32 v[13:14], s[0:1], v39, 20, v[52:53]
	;; [unrolled: 1-line block ×4, first 2 shown]
	global_load_dword v2, v[2:3], off
	s_nop 0
	global_load_dword v3, v[13:14], off
	s_nop 0
	global_load_dword v13, v[36:37], off
	global_load_dword v14, v[42:43], off
	s_cmp_gt_u32 s9, 3
	s_waitcnt vmcnt(19)
	ds_write_b32 v20, v9
	v_add_u32_e32 v9, 0x420, v20
	s_waitcnt vmcnt(18)
	ds_write_b32 v9, v8
	v_add_u32_e32 v8, 0x840, v20
	;; [unrolled: 3-line block ×15, first 2 shown]
	s_waitcnt vmcnt(4)
	ds_write_b32 v1, v48
	s_waitcnt vmcnt(3)
	ds_write_b32 v71, v2
	;; [unrolled: 2-line block ×5, first 2 shown]
	s_cbranch_scc0 .LBB139_5
; %bb.7:                                ;   in Loop: Header=BB139_6 Depth=1
	buffer_load_dword v1, off, s[20:23], 0 offset:52 ; 4-byte Folded Reload
	buffer_load_dword v2, off, s[20:23], 0 offset:56 ; 4-byte Folded Reload
	v_mov_b32_e32 v110, v60
	v_mul_u32_u24_e32 v115, 0x84, v0
	buffer_load_dword v3, off, s[20:23], 0 offset:8 ; 4-byte Folded Reload
	buffer_load_dword v5, off, s[20:23], 0 offset:12 ; 4-byte Folded Reload
	;; [unrolled: 1-line block ×6, first 2 shown]
	s_waitcnt vmcnt(7)
	v_add_u32_e32 v107, s14, v1
	v_lshrrev_b32_e32 v1, 3, v0
	v_add_u32_e32 v15, s14, v1
	buffer_load_dword v1, off, s[20:23], 0 offset:4 ; 4-byte Folded Reload
	v_mad_u64_u32 v[42:43], s[0:1], v107, 36, s[2:3]
	s_waitcnt vmcnt(6)
	v_add_u32_e32 v3, v15, v3
	s_waitcnt vmcnt(5)
	v_add_u32_e32 v5, v15, v5
	;; [unrolled: 2-line block ×4, first 2 shown]
	v_add_u32_e32 v9, v15, v9
	v_add_u32_e32 v13, v15, v13
	v_mad_i64_i32 v[36:37], s[0:1], v17, 36, v[11:12]
	buffer_load_dword v17, off, s[20:23], 0 offset:32 ; 4-byte Folded Reload
	v_mad_i64_i32 v[3:4], s[0:1], v3, 36, v[11:12]
	v_mad_i64_i32 v[5:6], s[0:1], v5, 36, v[11:12]
	;; [unrolled: 1-line block ×5, first 2 shown]
	s_waitcnt vmcnt(1)
	v_add_u32_e32 v1, v15, v1
	v_mad_i64_i32 v[1:2], s[0:1], v1, 36, v[11:12]
	s_waitcnt vmcnt(0)
	v_add_u32_e32 v15, v15, v17
	v_mad_i64_i32 v[44:45], s[0:1], v15, 36, v[11:12]
	global_load_dword v15, v[42:43], off
	s_nop 0
	global_load_dword v1, v[1:2], off offset:4
	s_nop 0
	global_load_dword v2, v[3:4], off offset:4
	;; [unrolled: 2-line block ×3, first 2 shown]
	global_load_dword v4, v[7:8], off offset:4
	s_nop 0
	global_load_dword v5, v[9:10], off offset:4
	global_load_dword v6, v[13:14], off offset:4
	;; [unrolled: 1-line block ×4, first 2 shown]
	s_nop 0
	buffer_load_dword v9, off, s[20:23], 0 offset:48 ; 4-byte Folded Reload
	buffer_load_dword v10, off, s[20:23], 0 offset:60 ; 4-byte Folded Reload
	;; [unrolled: 1-line block ×7, first 2 shown]
	s_mov_b32 s0, -4
	s_waitcnt vmcnt(5)
	v_add_u32_e32 v108, v9, v10
	buffer_load_dword v9, off, s[20:23], 0  ; 4-byte Folded Reload
	s_waitcnt vmcnt(0)
	ds_write_b32 v9, v15
	ds_write_b32 v108, v1
	buffer_load_dword v1, off, s[20:23], 0 offset:40 ; 4-byte Folded Reload
	s_waitcnt vmcnt(0)
	ds_write_b32 v1, v2
	buffer_load_dword v1, off, s[20:23], 0 offset:44 ; 4-byte Folded Reload
	s_waitcnt vmcnt(0)
	ds_write_b32 v1, v3
	ds_write_b32 v83, v4
	;; [unrolled: 1-line block ×6, first 2 shown]
	s_waitcnt lgkmcnt(0)
	s_barrier
.LBB139_8:                              ;   Parent Loop BB139_6 Depth=1
                                        ; =>  This Inner Loop Header: Depth=2
	ds_read_b128 v[2:5], v109
	ds_read_b128 v[6:9], v109 offset:16
	ds_read2_b32 v[13:14], v110 offset1:32
	ds_read_b32 v116, v111
	ds_read2_b32 v[36:37], v115 offset1:1
	s_add_i32 s0, s0, 4
	v_add_u32_e32 v111, 4, v111
	s_cmp_lt_u32 s0, 12
	s_waitcnt lgkmcnt(1)
	v_pk_mul_f16 v49, v116, v14
	s_waitcnt lgkmcnt(0)
	v_and_b32_e32 v117, 0xf0f0f0f, v36
	v_lshrrev_b32_e32 v1, 4, v36
	v_and_b32_e32 v119, 0xf0f0f0f, v37
	v_lshrrev_b32_e32 v10, 4, v37
	ds_read2_b32 v[36:37], v115 offset0:2 offset1:3
	v_and_b32_e32 v118, 0xf0f0f0f, v1
	v_dot4_i32_i8 v1, v117, v2, 0
	v_dot4_i32_i8 v1, v118, v6, v1
	v_and_b32_e32 v120, 0xf0f0f0f, v10
	v_dot4_i32_i8 v1, v119, v3, v1
	v_dot4_i32_i8 v1, v120, v7, v1
	s_waitcnt lgkmcnt(0)
	v_and_b32_e32 v121, 0xf0f0f0f, v36
	v_lshrrev_b32_e32 v10, 4, v36
	v_and_b32_e32 v122, 0xf0f0f0f, v10
	v_dot4_i32_i8 v1, v121, v4, v1
	v_dot4_i32_i8 v1, v122, v8, v1
	v_and_b32_e32 v123, 0xf0f0f0f, v37
	v_lshrrev_b32_e32 v10, 4, v37
	v_and_b32_e32 v124, 0xf0f0f0f, v10
	v_dot4_i32_i8 v1, v123, v5, v1
	v_dot4_i32_i8 v1, v124, v9, v1
	v_cvt_f32_i32_e32 v1, v1
	v_pk_mul_f16 v10, v13, v116
	v_fma_mix_f32 v1, v10, v1, v10 op_sel:[0,0,1] op_sel_hi:[1,0,1]
	v_add_f32_e32 v16, v16, v1
	v_add_u32_e32 v1, 0x1080, v115
	ds_read_b32 v126, v112
	ds_read2_b32 v[42:43], v1 offset1:1
	v_add_u32_e32 v112, 4, v112
	s_waitcnt lgkmcnt(0)
	v_lshrrev_b32_e32 v10, 4, v43
	v_and_b32_e32 v62, 0xf0f0f0f, v10
	v_add_u32_e32 v10, 0x1088, v115
	v_and_b32_e32 v127, 0xf0f0f0f, v42
	v_lshrrev_b32_e32 v1, 4, v42
	v_and_b32_e32 v53, 0xf0f0f0f, v43
	ds_read2_b32 v[42:43], v10 offset1:1
	v_and_b32_e32 v37, 0xf0f0f0f, v1
	v_dot4_i32_i8 v1, v127, v2, 0
	v_dot4_i32_i8 v1, v37, v6, v1
	;; [unrolled: 1-line block ×4, first 2 shown]
	s_waitcnt lgkmcnt(0)
	v_and_b32_e32 v64, 0xf0f0f0f, v42
	v_lshrrev_b32_e32 v10, 4, v42
	v_and_b32_e32 v66, 0xf0f0f0f, v10
	v_dot4_i32_i8 v1, v64, v4, v1
	v_dot4_i32_i8 v1, v66, v8, v1
	v_and_b32_e32 v67, 0xf0f0f0f, v43
	v_lshrrev_b32_e32 v10, 4, v43
	v_and_b32_e32 v69, 0xf0f0f0f, v10
	v_dot4_i32_i8 v1, v67, v5, v1
	v_dot4_i32_i8 v1, v69, v9, v1
	v_cvt_f32_i32_e32 v1, v1
	v_pk_mul_f16 v10, v13, v126
	v_fma_mix_f32 v1, v10, v1, v10 op_sel:[0,0,1] op_sel_hi:[1,0,1]
	v_add_f32_e32 v98, v98, v1
	v_add_u32_e32 v1, 0x2100, v115
	ds_read_b32 v15, v113
	ds_read2_b32 v[42:43], v1 offset1:1
	v_add_u32_e32 v113, 4, v113
	s_waitcnt lgkmcnt(0)
	v_and_b32_e32 v45, 0xf0f0f0f, v42
	v_lshrrev_b32_e32 v1, 4, v42
	v_and_b32_e32 v1, 0xf0f0f0f, v1
	v_dot4_i32_i8 v10, v45, v2, 0
	v_dot4_i32_i8 v10, v1, v6, v10
	v_and_b32_e32 v61, 0xf0f0f0f, v43
	v_lshrrev_b32_e32 v17, 4, v43
	v_and_b32_e32 v17, 0xf0f0f0f, v17
	v_dot4_i32_i8 v10, v61, v3, v10
	v_dot4_i32_i8 v44, v17, v7, v10
	v_add_u32_e32 v10, 0x2108, v115
	ds_read2_b32 v[42:43], v10 offset1:1
	s_waitcnt lgkmcnt(0)
	v_and_b32_e32 v36, 0xf0f0f0f, v42
	v_lshrrev_b32_e32 v10, 4, v42
	v_and_b32_e32 v10, 0xf0f0f0f, v10
	v_dot4_i32_i8 v42, v36, v4, v44
	v_dot4_i32_i8 v42, v10, v8, v42
	v_and_b32_e32 v54, 0xf0f0f0f, v43
	v_lshrrev_b32_e32 v43, 4, v43
	v_and_b32_e32 v55, 0xf0f0f0f, v43
	v_dot4_i32_i8 v42, v54, v5, v42
	v_dot4_i32_i8 v42, v55, v9, v42
	v_cvt_f32_i32_e32 v42, v42
	v_pk_mul_f16 v43, v13, v15
	v_fma_mix_f32 v42, v43, v42, v43 op_sel:[0,0,1] op_sel_hi:[1,0,1]
	v_add_f32_e32 v103, v103, v42
	v_add_u32_e32 v42, 0x3180, v115
	ds_read_b32 v125, v114
	ds_read2_b32 v[43:44], v42 offset1:1
	v_add_u32_e32 v114, 4, v114
	s_waitcnt lgkmcnt(0)
	v_and_b32_e32 v46, 0xf0f0f0f, v43
	v_lshrrev_b32_e32 v42, 4, v43
	v_and_b32_e32 v47, 0xf0f0f0f, v42
	v_dot4_i32_i8 v2, v46, v2, 0
	v_dot4_i32_i8 v2, v47, v6, v2
	v_and_b32_e32 v43, 0xf0f0f0f, v44
	v_lshrrev_b32_e32 v6, 4, v44
	v_and_b32_e32 v56, 0xf0f0f0f, v6
	v_dot4_i32_i8 v2, v43, v3, v2
	v_dot4_i32_i8 v6, v56, v7, v2
	v_add_u32_e32 v2, 0x3188, v115
	ds_read2_b32 v[2:3], v2 offset1:1
	v_add_u32_e32 v115, 16, v115
	s_waitcnt lgkmcnt(0)
	v_and_b32_e32 v48, 0xf0f0f0f, v2
	v_lshrrev_b32_e32 v2, 4, v2
	v_and_b32_e32 v44, 0xf0f0f0f, v2
	v_dot4_i32_i8 v2, v48, v4, v6
	v_dot4_i32_i8 v2, v44, v8, v2
	v_and_b32_e32 v58, 0xf0f0f0f, v3
	v_lshrrev_b32_e32 v3, 4, v3
	v_and_b32_e32 v42, 0xf0f0f0f, v3
	v_dot4_i32_i8 v2, v58, v5, v2
	v_dot4_i32_i8 v2, v42, v9, v2
	v_cvt_f32_i32_e32 v2, v2
	v_pk_mul_f16 v3, v13, v125
	v_fma_mix_f32 v2, v3, v2, v3 op_sel:[0,0,1] op_sel_hi:[1,0,1]
	v_add_f32_e32 v106, v106, v2
	ds_read_b128 v[2:5], v109 offset:1024
	ds_read_b128 v[6:9], v109 offset:1040
	s_waitcnt lgkmcnt(1)
	v_dot4_i32_i8 v13, v117, v2, 0
	s_waitcnt lgkmcnt(0)
	v_dot4_i32_i8 v13, v118, v6, v13
	v_dot4_i32_i8 v13, v119, v3, v13
	;; [unrolled: 1-line block ×7, first 2 shown]
	v_cvt_f32_i32_e32 v13, v13
	v_fma_mix_f32 v13, v13, v49, v49 op_sel:[0,0,1] op_sel_hi:[0,1,1]
	v_add_f32_e32 v84, v84, v13
	v_dot4_i32_i8 v13, v127, v2, 0
	v_dot4_i32_i8 v13, v37, v6, v13
	;; [unrolled: 1-line block ×8, first 2 shown]
	v_cvt_f32_i32_e32 v13, v13
	v_pk_mul_f16 v49, v126, v14
	v_fma_mix_f32 v13, v13, v49, v49 op_sel:[0,0,1] op_sel_hi:[0,1,1]
	v_add_f32_e32 v95, v95, v13
	v_dot4_i32_i8 v13, v45, v2, 0
	v_dot4_i32_i8 v2, v46, v2, 0
	;; [unrolled: 1-line block ×16, first 2 shown]
	v_cvt_f32_i32_e32 v2, v2
	v_cvt_f32_i32_e32 v13, v13
	v_pk_mul_f16 v3, v125, v14
	v_pk_mul_f16 v49, v15, v14
	v_fma_mix_f32 v2, v2, v3, v3 op_sel:[0,0,1] op_sel_hi:[0,1,1]
	v_fma_mix_f32 v13, v13, v49, v49 op_sel:[0,0,1] op_sel_hi:[0,1,1]
	v_add_f32_e32 v105, v105, v2
	ds_read_b128 v[4:7], v109 offset:2048
	ds_read_b128 v[49:52], v109 offset:2064
	ds_read2_b32 v[2:3], v110 offset0:64 offset1:96
	v_add_f32_e32 v101, v101, v13
	s_waitcnt lgkmcnt(2)
	v_dot4_i32_i8 v8, v117, v4, 0
	s_waitcnt lgkmcnt(1)
	v_dot4_i32_i8 v8, v118, v49, v8
	v_dot4_i32_i8 v8, v119, v5, v8
	;; [unrolled: 1-line block ×7, first 2 shown]
	v_cvt_f32_i32_e32 v8, v8
	s_waitcnt lgkmcnt(0)
	v_pk_mul_f16 v9, v116, v2
	v_fma_mix_f32 v8, v8, v9, v9 op_sel:[0,0,1] op_sel_hi:[0,1,1]
	v_add_f32_e32 v78, v78, v8
	v_dot4_i32_i8 v8, v127, v4, 0
	v_dot4_i32_i8 v8, v37, v49, v8
	;; [unrolled: 1-line block ×8, first 2 shown]
	v_cvt_f32_i32_e32 v8, v8
	v_pk_mul_f16 v9, v126, v2
	v_fma_mix_f32 v8, v8, v9, v9 op_sel:[0,0,1] op_sel_hi:[0,1,1]
	v_add_f32_e32 v92, v92, v8
	v_dot4_i32_i8 v8, v45, v4, 0
	v_dot4_i32_i8 v4, v46, v4, 0
	;; [unrolled: 1-line block ×12, first 2 shown]
	v_cvt_f32_i32_e32 v4, v4
	v_dot4_i32_i8 v8, v36, v6, v8
	v_dot4_i32_i8 v8, v10, v51, v8
	;; [unrolled: 1-line block ×3, first 2 shown]
	v_pk_mul_f16 v9, v15, v2
	v_pk_mul_f16 v2, v125, v2
	v_dot4_i32_i8 v8, v55, v52, v8
	v_fma_mix_f32 v2, v4, v2, v2 op_sel:[0,0,1] op_sel_hi:[0,1,1]
	ds_read_b128 v[4:7], v109 offset:3072
	ds_read_b128 v[49:52], v109 offset:3088
	v_add_f32_e32 v104, v104, v2
	v_cvt_f32_i32_e32 v8, v8
	s_waitcnt lgkmcnt(1)
	v_dot4_i32_i8 v2, v117, v4, 0
	s_waitcnt lgkmcnt(0)
	v_dot4_i32_i8 v2, v118, v49, v2
	v_dot4_i32_i8 v2, v119, v5, v2
	;; [unrolled: 1-line block ×7, first 2 shown]
	v_cvt_f32_i32_e32 v2, v2
	v_fma_mix_f32 v8, v8, v9, v9 op_sel:[0,0,1] op_sel_hi:[0,1,1]
	v_add_f32_e32 v99, v99, v8
	v_pk_mul_f16 v8, v116, v3
	v_fma_mix_f32 v2, v2, v8, v8 op_sel:[0,0,1] op_sel_hi:[0,1,1]
	v_add_f32_e32 v72, v72, v2
	v_dot4_i32_i8 v2, v127, v4, 0
	v_dot4_i32_i8 v2, v37, v49, v2
	v_dot4_i32_i8 v2, v53, v5, v2
	v_dot4_i32_i8 v2, v62, v50, v2
	v_dot4_i32_i8 v2, v64, v6, v2
	v_dot4_i32_i8 v2, v66, v51, v2
	v_dot4_i32_i8 v2, v67, v7, v2
	v_dot4_i32_i8 v2, v69, v52, v2
	v_cvt_f32_i32_e32 v2, v2
	v_pk_mul_f16 v8, v126, v3
	v_fma_mix_f32 v2, v2, v8, v8 op_sel:[0,0,1] op_sel_hi:[0,1,1]
	v_add_f32_e32 v86, v86, v2
	v_dot4_i32_i8 v2, v45, v4, 0
	v_dot4_i32_i8 v2, v1, v49, v2
	;; [unrolled: 1-line block ×8, first 2 shown]
	v_cvt_f32_i32_e32 v2, v2
	v_pk_mul_f16 v8, v15, v3
	v_pk_mul_f16 v3, v125, v3
	v_fma_mix_f32 v2, v2, v8, v8 op_sel:[0,0,1] op_sel_hi:[0,1,1]
	v_add_f32_e32 v96, v96, v2
	v_dot4_i32_i8 v2, v46, v4, 0
	v_dot4_i32_i8 v2, v47, v49, v2
	;; [unrolled: 1-line block ×8, first 2 shown]
	v_cvt_f32_i32_e32 v2, v2
	v_fma_mix_f32 v2, v2, v3, v3 op_sel:[0,0,1] op_sel_hi:[0,1,1]
	v_add_f32_e32 v102, v102, v2
	ds_read_b128 v[2:5], v109 offset:4096
	ds_read_b128 v[6:9], v109 offset:4112
	ds_read2_b32 v[13:14], v110 offset0:128 offset1:160
	s_waitcnt lgkmcnt(2)
	v_dot4_i32_i8 v49, v117, v2, 0
	s_waitcnt lgkmcnt(1)
	v_dot4_i32_i8 v49, v118, v6, v49
	v_dot4_i32_i8 v49, v119, v3, v49
	;; [unrolled: 1-line block ×7, first 2 shown]
	v_cvt_f32_i32_e32 v49, v49
	s_waitcnt lgkmcnt(0)
	v_pk_mul_f16 v50, v116, v13
	v_fma_mix_f32 v49, v49, v50, v50 op_sel:[0,0,1] op_sel_hi:[0,1,1]
	v_add_f32_e32 v68, v68, v49
	v_dot4_i32_i8 v49, v127, v2, 0
	v_dot4_i32_i8 v49, v37, v6, v49
	;; [unrolled: 1-line block ×8, first 2 shown]
	v_cvt_f32_i32_e32 v49, v49
	v_pk_mul_f16 v50, v126, v13
	v_fma_mix_f32 v49, v49, v50, v50 op_sel:[0,0,1] op_sel_hi:[0,1,1]
	v_add_f32_e32 v80, v80, v49
	v_dot4_i32_i8 v49, v45, v2, 0
	v_dot4_i32_i8 v2, v46, v2, 0
	;; [unrolled: 1-line block ×11, first 2 shown]
	v_cvt_f32_i32_e32 v2, v2
	v_dot4_i32_i8 v49, v17, v7, v49
	v_dot4_i32_i8 v49, v36, v4, v49
	;; [unrolled: 1-line block ×3, first 2 shown]
	v_pk_mul_f16 v3, v125, v13
	v_dot4_i32_i8 v49, v54, v5, v49
	v_fma_mix_f32 v2, v2, v3, v3 op_sel:[0,0,1] op_sel_hi:[0,1,1]
	v_dot4_i32_i8 v49, v55, v9, v49
	v_add_f32_e32 v100, v100, v2
	ds_read_b128 v[2:5], v109 offset:5120
	ds_read_b128 v[6:9], v109 offset:5136
	v_pk_mul_f16 v50, v15, v13
	v_cvt_f32_i32_e32 v49, v49
	s_waitcnt lgkmcnt(1)
	v_dot4_i32_i8 v13, v117, v2, 0
	s_waitcnt lgkmcnt(0)
	v_dot4_i32_i8 v13, v118, v6, v13
	v_dot4_i32_i8 v13, v119, v3, v13
	;; [unrolled: 1-line block ×7, first 2 shown]
	v_cvt_f32_i32_e32 v13, v13
	v_fma_mix_f32 v49, v49, v50, v50 op_sel:[0,0,1] op_sel_hi:[0,1,1]
	v_add_f32_e32 v93, v93, v49
	v_pk_mul_f16 v49, v116, v14
	v_fma_mix_f32 v13, v13, v49, v49 op_sel:[0,0,1] op_sel_hi:[0,1,1]
	v_add_f32_e32 v63, v63, v13
	v_dot4_i32_i8 v13, v127, v2, 0
	v_dot4_i32_i8 v13, v37, v6, v13
	;; [unrolled: 1-line block ×8, first 2 shown]
	v_cvt_f32_i32_e32 v13, v13
	v_pk_mul_f16 v49, v126, v14
	v_fma_mix_f32 v13, v13, v49, v49 op_sel:[0,0,1] op_sel_hi:[0,1,1]
	v_add_f32_e32 v74, v74, v13
	v_dot4_i32_i8 v13, v45, v2, 0
	v_dot4_i32_i8 v2, v46, v2, 0
	;; [unrolled: 1-line block ×16, first 2 shown]
	v_cvt_f32_i32_e32 v2, v2
	v_cvt_f32_i32_e32 v13, v13
	v_pk_mul_f16 v3, v125, v14
	v_pk_mul_f16 v49, v15, v14
	v_fma_mix_f32 v2, v2, v3, v3 op_sel:[0,0,1] op_sel_hi:[0,1,1]
	v_fma_mix_f32 v13, v13, v49, v49 op_sel:[0,0,1] op_sel_hi:[0,1,1]
	v_add_f32_e32 v97, v97, v2
	ds_read_b128 v[4:7], v109 offset:6144
	ds_read_b128 v[49:52], v109 offset:6160
	ds_read2_b32 v[2:3], v110 offset0:192 offset1:224
	v_add_f32_e32 v88, v88, v13
	v_add_u32_e32 v110, 4, v110
	s_waitcnt lgkmcnt(2)
	v_dot4_i32_i8 v8, v117, v4, 0
	s_waitcnt lgkmcnt(1)
	v_dot4_i32_i8 v8, v118, v49, v8
	v_dot4_i32_i8 v8, v119, v5, v8
	;; [unrolled: 1-line block ×7, first 2 shown]
	v_cvt_f32_i32_e32 v8, v8
	s_waitcnt lgkmcnt(0)
	v_pk_mul_f16 v9, v116, v2
	v_fma_mix_f32 v8, v8, v9, v9 op_sel:[0,0,1] op_sel_hi:[0,1,1]
	v_add_f32_e32 v59, v59, v8
	v_dot4_i32_i8 v8, v127, v4, 0
	v_dot4_i32_i8 v8, v37, v49, v8
	;; [unrolled: 1-line block ×8, first 2 shown]
	v_cvt_f32_i32_e32 v8, v8
	v_pk_mul_f16 v9, v126, v2
	v_fma_mix_f32 v8, v8, v9, v9 op_sel:[0,0,1] op_sel_hi:[0,1,1]
	v_add_f32_e32 v70, v70, v8
	v_dot4_i32_i8 v8, v45, v4, 0
	v_dot4_i32_i8 v4, v46, v4, 0
	;; [unrolled: 1-line block ×12, first 2 shown]
	v_cvt_f32_i32_e32 v4, v4
	v_dot4_i32_i8 v8, v36, v6, v8
	v_dot4_i32_i8 v8, v10, v51, v8
	;; [unrolled: 1-line block ×3, first 2 shown]
	v_pk_mul_f16 v9, v15, v2
	v_pk_mul_f16 v2, v125, v2
	v_dot4_i32_i8 v8, v55, v52, v8
	v_fma_mix_f32 v2, v4, v2, v2 op_sel:[0,0,1] op_sel_hi:[0,1,1]
	ds_read_b128 v[4:7], v109 offset:7168
	ds_read_b128 v[49:52], v109 offset:7184
	v_add_f32_e32 v94, v94, v2
	v_cvt_f32_i32_e32 v8, v8
	v_add_u32_e32 v109, 32, v109
	s_waitcnt lgkmcnt(1)
	v_dot4_i32_i8 v2, v117, v4, 0
	s_waitcnt lgkmcnt(0)
	v_dot4_i32_i8 v2, v118, v49, v2
	v_dot4_i32_i8 v2, v119, v5, v2
	;; [unrolled: 1-line block ×7, first 2 shown]
	v_cvt_f32_i32_e32 v2, v2
	v_fma_mix_f32 v8, v8, v9, v9 op_sel:[0,0,1] op_sel_hi:[0,1,1]
	v_add_f32_e32 v82, v82, v8
	v_pk_mul_f16 v8, v116, v3
	v_fma_mix_f32 v2, v2, v8, v8 op_sel:[0,0,1] op_sel_hi:[0,1,1]
	v_add_f32_e32 v57, v57, v2
	v_dot4_i32_i8 v2, v127, v4, 0
	v_dot4_i32_i8 v2, v37, v49, v2
	v_dot4_i32_i8 v2, v53, v5, v2
	v_dot4_i32_i8 v2, v62, v50, v2
	v_dot4_i32_i8 v2, v64, v6, v2
	v_dot4_i32_i8 v2, v66, v51, v2
	v_dot4_i32_i8 v2, v67, v7, v2
	v_dot4_i32_i8 v2, v69, v52, v2
	v_cvt_f32_i32_e32 v2, v2
	v_pk_mul_f16 v8, v126, v3
	v_fma_mix_f32 v2, v2, v8, v8 op_sel:[0,0,1] op_sel_hi:[0,1,1]
	v_add_f32_e32 v65, v65, v2
	v_dot4_i32_i8 v2, v45, v4, 0
	v_dot4_i32_i8 v1, v1, v49, v2
	v_dot4_i32_i8 v1, v61, v5, v1
	v_dot4_i32_i8 v1, v17, v50, v1
	v_dot4_i32_i8 v1, v36, v6, v1
	v_dot4_i32_i8 v1, v10, v51, v1
	v_dot4_i32_i8 v1, v54, v7, v1
	v_dot4_i32_i8 v1, v55, v52, v1
	v_cvt_f32_i32_e32 v1, v1
	;; [unrolled: 12-line block ×3, first 2 shown]
	v_pk_mul_f16 v2, v125, v3
	v_fma_mix_f32 v1, v1, v2, v2 op_sel:[0,0,1] op_sel_hi:[0,1,1]
	v_add_f32_e32 v90, v90, v1
	s_cbranch_scc1 .LBB139_8
; %bb.9:                                ;   in Loop: Header=BB139_6 Depth=1
	s_and_b32 s0, s9, -4
	s_cmp_eq_u32 s0, 4
	s_barrier
	s_cbranch_scc1 .LBB139_5
; %bb.10:                               ;   in Loop: Header=BB139_6 Depth=1
	buffer_load_dword v1, off, s[20:23], 0 offset:80 ; 4-byte Folded Reload
	buffer_load_dword v3, off, s[20:23], 0 offset:8 ; 4-byte Folded Reload
	;; [unrolled: 1-line block ×7, first 2 shown]
	s_waitcnt vmcnt(6)
	v_add_u32_e32 v15, s14, v1
	buffer_load_dword v1, off, s[20:23], 0 offset:4 ; 4-byte Folded Reload
	s_waitcnt vmcnt(6)
	v_add_u32_e32 v3, v15, v3
	s_waitcnt vmcnt(5)
	v_add_u32_e32 v5, v15, v5
	;; [unrolled: 2-line block ×5, first 2 shown]
	v_add_u32_e32 v13, v15, v13
	v_mad_i64_i32 v[36:37], s[0:1], v17, 36, v[11:12]
	v_add_u32_e32 v17, 4, v107
	v_mad_i64_i32 v[3:4], s[0:1], v3, 36, v[11:12]
	v_mad_i64_i32 v[5:6], s[0:1], v5, 36, v[11:12]
	;; [unrolled: 1-line block ×5, first 2 shown]
	v_mov_b32_e32 v107, v60
	v_mad_u64_u32 v[42:43], s[0:1], v17, 36, s[2:3]
	buffer_load_dword v17, off, s[20:23], 0 offset:32 ; 4-byte Folded Reload
	s_waitcnt vmcnt(1)
	v_add_u32_e32 v1, v15, v1
	v_mad_i64_i32 v[1:2], s[0:1], v1, 36, v[11:12]
	s_waitcnt vmcnt(0)
	v_add_u32_e32 v15, v15, v17
	v_mad_i64_i32 v[44:45], s[0:1], v15, 36, v[11:12]
	global_load_dword v15, v[42:43], off
	s_nop 0
	global_load_dword v1, v[1:2], off offset:4
	s_nop 0
	global_load_dword v2, v[3:4], off offset:4
	;; [unrolled: 2-line block ×3, first 2 shown]
	global_load_dword v4, v[7:8], off offset:4
	s_nop 0
	global_load_dword v5, v[9:10], off offset:4
	global_load_dword v6, v[13:14], off offset:4
	;; [unrolled: 1-line block ×4, first 2 shown]
	buffer_load_dword v109, off, s[20:23], 0 offset:36 ; 4-byte Folded Reload
	buffer_load_dword v110, off, s[20:23], 0 offset:100 ; 4-byte Folded Reload
	;; [unrolled: 1-line block ×5, first 2 shown]
	buffer_load_dword v9, off, s[20:23], 0  ; 4-byte Folded Reload
	s_mov_b32 s0, 12
	s_waitcnt vmcnt(0)
	ds_write_b32 v9, v15
	ds_write_b32 v108, v1
	buffer_load_dword v1, off, s[20:23], 0 offset:40 ; 4-byte Folded Reload
	s_waitcnt vmcnt(0)
	ds_write_b32 v1, v2
	buffer_load_dword v1, off, s[20:23], 0 offset:44 ; 4-byte Folded Reload
	s_waitcnt vmcnt(0)
	ds_write_b32 v1, v3
	ds_write_b32 v83, v4
	ds_write_b32 v85, v5
	ds_write_b32 v87, v6
	ds_write_b32 v89, v7
	ds_write_b32 v91, v8
	s_waitcnt lgkmcnt(0)
	s_barrier
	buffer_load_dword v108, off, s[20:23], 0 offset:84 ; 4-byte Folded Reload
.LBB139_11:                             ;   Parent Loop BB139_6 Depth=1
                                        ; =>  This Inner Loop Header: Depth=2
	ds_read_b128 v[2:5], v109
	ds_read_b128 v[6:9], v109 offset:16
	ds_read2_b32 v[13:14], v107 offset1:32
	ds_read_b32 v114, v110
	s_waitcnt vmcnt(0)
	ds_read2_b32 v[36:37], v108 offset1:1
	s_add_i32 s0, s0, 4
	v_add_u32_e32 v110, 4, v110
	s_cmp_lt_u32 s0, 28
	s_waitcnt lgkmcnt(1)
	v_pk_mul_f16 v49, v114, v14
	s_waitcnt lgkmcnt(0)
	v_and_b32_e32 v115, 0xf0f0f0f, v36
	v_lshrrev_b32_e32 v1, 4, v36
	v_and_b32_e32 v117, 0xf0f0f0f, v37
	v_lshrrev_b32_e32 v10, 4, v37
	ds_read2_b32 v[36:37], v108 offset0:2 offset1:3
	v_and_b32_e32 v116, 0xf0f0f0f, v1
	v_dot4_i32_i8 v1, v115, v2, 0
	v_dot4_i32_i8 v1, v116, v6, v1
	v_and_b32_e32 v118, 0xf0f0f0f, v10
	v_dot4_i32_i8 v1, v117, v3, v1
	v_dot4_i32_i8 v1, v118, v7, v1
	s_waitcnt lgkmcnt(0)
	v_and_b32_e32 v119, 0xf0f0f0f, v36
	v_lshrrev_b32_e32 v10, 4, v36
	v_and_b32_e32 v120, 0xf0f0f0f, v10
	v_dot4_i32_i8 v1, v119, v4, v1
	v_dot4_i32_i8 v1, v120, v8, v1
	v_and_b32_e32 v121, 0xf0f0f0f, v37
	v_lshrrev_b32_e32 v10, 4, v37
	v_and_b32_e32 v122, 0xf0f0f0f, v10
	v_dot4_i32_i8 v1, v121, v5, v1
	v_dot4_i32_i8 v1, v122, v9, v1
	v_cvt_f32_i32_e32 v1, v1
	v_pk_mul_f16 v10, v13, v114
	v_fma_mix_f32 v1, v10, v1, v10 op_sel:[0,0,1] op_sel_hi:[1,0,1]
	v_add_f32_e32 v16, v16, v1
	v_add_u32_e32 v1, 0x1080, v108
	ds_read_b32 v124, v111
	ds_read2_b32 v[42:43], v1 offset1:1
	v_add_u32_e32 v111, 4, v111
	s_waitcnt lgkmcnt(0)
	v_lshrrev_b32_e32 v10, 4, v43
	v_and_b32_e32 v62, 0xf0f0f0f, v10
	v_add_u32_e32 v10, 0x1088, v108
	v_and_b32_e32 v125, 0xf0f0f0f, v42
	v_lshrrev_b32_e32 v1, 4, v42
	v_and_b32_e32 v53, 0xf0f0f0f, v43
	ds_read2_b32 v[42:43], v10 offset1:1
	v_and_b32_e32 v37, 0xf0f0f0f, v1
	v_dot4_i32_i8 v1, v125, v2, 0
	v_dot4_i32_i8 v1, v37, v6, v1
	;; [unrolled: 1-line block ×4, first 2 shown]
	s_waitcnt lgkmcnt(0)
	v_and_b32_e32 v64, 0xf0f0f0f, v42
	v_lshrrev_b32_e32 v10, 4, v42
	v_and_b32_e32 v66, 0xf0f0f0f, v10
	v_dot4_i32_i8 v1, v64, v4, v1
	v_dot4_i32_i8 v1, v66, v8, v1
	v_and_b32_e32 v67, 0xf0f0f0f, v43
	v_lshrrev_b32_e32 v10, 4, v43
	v_and_b32_e32 v69, 0xf0f0f0f, v10
	v_dot4_i32_i8 v1, v67, v5, v1
	v_dot4_i32_i8 v1, v69, v9, v1
	v_cvt_f32_i32_e32 v1, v1
	v_pk_mul_f16 v10, v13, v124
	v_fma_mix_f32 v1, v10, v1, v10 op_sel:[0,0,1] op_sel_hi:[1,0,1]
	v_add_f32_e32 v98, v98, v1
	v_add_u32_e32 v1, 0x2100, v108
	ds_read_b32 v15, v112
	ds_read2_b32 v[42:43], v1 offset1:1
	v_add_u32_e32 v112, 4, v112
	s_waitcnt lgkmcnt(0)
	v_and_b32_e32 v45, 0xf0f0f0f, v42
	v_lshrrev_b32_e32 v1, 4, v42
	v_and_b32_e32 v1, 0xf0f0f0f, v1
	v_dot4_i32_i8 v10, v45, v2, 0
	v_dot4_i32_i8 v10, v1, v6, v10
	v_and_b32_e32 v61, 0xf0f0f0f, v43
	v_lshrrev_b32_e32 v17, 4, v43
	v_and_b32_e32 v17, 0xf0f0f0f, v17
	v_dot4_i32_i8 v10, v61, v3, v10
	v_dot4_i32_i8 v44, v17, v7, v10
	v_add_u32_e32 v10, 0x2108, v108
	ds_read2_b32 v[42:43], v10 offset1:1
	s_waitcnt lgkmcnt(0)
	v_and_b32_e32 v36, 0xf0f0f0f, v42
	v_lshrrev_b32_e32 v10, 4, v42
	v_and_b32_e32 v10, 0xf0f0f0f, v10
	v_dot4_i32_i8 v42, v36, v4, v44
	v_dot4_i32_i8 v42, v10, v8, v42
	v_and_b32_e32 v54, 0xf0f0f0f, v43
	v_lshrrev_b32_e32 v43, 4, v43
	v_and_b32_e32 v55, 0xf0f0f0f, v43
	v_dot4_i32_i8 v42, v54, v5, v42
	v_dot4_i32_i8 v42, v55, v9, v42
	v_cvt_f32_i32_e32 v42, v42
	v_pk_mul_f16 v43, v13, v15
	v_fma_mix_f32 v42, v43, v42, v43 op_sel:[0,0,1] op_sel_hi:[1,0,1]
	v_add_f32_e32 v103, v103, v42
	v_add_u32_e32 v42, 0x3180, v108
	ds_read_b32 v123, v113
	ds_read2_b32 v[43:44], v42 offset1:1
	v_add_u32_e32 v113, 4, v113
	s_waitcnt lgkmcnt(0)
	v_and_b32_e32 v46, 0xf0f0f0f, v43
	v_lshrrev_b32_e32 v42, 4, v43
	v_and_b32_e32 v47, 0xf0f0f0f, v42
	v_dot4_i32_i8 v2, v46, v2, 0
	v_dot4_i32_i8 v2, v47, v6, v2
	v_and_b32_e32 v43, 0xf0f0f0f, v44
	v_lshrrev_b32_e32 v6, 4, v44
	v_and_b32_e32 v56, 0xf0f0f0f, v6
	v_dot4_i32_i8 v2, v43, v3, v2
	v_dot4_i32_i8 v6, v56, v7, v2
	v_add_u32_e32 v2, 0x3188, v108
	ds_read2_b32 v[2:3], v2 offset1:1
	v_add_u32_e32 v108, 16, v108
	s_waitcnt lgkmcnt(0)
	v_and_b32_e32 v48, 0xf0f0f0f, v2
	v_lshrrev_b32_e32 v2, 4, v2
	v_and_b32_e32 v44, 0xf0f0f0f, v2
	v_dot4_i32_i8 v2, v48, v4, v6
	v_dot4_i32_i8 v2, v44, v8, v2
	v_and_b32_e32 v58, 0xf0f0f0f, v3
	v_lshrrev_b32_e32 v3, 4, v3
	v_and_b32_e32 v42, 0xf0f0f0f, v3
	v_dot4_i32_i8 v2, v58, v5, v2
	v_dot4_i32_i8 v2, v42, v9, v2
	v_cvt_f32_i32_e32 v2, v2
	v_pk_mul_f16 v3, v13, v123
	v_fma_mix_f32 v2, v3, v2, v3 op_sel:[0,0,1] op_sel_hi:[1,0,1]
	v_add_f32_e32 v106, v106, v2
	ds_read_b128 v[2:5], v109 offset:1024
	ds_read_b128 v[6:9], v109 offset:1040
	s_waitcnt lgkmcnt(1)
	v_dot4_i32_i8 v13, v115, v2, 0
	s_waitcnt lgkmcnt(0)
	v_dot4_i32_i8 v13, v116, v6, v13
	v_dot4_i32_i8 v13, v117, v3, v13
	;; [unrolled: 1-line block ×7, first 2 shown]
	v_cvt_f32_i32_e32 v13, v13
	v_fma_mix_f32 v13, v13, v49, v49 op_sel:[0,0,1] op_sel_hi:[0,1,1]
	v_add_f32_e32 v84, v84, v13
	v_dot4_i32_i8 v13, v125, v2, 0
	v_dot4_i32_i8 v13, v37, v6, v13
	;; [unrolled: 1-line block ×8, first 2 shown]
	v_cvt_f32_i32_e32 v13, v13
	v_pk_mul_f16 v49, v124, v14
	v_fma_mix_f32 v13, v13, v49, v49 op_sel:[0,0,1] op_sel_hi:[0,1,1]
	v_add_f32_e32 v95, v95, v13
	v_dot4_i32_i8 v13, v45, v2, 0
	v_dot4_i32_i8 v2, v46, v2, 0
	;; [unrolled: 1-line block ×16, first 2 shown]
	v_cvt_f32_i32_e32 v2, v2
	v_cvt_f32_i32_e32 v13, v13
	v_pk_mul_f16 v3, v123, v14
	v_pk_mul_f16 v49, v15, v14
	v_fma_mix_f32 v2, v2, v3, v3 op_sel:[0,0,1] op_sel_hi:[0,1,1]
	v_fma_mix_f32 v13, v13, v49, v49 op_sel:[0,0,1] op_sel_hi:[0,1,1]
	v_add_f32_e32 v105, v105, v2
	ds_read_b128 v[4:7], v109 offset:2048
	ds_read_b128 v[49:52], v109 offset:2064
	ds_read2_b32 v[2:3], v107 offset0:64 offset1:96
	v_add_f32_e32 v101, v101, v13
	s_waitcnt lgkmcnt(2)
	v_dot4_i32_i8 v8, v115, v4, 0
	s_waitcnt lgkmcnt(1)
	v_dot4_i32_i8 v8, v116, v49, v8
	v_dot4_i32_i8 v8, v117, v5, v8
	;; [unrolled: 1-line block ×7, first 2 shown]
	v_cvt_f32_i32_e32 v8, v8
	s_waitcnt lgkmcnt(0)
	v_pk_mul_f16 v9, v114, v2
	v_fma_mix_f32 v8, v8, v9, v9 op_sel:[0,0,1] op_sel_hi:[0,1,1]
	v_add_f32_e32 v78, v78, v8
	v_dot4_i32_i8 v8, v125, v4, 0
	v_dot4_i32_i8 v8, v37, v49, v8
	;; [unrolled: 1-line block ×8, first 2 shown]
	v_cvt_f32_i32_e32 v8, v8
	v_pk_mul_f16 v9, v124, v2
	v_fma_mix_f32 v8, v8, v9, v9 op_sel:[0,0,1] op_sel_hi:[0,1,1]
	v_add_f32_e32 v92, v92, v8
	v_dot4_i32_i8 v8, v45, v4, 0
	v_dot4_i32_i8 v4, v46, v4, 0
	;; [unrolled: 1-line block ×12, first 2 shown]
	v_cvt_f32_i32_e32 v4, v4
	v_dot4_i32_i8 v8, v36, v6, v8
	v_dot4_i32_i8 v8, v10, v51, v8
	;; [unrolled: 1-line block ×3, first 2 shown]
	v_pk_mul_f16 v9, v15, v2
	v_pk_mul_f16 v2, v123, v2
	v_dot4_i32_i8 v8, v55, v52, v8
	v_fma_mix_f32 v2, v4, v2, v2 op_sel:[0,0,1] op_sel_hi:[0,1,1]
	ds_read_b128 v[4:7], v109 offset:3072
	ds_read_b128 v[49:52], v109 offset:3088
	v_add_f32_e32 v104, v104, v2
	v_cvt_f32_i32_e32 v8, v8
	s_waitcnt lgkmcnt(1)
	v_dot4_i32_i8 v2, v115, v4, 0
	s_waitcnt lgkmcnt(0)
	v_dot4_i32_i8 v2, v116, v49, v2
	v_dot4_i32_i8 v2, v117, v5, v2
	;; [unrolled: 1-line block ×7, first 2 shown]
	v_cvt_f32_i32_e32 v2, v2
	v_fma_mix_f32 v8, v8, v9, v9 op_sel:[0,0,1] op_sel_hi:[0,1,1]
	v_add_f32_e32 v99, v99, v8
	v_pk_mul_f16 v8, v114, v3
	v_fma_mix_f32 v2, v2, v8, v8 op_sel:[0,0,1] op_sel_hi:[0,1,1]
	v_add_f32_e32 v72, v72, v2
	v_dot4_i32_i8 v2, v125, v4, 0
	v_dot4_i32_i8 v2, v37, v49, v2
	;; [unrolled: 1-line block ×8, first 2 shown]
	v_cvt_f32_i32_e32 v2, v2
	v_pk_mul_f16 v8, v124, v3
	v_fma_mix_f32 v2, v2, v8, v8 op_sel:[0,0,1] op_sel_hi:[0,1,1]
	v_add_f32_e32 v86, v86, v2
	v_dot4_i32_i8 v2, v45, v4, 0
	v_dot4_i32_i8 v2, v1, v49, v2
	;; [unrolled: 1-line block ×8, first 2 shown]
	v_cvt_f32_i32_e32 v2, v2
	v_pk_mul_f16 v8, v15, v3
	v_pk_mul_f16 v3, v123, v3
	v_fma_mix_f32 v2, v2, v8, v8 op_sel:[0,0,1] op_sel_hi:[0,1,1]
	v_add_f32_e32 v96, v96, v2
	v_dot4_i32_i8 v2, v46, v4, 0
	v_dot4_i32_i8 v2, v47, v49, v2
	;; [unrolled: 1-line block ×8, first 2 shown]
	v_cvt_f32_i32_e32 v2, v2
	v_fma_mix_f32 v2, v2, v3, v3 op_sel:[0,0,1] op_sel_hi:[0,1,1]
	v_add_f32_e32 v102, v102, v2
	ds_read_b128 v[2:5], v109 offset:4096
	ds_read_b128 v[6:9], v109 offset:4112
	ds_read2_b32 v[13:14], v107 offset0:128 offset1:160
	s_waitcnt lgkmcnt(2)
	v_dot4_i32_i8 v49, v115, v2, 0
	s_waitcnt lgkmcnt(1)
	v_dot4_i32_i8 v49, v116, v6, v49
	v_dot4_i32_i8 v49, v117, v3, v49
	;; [unrolled: 1-line block ×7, first 2 shown]
	v_cvt_f32_i32_e32 v49, v49
	s_waitcnt lgkmcnt(0)
	v_pk_mul_f16 v50, v114, v13
	v_fma_mix_f32 v49, v49, v50, v50 op_sel:[0,0,1] op_sel_hi:[0,1,1]
	v_add_f32_e32 v68, v68, v49
	v_dot4_i32_i8 v49, v125, v2, 0
	v_dot4_i32_i8 v49, v37, v6, v49
	;; [unrolled: 1-line block ×8, first 2 shown]
	v_cvt_f32_i32_e32 v49, v49
	v_pk_mul_f16 v50, v124, v13
	v_fma_mix_f32 v49, v49, v50, v50 op_sel:[0,0,1] op_sel_hi:[0,1,1]
	v_add_f32_e32 v80, v80, v49
	v_dot4_i32_i8 v49, v45, v2, 0
	v_dot4_i32_i8 v2, v46, v2, 0
	;; [unrolled: 1-line block ×11, first 2 shown]
	v_cvt_f32_i32_e32 v2, v2
	v_dot4_i32_i8 v49, v17, v7, v49
	v_dot4_i32_i8 v49, v36, v4, v49
	;; [unrolled: 1-line block ×3, first 2 shown]
	v_pk_mul_f16 v3, v123, v13
	v_dot4_i32_i8 v49, v54, v5, v49
	v_fma_mix_f32 v2, v2, v3, v3 op_sel:[0,0,1] op_sel_hi:[0,1,1]
	v_dot4_i32_i8 v49, v55, v9, v49
	v_add_f32_e32 v100, v100, v2
	ds_read_b128 v[2:5], v109 offset:5120
	ds_read_b128 v[6:9], v109 offset:5136
	v_pk_mul_f16 v50, v15, v13
	v_cvt_f32_i32_e32 v49, v49
	s_waitcnt lgkmcnt(1)
	v_dot4_i32_i8 v13, v115, v2, 0
	s_waitcnt lgkmcnt(0)
	v_dot4_i32_i8 v13, v116, v6, v13
	v_dot4_i32_i8 v13, v117, v3, v13
	;; [unrolled: 1-line block ×7, first 2 shown]
	v_cvt_f32_i32_e32 v13, v13
	v_fma_mix_f32 v49, v49, v50, v50 op_sel:[0,0,1] op_sel_hi:[0,1,1]
	v_add_f32_e32 v93, v93, v49
	v_pk_mul_f16 v49, v114, v14
	v_fma_mix_f32 v13, v13, v49, v49 op_sel:[0,0,1] op_sel_hi:[0,1,1]
	v_add_f32_e32 v63, v63, v13
	v_dot4_i32_i8 v13, v125, v2, 0
	v_dot4_i32_i8 v13, v37, v6, v13
	;; [unrolled: 1-line block ×8, first 2 shown]
	v_cvt_f32_i32_e32 v13, v13
	v_pk_mul_f16 v49, v124, v14
	v_fma_mix_f32 v13, v13, v49, v49 op_sel:[0,0,1] op_sel_hi:[0,1,1]
	v_add_f32_e32 v74, v74, v13
	v_dot4_i32_i8 v13, v45, v2, 0
	v_dot4_i32_i8 v2, v46, v2, 0
	;; [unrolled: 1-line block ×16, first 2 shown]
	v_cvt_f32_i32_e32 v2, v2
	v_cvt_f32_i32_e32 v13, v13
	v_pk_mul_f16 v3, v123, v14
	v_pk_mul_f16 v49, v15, v14
	v_fma_mix_f32 v2, v2, v3, v3 op_sel:[0,0,1] op_sel_hi:[0,1,1]
	v_fma_mix_f32 v13, v13, v49, v49 op_sel:[0,0,1] op_sel_hi:[0,1,1]
	v_add_f32_e32 v97, v97, v2
	ds_read_b128 v[4:7], v109 offset:6144
	ds_read_b128 v[49:52], v109 offset:6160
	ds_read2_b32 v[2:3], v107 offset0:192 offset1:224
	v_add_f32_e32 v88, v88, v13
	v_add_u32_e32 v107, 4, v107
	s_waitcnt lgkmcnt(2)
	v_dot4_i32_i8 v8, v115, v4, 0
	s_waitcnt lgkmcnt(1)
	v_dot4_i32_i8 v8, v116, v49, v8
	v_dot4_i32_i8 v8, v117, v5, v8
	;; [unrolled: 1-line block ×7, first 2 shown]
	v_cvt_f32_i32_e32 v8, v8
	s_waitcnt lgkmcnt(0)
	v_pk_mul_f16 v9, v114, v2
	v_fma_mix_f32 v8, v8, v9, v9 op_sel:[0,0,1] op_sel_hi:[0,1,1]
	v_add_f32_e32 v59, v59, v8
	v_dot4_i32_i8 v8, v125, v4, 0
	v_dot4_i32_i8 v8, v37, v49, v8
	;; [unrolled: 1-line block ×8, first 2 shown]
	v_cvt_f32_i32_e32 v8, v8
	v_pk_mul_f16 v9, v124, v2
	v_fma_mix_f32 v8, v8, v9, v9 op_sel:[0,0,1] op_sel_hi:[0,1,1]
	v_add_f32_e32 v70, v70, v8
	v_dot4_i32_i8 v8, v45, v4, 0
	v_dot4_i32_i8 v4, v46, v4, 0
	;; [unrolled: 1-line block ×12, first 2 shown]
	v_cvt_f32_i32_e32 v4, v4
	v_dot4_i32_i8 v8, v36, v6, v8
	v_dot4_i32_i8 v8, v10, v51, v8
	;; [unrolled: 1-line block ×3, first 2 shown]
	v_pk_mul_f16 v9, v15, v2
	v_pk_mul_f16 v2, v123, v2
	v_dot4_i32_i8 v8, v55, v52, v8
	v_fma_mix_f32 v2, v4, v2, v2 op_sel:[0,0,1] op_sel_hi:[0,1,1]
	ds_read_b128 v[4:7], v109 offset:7168
	ds_read_b128 v[49:52], v109 offset:7184
	v_add_f32_e32 v94, v94, v2
	v_cvt_f32_i32_e32 v8, v8
	v_add_u32_e32 v109, 32, v109
	s_waitcnt lgkmcnt(1)
	v_dot4_i32_i8 v2, v115, v4, 0
	s_waitcnt lgkmcnt(0)
	v_dot4_i32_i8 v2, v116, v49, v2
	v_dot4_i32_i8 v2, v117, v5, v2
	;; [unrolled: 1-line block ×7, first 2 shown]
	v_cvt_f32_i32_e32 v2, v2
	v_fma_mix_f32 v8, v8, v9, v9 op_sel:[0,0,1] op_sel_hi:[0,1,1]
	v_add_f32_e32 v82, v82, v8
	v_pk_mul_f16 v8, v114, v3
	v_fma_mix_f32 v2, v2, v8, v8 op_sel:[0,0,1] op_sel_hi:[0,1,1]
	v_add_f32_e32 v57, v57, v2
	v_dot4_i32_i8 v2, v125, v4, 0
	v_dot4_i32_i8 v2, v37, v49, v2
	v_dot4_i32_i8 v2, v53, v5, v2
	v_dot4_i32_i8 v2, v62, v50, v2
	v_dot4_i32_i8 v2, v64, v6, v2
	v_dot4_i32_i8 v2, v66, v51, v2
	v_dot4_i32_i8 v2, v67, v7, v2
	v_dot4_i32_i8 v2, v69, v52, v2
	v_cvt_f32_i32_e32 v2, v2
	v_pk_mul_f16 v8, v124, v3
	v_fma_mix_f32 v2, v2, v8, v8 op_sel:[0,0,1] op_sel_hi:[0,1,1]
	v_add_f32_e32 v65, v65, v2
	v_dot4_i32_i8 v2, v45, v4, 0
	v_dot4_i32_i8 v1, v1, v49, v2
	v_dot4_i32_i8 v1, v61, v5, v1
	v_dot4_i32_i8 v1, v17, v50, v1
	v_dot4_i32_i8 v1, v36, v6, v1
	v_dot4_i32_i8 v1, v10, v51, v1
	v_dot4_i32_i8 v1, v54, v7, v1
	v_dot4_i32_i8 v1, v55, v52, v1
	v_cvt_f32_i32_e32 v1, v1
	;; [unrolled: 12-line block ×3, first 2 shown]
	v_pk_mul_f16 v2, v123, v3
	v_fma_mix_f32 v1, v1, v2, v2 op_sel:[0,0,1] op_sel_hi:[0,1,1]
	v_add_f32_e32 v90, v90, v1
	s_cbranch_scc1 .LBB139_11
; %bb.12:                               ;   in Loop: Header=BB139_6 Depth=1
	s_barrier
	s_branch .LBB139_5
.LBB139_13:
	buffer_load_dword v33, off, s[20:23], 0 offset:108 ; 4-byte Folded Reload
	buffer_load_dword v1, off, s[20:23], 0 offset:104 ; 4-byte Folded Reload
	v_cvt_f16_f32_e32 v10, v16
	v_cvt_f16_f32_e32 v11, v98
	;; [unrolled: 1-line block ×32, first 2 shown]
.LBB139_14:
	s_waitcnt vmcnt(1)
	v_cmp_gt_u32_e32 vcc, s8, v33
	s_and_saveexec_b64 s[0:1], vcc
	s_cbranch_execz .LBB139_65
; %bb.15:
	v_mul_lo_u32 v33, v33, s10
	v_add_u32_e32 v0, s6, v0
	v_cmp_gt_u32_e32 vcc, s10, v0
	s_and_saveexec_b64 s[2:3], vcc
	s_cbranch_execz .LBB139_17
; %bb.16:
	v_add_u32_e32 v34, v0, v33
	v_mov_b32_e32 v35, 0
	v_lshlrev_b64 v[34:35], 1, v[34:35]
	s_waitcnt lgkmcnt(0)
	v_mov_b32_e32 v36, s13
	v_add_co_u32_e64 v34, s[0:1], s12, v34
	v_addc_co_u32_e64 v35, s[0:1], v36, v35, s[0:1]
	global_store_short v[34:35], v10, off
.LBB139_17:
	s_or_b64 exec, exec, s[2:3]
	v_add_u32_e32 v10, 32, v0
	v_cmp_gt_u32_e64 s[0:1], s10, v10
	s_and_saveexec_b64 s[4:5], s[0:1]
	s_cbranch_execz .LBB139_19
; %bb.18:
	v_add_u32_e32 v34, v10, v33
	v_mov_b32_e32 v35, 0
	v_lshlrev_b64 v[34:35], 1, v[34:35]
	s_waitcnt lgkmcnt(0)
	v_mov_b32_e32 v36, s13
	v_add_co_u32_e64 v34, s[2:3], s12, v34
	v_addc_co_u32_e64 v35, s[2:3], v36, v35, s[2:3]
	global_store_short v[34:35], v11, off
.LBB139_19:
	s_or_b64 exec, exec, s[4:5]
	v_add_u32_e32 v11, 64, v0
	v_cmp_gt_u32_e64 s[2:3], s10, v11
	s_and_saveexec_b64 s[6:7], s[2:3]
	;; [unrolled: 15-line block ×3, first 2 shown]
	s_cbranch_execz .LBB139_23
; %bb.22:
	v_add_u32_e32 v33, v12, v33
	v_mov_b32_e32 v34, 0
	v_lshlrev_b64 v[33:34], 1, v[33:34]
	s_waitcnt lgkmcnt(0)
	v_mov_b32_e32 v35, s13
	v_add_co_u32_e64 v33, s[6:7], s12, v33
	v_addc_co_u32_e64 v34, s[6:7], v35, v34, s[6:7]
	global_store_short v[33:34], v32, off
.LBB139_23:
	s_or_b64 exec, exec, s[14:15]
	s_waitcnt vmcnt(0)
	v_add3_u32 v32, v1, s11, 8
	v_cmp_gt_u32_e64 s[6:7], s8, v32
	s_and_b64 exec, exec, s[6:7]
	s_cbranch_execz .LBB139_65
; %bb.24:
	v_mul_lo_u32 v32, v32, s10
	s_and_saveexec_b64 s[14:15], vcc
	s_cbranch_execnz .LBB139_66
; %bb.25:
	s_or_b64 exec, exec, s[14:15]
	s_and_saveexec_b64 s[14:15], s[0:1]
	s_cbranch_execnz .LBB139_67
.LBB139_26:
	s_or_b64 exec, exec, s[14:15]
	s_and_saveexec_b64 s[14:15], s[2:3]
	s_cbranch_execnz .LBB139_68
.LBB139_27:
	s_or_b64 exec, exec, s[14:15]
	s_and_saveexec_b64 s[14:15], s[4:5]
	s_cbranch_execz .LBB139_29
.LBB139_28:
	v_add_u32_e32 v29, v32, v12
	v_mov_b32_e32 v30, 0
	v_lshlrev_b64 v[29:30], 1, v[29:30]
	s_waitcnt lgkmcnt(0)
	v_mov_b32_e32 v31, s13
	v_add_co_u32_e64 v29, s[6:7], s12, v29
	v_addc_co_u32_e64 v30, s[6:7], v31, v30, s[6:7]
	global_store_short v[29:30], v28, off
.LBB139_29:
	s_or_b64 exec, exec, s[14:15]
	v_add3_u32 v28, v1, s11, 16
	v_cmp_gt_u32_e64 s[6:7], s8, v28
	s_and_b64 exec, exec, s[6:7]
	s_cbranch_execz .LBB139_65
; %bb.30:
	v_mul_lo_u32 v28, v28, s10
	s_and_saveexec_b64 s[14:15], vcc
	s_cbranch_execnz .LBB139_69
; %bb.31:
	s_or_b64 exec, exec, s[14:15]
	s_and_saveexec_b64 s[14:15], s[0:1]
	s_cbranch_execnz .LBB139_70
.LBB139_32:
	s_or_b64 exec, exec, s[14:15]
	s_and_saveexec_b64 s[14:15], s[2:3]
	s_cbranch_execnz .LBB139_71
.LBB139_33:
	s_or_b64 exec, exec, s[14:15]
	s_and_saveexec_b64 s[14:15], s[4:5]
	s_cbranch_execz .LBB139_35
.LBB139_34:
	v_add_u32_e32 v25, v28, v12
	v_mov_b32_e32 v26, 0
	v_lshlrev_b64 v[25:26], 1, v[25:26]
	s_waitcnt lgkmcnt(0)
	v_mov_b32_e32 v27, s13
	v_add_co_u32_e64 v25, s[6:7], s12, v25
	v_addc_co_u32_e64 v26, s[6:7], v27, v26, s[6:7]
	global_store_short v[25:26], v24, off
.LBB139_35:
	s_or_b64 exec, exec, s[14:15]
	v_add3_u32 v24, v1, s11, 24
	v_cmp_gt_u32_e64 s[6:7], s8, v24
	s_and_b64 exec, exec, s[6:7]
	s_cbranch_execz .LBB139_65
; %bb.36:
	v_mul_lo_u32 v24, v24, s10
	s_and_saveexec_b64 s[14:15], vcc
	s_cbranch_execnz .LBB139_72
; %bb.37:
	s_or_b64 exec, exec, s[14:15]
	s_and_saveexec_b64 s[14:15], s[0:1]
	s_cbranch_execnz .LBB139_73
.LBB139_38:
	s_or_b64 exec, exec, s[14:15]
	s_and_saveexec_b64 s[14:15], s[2:3]
	s_cbranch_execnz .LBB139_74
.LBB139_39:
	s_or_b64 exec, exec, s[14:15]
	s_and_saveexec_b64 s[14:15], s[4:5]
	s_cbranch_execz .LBB139_41
.LBB139_40:
	v_add_u32_e32 v21, v24, v12
	v_mov_b32_e32 v22, 0
	v_lshlrev_b64 v[21:22], 1, v[21:22]
	s_waitcnt lgkmcnt(0)
	v_mov_b32_e32 v23, s13
	v_add_co_u32_e64 v21, s[6:7], s12, v21
	v_addc_co_u32_e64 v22, s[6:7], v23, v22, s[6:7]
	global_store_short v[21:22], v20, off
.LBB139_41:
	s_or_b64 exec, exec, s[14:15]
	v_add3_u32 v20, v1, s11, 32
	v_cmp_gt_u32_e64 s[6:7], s8, v20
	s_and_b64 exec, exec, s[6:7]
	s_cbranch_execz .LBB139_65
; %bb.42:
	v_mul_lo_u32 v20, v20, s10
	s_and_saveexec_b64 s[14:15], vcc
	s_cbranch_execnz .LBB139_75
; %bb.43:
	s_or_b64 exec, exec, s[14:15]
	s_and_saveexec_b64 s[14:15], s[0:1]
	s_cbranch_execnz .LBB139_76
.LBB139_44:
	s_or_b64 exec, exec, s[14:15]
	s_and_saveexec_b64 s[14:15], s[2:3]
	s_cbranch_execnz .LBB139_77
.LBB139_45:
	s_or_b64 exec, exec, s[14:15]
	s_and_saveexec_b64 s[14:15], s[4:5]
	s_cbranch_execz .LBB139_47
.LBB139_46:
	v_add_u32_e32 v17, v20, v12
	v_mov_b32_e32 v18, 0
	v_lshlrev_b64 v[17:18], 1, v[17:18]
	s_waitcnt lgkmcnt(0)
	v_mov_b32_e32 v19, s13
	v_add_co_u32_e64 v17, s[6:7], s12, v17
	v_addc_co_u32_e64 v18, s[6:7], v19, v18, s[6:7]
	global_store_short v[17:18], v16, off
.LBB139_47:
	s_or_b64 exec, exec, s[14:15]
	v_add3_u32 v16, v1, s11, 40
	v_cmp_gt_u32_e64 s[6:7], s8, v16
	s_and_b64 exec, exec, s[6:7]
	s_cbranch_execz .LBB139_65
; %bb.48:
	v_mul_lo_u32 v16, v16, s10
	s_and_saveexec_b64 s[14:15], vcc
	s_cbranch_execnz .LBB139_78
; %bb.49:
	s_or_b64 exec, exec, s[14:15]
	s_and_saveexec_b64 s[14:15], s[0:1]
	s_cbranch_execnz .LBB139_79
.LBB139_50:
	s_or_b64 exec, exec, s[14:15]
	s_and_saveexec_b64 s[14:15], s[2:3]
	s_cbranch_execnz .LBB139_80
.LBB139_51:
	s_or_b64 exec, exec, s[14:15]
	s_and_saveexec_b64 s[14:15], s[4:5]
	s_cbranch_execz .LBB139_53
.LBB139_52:
	v_add_u32_e32 v13, v16, v12
	v_mov_b32_e32 v14, 0
	v_lshlrev_b64 v[13:14], 1, v[13:14]
	s_waitcnt lgkmcnt(0)
	v_mov_b32_e32 v15, s13
	v_add_co_u32_e64 v13, s[6:7], s12, v13
	v_addc_co_u32_e64 v14, s[6:7], v15, v14, s[6:7]
	global_store_short v[13:14], v9, off
.LBB139_53:
	s_or_b64 exec, exec, s[14:15]
	v_add3_u32 v9, v1, s11, 48
	v_cmp_gt_u32_e64 s[6:7], s8, v9
	s_and_b64 exec, exec, s[6:7]
	s_cbranch_execz .LBB139_65
; %bb.54:
	v_mul_lo_u32 v9, v9, s10
	s_and_saveexec_b64 s[14:15], vcc
	s_cbranch_execnz .LBB139_81
; %bb.55:
	s_or_b64 exec, exec, s[14:15]
	s_and_saveexec_b64 s[14:15], s[0:1]
	s_cbranch_execnz .LBB139_82
.LBB139_56:
	s_or_b64 exec, exec, s[14:15]
	s_and_saveexec_b64 s[14:15], s[2:3]
	s_cbranch_execnz .LBB139_83
.LBB139_57:
	s_or_b64 exec, exec, s[14:15]
	s_and_saveexec_b64 s[14:15], s[4:5]
	s_cbranch_execz .LBB139_59
.LBB139_58:
	v_add_u32_e32 v6, v9, v12
	v_mov_b32_e32 v7, 0
	v_lshlrev_b64 v[6:7], 1, v[6:7]
	s_waitcnt lgkmcnt(0)
	v_mov_b32_e32 v8, s13
	v_add_co_u32_e64 v6, s[6:7], s12, v6
	v_addc_co_u32_e64 v7, s[6:7], v8, v7, s[6:7]
	global_store_short v[6:7], v5, off
.LBB139_59:
	s_or_b64 exec, exec, s[14:15]
	v_add3_u32 v5, v1, s11, 56
	v_cmp_gt_u32_e64 s[6:7], s8, v5
	s_and_b64 exec, exec, s[6:7]
	s_cbranch_execz .LBB139_65
; %bb.60:
	v_mul_lo_u32 v5, v5, s10
	s_and_saveexec_b64 s[6:7], vcc
	s_cbranch_execnz .LBB139_84
; %bb.61:
	s_or_b64 exec, exec, s[6:7]
	s_and_saveexec_b64 s[6:7], s[0:1]
	s_cbranch_execnz .LBB139_85
.LBB139_62:
	s_or_b64 exec, exec, s[6:7]
	s_and_saveexec_b64 s[0:1], s[2:3]
	s_cbranch_execnz .LBB139_86
.LBB139_63:
	s_or_b64 exec, exec, s[0:1]
	s_and_b64 exec, exec, s[4:5]
	s_cbranch_execz .LBB139_65
.LBB139_64:
	v_add_u32_e32 v2, v5, v12
	v_mov_b32_e32 v3, 0
	v_lshlrev_b64 v[2:3], 1, v[2:3]
	s_waitcnt lgkmcnt(0)
	v_mov_b32_e32 v0, s13
	v_add_co_u32_e32 v2, vcc, s12, v2
	v_addc_co_u32_e32 v3, vcc, v0, v3, vcc
	global_store_short v[2:3], v37, off
.LBB139_65:
	s_endpgm
.LBB139_66:
	v_add_u32_e32 v33, v32, v0
	v_mov_b32_e32 v34, 0
	v_lshlrev_b64 v[33:34], 1, v[33:34]
	s_waitcnt lgkmcnt(0)
	v_mov_b32_e32 v35, s13
	v_add_co_u32_e64 v33, s[6:7], s12, v33
	v_addc_co_u32_e64 v34, s[6:7], v35, v34, s[6:7]
	global_store_short v[33:34], v31, off
	s_or_b64 exec, exec, s[14:15]
	s_and_saveexec_b64 s[14:15], s[0:1]
	s_cbranch_execz .LBB139_26
.LBB139_67:
	v_add_u32_e32 v33, v32, v10
	v_mov_b32_e32 v34, 0
	v_lshlrev_b64 v[33:34], 1, v[33:34]
	s_waitcnt lgkmcnt(0)
	v_mov_b32_e32 v31, s13
	v_add_co_u32_e64 v33, s[6:7], s12, v33
	v_addc_co_u32_e64 v34, s[6:7], v31, v34, s[6:7]
	global_store_short v[33:34], v30, off
	s_or_b64 exec, exec, s[14:15]
	s_and_saveexec_b64 s[14:15], s[2:3]
	s_cbranch_execz .LBB139_27
.LBB139_68:
	v_add_u32_e32 v30, v32, v11
	v_mov_b32_e32 v31, 0
	v_lshlrev_b64 v[30:31], 1, v[30:31]
	s_waitcnt lgkmcnt(0)
	v_mov_b32_e32 v33, s13
	v_add_co_u32_e64 v30, s[6:7], s12, v30
	v_addc_co_u32_e64 v31, s[6:7], v33, v31, s[6:7]
	global_store_short v[30:31], v29, off
	s_or_b64 exec, exec, s[14:15]
	s_and_saveexec_b64 s[14:15], s[4:5]
	s_cbranch_execnz .LBB139_28
	s_branch .LBB139_29
.LBB139_69:
	v_add_u32_e32 v29, v28, v0
	v_mov_b32_e32 v30, 0
	v_lshlrev_b64 v[29:30], 1, v[29:30]
	s_waitcnt lgkmcnt(0)
	v_mov_b32_e32 v31, s13
	v_add_co_u32_e64 v29, s[6:7], s12, v29
	v_addc_co_u32_e64 v30, s[6:7], v31, v30, s[6:7]
	global_store_short v[29:30], v27, off
	s_or_b64 exec, exec, s[14:15]
	s_and_saveexec_b64 s[14:15], s[0:1]
	s_cbranch_execz .LBB139_32
.LBB139_70:
	v_add_u32_e32 v29, v28, v10
	v_mov_b32_e32 v30, 0
	v_lshlrev_b64 v[29:30], 1, v[29:30]
	s_waitcnt lgkmcnt(0)
	v_mov_b32_e32 v27, s13
	v_add_co_u32_e64 v29, s[6:7], s12, v29
	v_addc_co_u32_e64 v30, s[6:7], v27, v30, s[6:7]
	global_store_short v[29:30], v26, off
	s_or_b64 exec, exec, s[14:15]
	s_and_saveexec_b64 s[14:15], s[2:3]
	s_cbranch_execz .LBB139_33
.LBB139_71:
	v_add_u32_e32 v26, v28, v11
	v_mov_b32_e32 v27, 0
	v_lshlrev_b64 v[26:27], 1, v[26:27]
	s_waitcnt lgkmcnt(0)
	v_mov_b32_e32 v29, s13
	v_add_co_u32_e64 v26, s[6:7], s12, v26
	v_addc_co_u32_e64 v27, s[6:7], v29, v27, s[6:7]
	global_store_short v[26:27], v25, off
	s_or_b64 exec, exec, s[14:15]
	s_and_saveexec_b64 s[14:15], s[4:5]
	s_cbranch_execnz .LBB139_34
	s_branch .LBB139_35
.LBB139_72:
	v_add_u32_e32 v25, v24, v0
	v_mov_b32_e32 v26, 0
	v_lshlrev_b64 v[25:26], 1, v[25:26]
	s_waitcnt lgkmcnt(0)
	v_mov_b32_e32 v27, s13
	v_add_co_u32_e64 v25, s[6:7], s12, v25
	v_addc_co_u32_e64 v26, s[6:7], v27, v26, s[6:7]
	global_store_short v[25:26], v23, off
	s_or_b64 exec, exec, s[14:15]
	s_and_saveexec_b64 s[14:15], s[0:1]
	s_cbranch_execz .LBB139_38
.LBB139_73:
	v_add_u32_e32 v25, v24, v10
	v_mov_b32_e32 v26, 0
	v_lshlrev_b64 v[25:26], 1, v[25:26]
	s_waitcnt lgkmcnt(0)
	v_mov_b32_e32 v23, s13
	v_add_co_u32_e64 v25, s[6:7], s12, v25
	v_addc_co_u32_e64 v26, s[6:7], v23, v26, s[6:7]
	global_store_short v[25:26], v22, off
	s_or_b64 exec, exec, s[14:15]
	s_and_saveexec_b64 s[14:15], s[2:3]
	s_cbranch_execz .LBB139_39
.LBB139_74:
	v_add_u32_e32 v22, v24, v11
	v_mov_b32_e32 v23, 0
	v_lshlrev_b64 v[22:23], 1, v[22:23]
	s_waitcnt lgkmcnt(0)
	v_mov_b32_e32 v25, s13
	v_add_co_u32_e64 v22, s[6:7], s12, v22
	v_addc_co_u32_e64 v23, s[6:7], v25, v23, s[6:7]
	global_store_short v[22:23], v21, off
	s_or_b64 exec, exec, s[14:15]
	s_and_saveexec_b64 s[14:15], s[4:5]
	s_cbranch_execnz .LBB139_40
	s_branch .LBB139_41
.LBB139_75:
	v_add_u32_e32 v21, v20, v0
	v_mov_b32_e32 v22, 0
	v_lshlrev_b64 v[21:22], 1, v[21:22]
	s_waitcnt lgkmcnt(0)
	v_mov_b32_e32 v23, s13
	v_add_co_u32_e64 v21, s[6:7], s12, v21
	v_addc_co_u32_e64 v22, s[6:7], v23, v22, s[6:7]
	global_store_short v[21:22], v19, off
	s_or_b64 exec, exec, s[14:15]
	s_and_saveexec_b64 s[14:15], s[0:1]
	s_cbranch_execz .LBB139_44
.LBB139_76:
	v_add_u32_e32 v21, v20, v10
	v_mov_b32_e32 v22, 0
	v_lshlrev_b64 v[21:22], 1, v[21:22]
	s_waitcnt lgkmcnt(0)
	v_mov_b32_e32 v19, s13
	v_add_co_u32_e64 v21, s[6:7], s12, v21
	v_addc_co_u32_e64 v22, s[6:7], v19, v22, s[6:7]
	global_store_short v[21:22], v18, off
	s_or_b64 exec, exec, s[14:15]
	s_and_saveexec_b64 s[14:15], s[2:3]
	s_cbranch_execz .LBB139_45
.LBB139_77:
	v_add_u32_e32 v18, v20, v11
	v_mov_b32_e32 v19, 0
	v_lshlrev_b64 v[18:19], 1, v[18:19]
	s_waitcnt lgkmcnt(0)
	v_mov_b32_e32 v21, s13
	v_add_co_u32_e64 v18, s[6:7], s12, v18
	v_addc_co_u32_e64 v19, s[6:7], v21, v19, s[6:7]
	global_store_short v[18:19], v17, off
	s_or_b64 exec, exec, s[14:15]
	s_and_saveexec_b64 s[14:15], s[4:5]
	s_cbranch_execnz .LBB139_46
	s_branch .LBB139_47
.LBB139_78:
	v_add_u32_e32 v17, v16, v0
	v_mov_b32_e32 v18, 0
	v_lshlrev_b64 v[17:18], 1, v[17:18]
	s_waitcnt lgkmcnt(0)
	v_mov_b32_e32 v19, s13
	v_add_co_u32_e64 v17, s[6:7], s12, v17
	v_addc_co_u32_e64 v18, s[6:7], v19, v18, s[6:7]
	global_store_short v[17:18], v15, off
	s_or_b64 exec, exec, s[14:15]
	s_and_saveexec_b64 s[14:15], s[0:1]
	s_cbranch_execz .LBB139_50
.LBB139_79:
	v_add_u32_e32 v17, v16, v10
	v_mov_b32_e32 v18, 0
	v_lshlrev_b64 v[17:18], 1, v[17:18]
	s_waitcnt lgkmcnt(0)
	v_mov_b32_e32 v15, s13
	v_add_co_u32_e64 v17, s[6:7], s12, v17
	v_addc_co_u32_e64 v18, s[6:7], v15, v18, s[6:7]
	global_store_short v[17:18], v14, off
	s_or_b64 exec, exec, s[14:15]
	s_and_saveexec_b64 s[14:15], s[2:3]
	s_cbranch_execz .LBB139_51
.LBB139_80:
	v_add_u32_e32 v14, v16, v11
	v_mov_b32_e32 v15, 0
	v_lshlrev_b64 v[14:15], 1, v[14:15]
	s_waitcnt lgkmcnt(0)
	v_mov_b32_e32 v17, s13
	v_add_co_u32_e64 v14, s[6:7], s12, v14
	v_addc_co_u32_e64 v15, s[6:7], v17, v15, s[6:7]
	global_store_short v[14:15], v13, off
	s_or_b64 exec, exec, s[14:15]
	s_and_saveexec_b64 s[14:15], s[4:5]
	s_cbranch_execnz .LBB139_52
	s_branch .LBB139_53
.LBB139_81:
	v_add_u32_e32 v13, v9, v0
	v_mov_b32_e32 v14, 0
	v_lshlrev_b64 v[13:14], 1, v[13:14]
	s_waitcnt lgkmcnt(0)
	v_mov_b32_e32 v15, s13
	v_add_co_u32_e64 v13, s[6:7], s12, v13
	v_addc_co_u32_e64 v14, s[6:7], v15, v14, s[6:7]
	global_store_short v[13:14], v8, off
	s_or_b64 exec, exec, s[14:15]
	s_and_saveexec_b64 s[14:15], s[0:1]
	s_cbranch_execz .LBB139_56
.LBB139_82:
	v_add_u32_e32 v13, v9, v10
	v_mov_b32_e32 v14, 0
	v_lshlrev_b64 v[13:14], 1, v[13:14]
	s_waitcnt lgkmcnt(0)
	v_mov_b32_e32 v8, s13
	v_add_co_u32_e64 v13, s[6:7], s12, v13
	v_addc_co_u32_e64 v14, s[6:7], v8, v14, s[6:7]
	global_store_short v[13:14], v7, off
	s_or_b64 exec, exec, s[14:15]
	s_and_saveexec_b64 s[14:15], s[2:3]
	s_cbranch_execz .LBB139_57
.LBB139_83:
	v_add_u32_e32 v7, v9, v11
	v_mov_b32_e32 v8, 0
	v_lshlrev_b64 v[7:8], 1, v[7:8]
	s_waitcnt lgkmcnt(0)
	v_mov_b32_e32 v13, s13
	v_add_co_u32_e64 v7, s[6:7], s12, v7
	v_addc_co_u32_e64 v8, s[6:7], v13, v8, s[6:7]
	global_store_short v[7:8], v6, off
	s_or_b64 exec, exec, s[14:15]
	s_and_saveexec_b64 s[14:15], s[4:5]
	s_cbranch_execnz .LBB139_58
	s_branch .LBB139_59
.LBB139_84:
	v_add_u32_e32 v6, v5, v0
	v_mov_b32_e32 v7, 0
	v_lshlrev_b64 v[6:7], 1, v[6:7]
	s_waitcnt lgkmcnt(0)
	v_mov_b32_e32 v0, s13
	v_add_co_u32_e32 v6, vcc, s12, v6
	v_addc_co_u32_e32 v7, vcc, v0, v7, vcc
	global_store_short v[6:7], v4, off
	s_or_b64 exec, exec, s[6:7]
	s_and_saveexec_b64 s[6:7], s[0:1]
	s_cbranch_execz .LBB139_62
.LBB139_85:
	v_add_u32_e32 v6, v5, v10
	v_mov_b32_e32 v7, 0
	v_lshlrev_b64 v[6:7], 1, v[6:7]
	s_waitcnt lgkmcnt(0)
	v_mov_b32_e32 v0, s13
	v_add_co_u32_e32 v6, vcc, s12, v6
	v_addc_co_u32_e32 v7, vcc, v0, v7, vcc
	global_store_short v[6:7], v3, off
	s_or_b64 exec, exec, s[6:7]
	s_and_saveexec_b64 s[0:1], s[2:3]
	s_cbranch_execz .LBB139_63
.LBB139_86:
	v_add_u32_e32 v3, v5, v11
	v_mov_b32_e32 v4, 0
	v_lshlrev_b64 v[3:4], 1, v[3:4]
	s_waitcnt lgkmcnt(0)
	v_mov_b32_e32 v0, s13
	v_add_co_u32_e32 v3, vcc, s12, v3
	v_addc_co_u32_e32 v4, vcc, v0, v4, vcc
	global_store_short v[3:4], v2, off
	s_or_b64 exec, exec, s[0:1]
	s_and_b64 exec, exec, s[4:5]
	s_cbranch_execnz .LBB139_64
	s_branch .LBB139_65
	.section	.rodata,"a",@progbits
	.p2align	6, 0x0
	.amdhsa_kernel _ZL12mul_mat_q4_1IN3c104HalfELb0EEvPKvS3_PT_iiiii
		.amdhsa_group_segment_fixed_size 30336
		.amdhsa_private_segment_fixed_size 116
		.amdhsa_kernarg_size 44
		.amdhsa_user_sgpr_count 6
		.amdhsa_user_sgpr_private_segment_buffer 1
		.amdhsa_user_sgpr_dispatch_ptr 0
		.amdhsa_user_sgpr_queue_ptr 0
		.amdhsa_user_sgpr_kernarg_segment_ptr 1
		.amdhsa_user_sgpr_dispatch_id 0
		.amdhsa_user_sgpr_flat_scratch_init 0
		.amdhsa_user_sgpr_private_segment_size 0
		.amdhsa_uses_dynamic_stack 0
		.amdhsa_system_sgpr_private_segment_wavefront_offset 1
		.amdhsa_system_sgpr_workgroup_id_x 1
		.amdhsa_system_sgpr_workgroup_id_y 1
		.amdhsa_system_sgpr_workgroup_id_z 0
		.amdhsa_system_sgpr_workgroup_info 0
		.amdhsa_system_vgpr_workitem_id 1
		.amdhsa_next_free_vgpr 128
		.amdhsa_next_free_sgpr 98
		.amdhsa_reserve_vcc 1
		.amdhsa_reserve_flat_scratch 0
		.amdhsa_float_round_mode_32 0
		.amdhsa_float_round_mode_16_64 0
		.amdhsa_float_denorm_mode_32 3
		.amdhsa_float_denorm_mode_16_64 3
		.amdhsa_dx10_clamp 1
		.amdhsa_ieee_mode 1
		.amdhsa_fp16_overflow 0
		.amdhsa_exception_fp_ieee_invalid_op 0
		.amdhsa_exception_fp_denorm_src 0
		.amdhsa_exception_fp_ieee_div_zero 0
		.amdhsa_exception_fp_ieee_overflow 0
		.amdhsa_exception_fp_ieee_underflow 0
		.amdhsa_exception_fp_ieee_inexact 0
		.amdhsa_exception_int_div_zero 0
	.end_amdhsa_kernel
	.section	.text._ZL12mul_mat_q4_1IN3c104HalfELb0EEvPKvS3_PT_iiiii,"axG",@progbits,_ZL12mul_mat_q4_1IN3c104HalfELb0EEvPKvS3_PT_iiiii,comdat
.Lfunc_end139:
	.size	_ZL12mul_mat_q4_1IN3c104HalfELb0EEvPKvS3_PT_iiiii, .Lfunc_end139-_ZL12mul_mat_q4_1IN3c104HalfELb0EEvPKvS3_PT_iiiii
                                        ; -- End function
	.set _ZL12mul_mat_q4_1IN3c104HalfELb0EEvPKvS3_PT_iiiii.num_vgpr, 128
	.set _ZL12mul_mat_q4_1IN3c104HalfELb0EEvPKvS3_PT_iiiii.num_agpr, 0
	.set _ZL12mul_mat_q4_1IN3c104HalfELb0EEvPKvS3_PT_iiiii.numbered_sgpr, 24
	.set _ZL12mul_mat_q4_1IN3c104HalfELb0EEvPKvS3_PT_iiiii.num_named_barrier, 0
	.set _ZL12mul_mat_q4_1IN3c104HalfELb0EEvPKvS3_PT_iiiii.private_seg_size, 116
	.set _ZL12mul_mat_q4_1IN3c104HalfELb0EEvPKvS3_PT_iiiii.uses_vcc, 1
	.set _ZL12mul_mat_q4_1IN3c104HalfELb0EEvPKvS3_PT_iiiii.uses_flat_scratch, 0
	.set _ZL12mul_mat_q4_1IN3c104HalfELb0EEvPKvS3_PT_iiiii.has_dyn_sized_stack, 0
	.set _ZL12mul_mat_q4_1IN3c104HalfELb0EEvPKvS3_PT_iiiii.has_recursion, 0
	.set _ZL12mul_mat_q4_1IN3c104HalfELb0EEvPKvS3_PT_iiiii.has_indirect_call, 0
	.section	.AMDGPU.csdata,"",@progbits
; Kernel info:
; codeLenInByte = 13164
; TotalNumSgprs: 28
; NumVgprs: 128
; ScratchSize: 116
; MemoryBound: 0
; FloatMode: 240
; IeeeMode: 1
; LDSByteSize: 30336 bytes/workgroup (compile time only)
; SGPRBlocks: 12
; VGPRBlocks: 31
; NumSGPRsForWavesPerEU: 102
; NumVGPRsForWavesPerEU: 128
; Occupancy: 2
; WaveLimiterHint : 0
; COMPUTE_PGM_RSRC2:SCRATCH_EN: 1
; COMPUTE_PGM_RSRC2:USER_SGPR: 6
; COMPUTE_PGM_RSRC2:TRAP_HANDLER: 0
; COMPUTE_PGM_RSRC2:TGID_X_EN: 1
; COMPUTE_PGM_RSRC2:TGID_Y_EN: 1
; COMPUTE_PGM_RSRC2:TGID_Z_EN: 0
; COMPUTE_PGM_RSRC2:TIDIG_COMP_CNT: 1
	.section	.text._ZL12mul_mat_q4_1IN3c104HalfELb1EEvPKvS3_PT_iiiii,"axG",@progbits,_ZL12mul_mat_q4_1IN3c104HalfELb1EEvPKvS3_PT_iiiii,comdat
	.globl	_ZL12mul_mat_q4_1IN3c104HalfELb1EEvPKvS3_PT_iiiii ; -- Begin function _ZL12mul_mat_q4_1IN3c104HalfELb1EEvPKvS3_PT_iiiii
	.p2align	8
	.type	_ZL12mul_mat_q4_1IN3c104HalfELb1EEvPKvS3_PT_iiiii,@function
_ZL12mul_mat_q4_1IN3c104HalfELb1EEvPKvS3_PT_iiiii: ; @_ZL12mul_mat_q4_1IN3c104HalfELb1EEvPKvS3_PT_iiiii
; %bb.0:
	s_mov_b64 s[22:23], s[2:3]
	s_mov_b64 s[20:21], s[0:1]
	s_add_u32 s20, s20, s8
	s_addc_u32 s21, s21, 0
	buffer_store_dword v0, off, s[20:23], 0 offset:72 ; 4-byte Folded Spill
	s_load_dwordx4 s[8:11], s[4:5], 0x18
	s_load_dword s14, s[4:5], 0x28
	v_mov_b32_e32 v62, v1
	s_lshl_b32 s15, s7, 6
	v_add_u32_e32 v61, s15, v62
	s_waitcnt lgkmcnt(0)
	s_cmp_gt_i32 s8, 31
	s_cbranch_scc1 .LBB140_2
; %bb.1:
	v_add_u32_e32 v9, s15, v62
	s_mov_b64 s[0:1], 0
	s_branch .LBB140_3
.LBB140_2:
	s_mov_b64 s[0:1], -1
                                        ; implicit-def: $vgpr9
.LBB140_3:
	s_load_dwordx2 s[12:13], s[4:5], 0x10
	s_lshl_b32 s6, s6, 7
	v_mov_b32_e32 v0, 0
	s_andn2_b64 vcc, exec, s[0:1]
	v_mov_b32_e32 v4, 0
	v_mov_b32_e32 v8, 0
	;; [unrolled: 1-line block ×31, first 2 shown]
	s_cbranch_vccnz .LBB140_15
; %bb.4:
	buffer_load_dword v63, off, s[20:23], 0 offset:72 ; 4-byte Folded Reload
	s_load_dwordx4 s[0:3], s[4:5], 0x0
	s_ashr_i32 s4, s8, 31
	s_lshr_b32 s4, s4, 27
	s_ashr_i32 s5, s11, 31
	s_add_i32 s4, s8, s4
	s_lshr_b32 s5, s5, 27
	s_ashr_i32 s4, s4, 5
	s_add_i32 s5, s11, s5
	s_ashr_i32 s11, s5, 5
	s_mul_i32 s5, s4, s6
	s_mul_hi_i32 s7, s5, 20
	s_mul_i32 s5, s5, 20
	s_waitcnt lgkmcnt(0)
	s_add_u32 s5, s0, s5
	s_addc_u32 s7, s1, s7
	s_not_b32 s0, s6
	s_add_i32 s1, s9, s0
	v_min_i32_e32 v1, s1, v62
	s_movk_i32 s0, 0x84
	v_add_u32_e32 v9, 8, v62
	v_mul_lo_u32 v12, v1, s4
	v_add_u32_e32 v10, 16, v62
	v_add_u32_e32 v28, 24, v62
	;; [unrolled: 1-line block ×7, first 2 shown]
	v_cvt_f64_u32_e32 v[7:8], v7
	v_lshlrev_b32_e32 v69, 7, v62
	v_mov_b32_e32 v32, 0
	v_mov_b32_e32 v99, 0
	;; [unrolled: 1-line block ×32, first 2 shown]
	s_waitcnt vmcnt(0)
	v_lshlrev_b32_e32 v0, 2, v63
	v_mad_u64_u32 v[13:14], s[8:9], v1, s0, v[0:1]
	v_min_i32_e32 v1, s1, v9
	v_mul_lo_u32 v14, v1, s4
	v_mad_u64_u32 v[40:41], s[8:9], v1, s0, v[0:1]
	v_min_i32_e32 v1, s1, v10
	v_mul_lo_u32 v41, v1, s4
	v_mad_u64_u32 v[15:16], s[8:9], v1, s0, v[0:1]
	v_min_i32_e32 v1, s1, v28
	v_mul_lo_u32 v16, v1, s4
	v_mad_u64_u32 v[42:43], s[8:9], v1, s0, v[0:1]
	v_min_i32_e32 v1, s1, v29
	v_mul_lo_u32 v43, v1, s4
	v_mad_u64_u32 v[17:18], s[8:9], v1, s0, v[0:1]
	v_min_i32_e32 v1, s1, v30
	v_mul_lo_u32 v18, v1, s4
	v_mad_u64_u32 v[44:45], s[8:9], v1, s0, v[0:1]
	v_min_i32_e32 v1, s1, v31
	v_mul_lo_u32 v45, v1, s4
	v_mad_u64_u32 v[19:20], s[8:9], v1, s0, v[0:1]
	v_min_i32_e32 v1, s1, v33
	v_mul_lo_u32 v20, v1, s4
	v_mad_u64_u32 v[46:47], s[8:9], v1, s0, v[0:1]
	v_add_u32_e32 v1, 64, v62
	v_min_i32_e32 v1, s1, v1
	v_mul_lo_u32 v47, v1, s4
	v_mad_u64_u32 v[21:22], s[8:9], v1, s0, v[0:1]
	v_add_u32_e32 v1, 0x48, v62
	v_min_i32_e32 v1, s1, v1
	v_mul_lo_u32 v22, v1, s4
	v_mad_u64_u32 v[48:49], s[8:9], v1, s0, v[0:1]
	v_add_u32_e32 v1, 0x50, v62
	v_min_i32_e32 v1, s1, v1
	v_mul_lo_u32 v49, v1, s4
	v_mad_u64_u32 v[23:24], s[8:9], v1, s0, v[0:1]
	v_add_u32_e32 v1, 0x58, v62
	v_min_i32_e32 v1, s1, v1
	v_mul_lo_u32 v24, v1, s4
	v_mad_u64_u32 v[53:54], s[8:9], v1, s0, v[0:1]
	v_add_u32_e32 v1, 0x60, v62
	v_min_i32_e32 v1, s1, v1
	v_mul_lo_u32 v25, v1, s4
	v_mad_u64_u32 v[54:55], s[8:9], v1, s0, v[0:1]
	v_add_u32_e32 v1, 0x68, v62
	v_min_i32_e32 v1, s1, v1
	v_mul_lo_u32 v55, v1, s4
	v_mad_u64_u32 v[64:65], s[8:9], v1, s0, v[0:1]
	v_add_u32_e32 v1, 0x70, v62
	v_min_i32_e32 v1, s1, v1
	v_mul_lo_u32 v50, v1, s4
	v_mad_u64_u32 v[65:66], s[8:9], v1, s0, v[0:1]
	v_add_u32_e32 v1, 0x78, v62
	v_min_i32_e32 v1, s1, v1
	v_mul_lo_u32 v56, v1, s4
	v_mad_u64_u32 v[66:67], s[8:9], v1, s0, v[0:1]
	v_lshrrev_b32_e32 v1, 3, v63
	buffer_store_dword v1, off, s[20:23], 0 offset:100 ; 4-byte Folded Spill
	v_lshl_add_u32 v1, v62, 2, v1
	v_min_i32_e32 v2, s1, v1
	v_ashrrev_i32_e32 v3, 31, v2
	v_lshrrev_b32_e32 v3, 30, v3
	v_and_b32_e32 v88, 7, v63
	v_mul_lo_u32 v86, v2, s4
	v_add_u32_e32 v3, v2, v3
	v_lshlrev_b32_e32 v36, 5, v2
	v_add_u32_e32 v2, 32, v1
	v_and_b32_e32 v3, -4, v3
	v_lshlrev_b32_e32 v4, 2, v88
	s_movk_i32 s8, 0x6200
	v_min_i32_e32 v2, s1, v2
	v_add3_u32 v35, v3, v4, s8
	v_ashrrev_i32_e32 v3, 31, v2
	v_lshrrev_b32_e32 v3, 30, v3
	v_mul_lo_u32 v90, v2, s4
	v_add_u32_e32 v3, v2, v3
	v_lshlrev_b32_e32 v38, 5, v2
	v_add_u32_e32 v2, 64, v1
	v_and_b32_e32 v3, -4, v3
	v_min_i32_e32 v2, s1, v2
	v_add3_u32 v37, v3, v4, s8
	v_ashrrev_i32_e32 v3, 31, v2
	v_add_u32_e32 v1, 0x60, v1
	v_lshrrev_b32_e32 v3, 30, v3
	v_min_i32_e32 v1, s1, v1
	v_mul_lo_u32 v92, v2, s4
	v_add_u32_e32 v3, v2, v3
	v_lshlrev_b32_e32 v51, 5, v2
	v_ashrrev_i32_e32 v2, 31, v1
	v_lshrrev_b32_e32 v2, 30, v2
	v_and_b32_e32 v3, -4, v3
	v_add_u32_e32 v2, v1, v2
	v_lshrrev_b32_e32 v11, 2, v63
	v_and_b32_e32 v34, 12, v0
	v_add3_u32 v39, v3, v4, s8
	v_and_b32_e32 v2, -4, v2
	s_add_i32 s1, s10, -1
	v_and_b32_e32 v3, 31, v63
	v_and_b32_e32 v58, 28, v0
	v_mov_b32_e32 v0, 0x4200
	v_mul_lo_u32 v67, v1, s4
	v_add3_u32 v52, v2, v4, s8
	v_lshlrev_b32_e32 v57, 5, v1
	v_cvt_f64_i32_e32 v[1:2], s1
	v_lshl_or_b32 v68, v3, 2, v0
	v_lshl_add_u32 v0, v62, 3, v11
	v_cvt_f64_u32_e32 v[3:4], v61
	v_and_b32_e32 v26, 63, v0
	v_or_b32_e32 v5, s15, v26
	v_min_i32_e32 v27, s1, v5
	v_add_u32_e32 v5, 8, v61
	v_cvt_f64_u32_e32 v[5:6], v5
	v_min_f64 v[3:4], v[3:4], v[1:2]
	v_and_b32_e32 v0, 3, v63
	v_mad_u64_u32 v[59:60], s[8:9], v27, s11, v[0:1]
	v_min_f64 v[5:6], v[5:6], v[1:2]
	v_min_f64 v[7:8], v[7:8], v[1:2]
	v_lshlrev_b32_e32 v0, 2, v0
	v_lshl_or_b32 v0, v26, 4, v0
	v_cvt_i32_f64_e32 v3, v[3:4]
	v_add_u32_e32 v0, 0x7280, v0
	buffer_store_dword v59, off, s[20:23], 0 offset:112 ; 4-byte Folded Spill
	s_nop 0
	buffer_store_dword v60, off, s[20:23], 0 offset:116 ; 4-byte Folded Spill
	buffer_store_dword v0, off, s[20:23], 0 ; 4-byte Folded Spill
	v_cvt_i32_f64_e32 v0, v[5:6]
	v_mul_lo_u32 v3, s11, v3
	v_lshlrev_b32_e32 v59, 7, v9
	v_lshlrev_b32_e32 v60, 7, v10
	v_mul_lo_u32 v0, s11, v0
	buffer_store_dword v3, off, s[20:23], 0 offset:4 ; 4-byte Folded Spill
	v_cvt_i32_f64_e32 v3, v[7:8]
	buffer_store_dword v61, off, s[20:23], 0 offset:184 ; 4-byte Folded Spill
	buffer_store_dword v0, off, s[20:23], 0 offset:8 ; 4-byte Folded Spill
	;; [unrolled: 1-line block ×3, first 2 shown]
	v_mul_lo_u32 v0, s11, v3
	s_add_i32 s8, s4, 3
	s_mov_b32 s9, 0
	buffer_store_dword v0, off, s[20:23], 0 offset:12 ; 4-byte Folded Spill
	v_add_u32_e32 v0, 24, v61
	v_cvt_f64_u32_e32 v[3:4], v0
	v_add_u32_e32 v0, 32, v61
	v_cvt_f64_u32_e32 v[5:6], v0
	;; [unrolled: 2-line block ×3, first 2 shown]
	v_min_f64 v[3:4], v[3:4], v[1:2]
	v_add_u32_e32 v0, 48, v61
	v_min_f64 v[5:6], v[5:6], v[1:2]
	v_min_f64 v[7:8], v[7:8], v[1:2]
	v_cvt_f64_u32_e32 v[9:10], v0
	v_add_u32_e32 v0, 56, v61
	v_cvt_f64_u32_e32 v[26:27], v0
	v_cvt_i32_f64_e32 v61, v[3:4]
	v_min_f64 v[3:4], v[9:10], v[1:2]
	v_cvt_i32_f64_e32 v5, v[5:6]
	v_cvt_i32_f64_e32 v6, v[7:8]
	v_min_f64 v[0:1], v[26:27], v[1:2]
	v_mul_lo_u32 v2, s11, v61
	v_add_u32_e32 v7, 0x60, v63
	v_add_co_u32_e32 v27, vcc, s2, v58
	v_cvt_i32_f64_e32 v3, v[3:4]
	v_mul_lo_u32 v4, s11, v6
	buffer_store_dword v2, off, s[20:23], 0 offset:16 ; 4-byte Folded Spill
	v_lshlrev_b32_e32 v2, 7, v28
	v_add_u32_e32 v6, 64, v63
	buffer_store_dword v4, off, s[20:23], 0 offset:24 ; 4-byte Folded Spill
	v_add_u32_e32 v4, 32, v63
	v_lshrrev_b32_e32 v8, 3, v4
	buffer_store_dword v8, off, s[20:23], 0 offset:156 ; 4-byte Folded Spill
	v_mov_b32_e32 v8, s3
	v_addc_co_u32_e32 v28, vcc, 0, v8, vcc
	v_lshlrev_b32_e32 v8, 5, v63
	v_and_b32_e32 v7, 0x1fc, v7
	v_add_u32_e32 v7, v8, v7
	v_and_b32_e32 v6, 0x1fc, v6
	v_cvt_i32_f64_e32 v0, v[0:1]
	v_add_u32_e32 v9, 0x6e00, v7
	v_add_u32_e32 v6, v8, v6
	v_and_b32_e32 v4, 0x1fc, v4
	buffer_store_dword v9, off, s[20:23], 0 offset:124 ; 4-byte Folded Spill
	v_add_u32_e32 v9, 0x6a00, v6
	v_add_u32_e32 v4, v8, v4
	buffer_store_dword v9, off, s[20:23], 0 offset:128 ; 4-byte Folded Spill
	v_add_u32_e32 v9, 0x6600, v4
	buffer_store_dword v9, off, s[20:23], 0 offset:132 ; 4-byte Folded Spill
	v_and_b32_e32 v9, 0xfc, v63
	v_mul_lo_u32 v5, s11, v5
	v_mul_lo_u32 v3, s11, v3
	;; [unrolled: 1-line block ×3, first 2 shown]
	v_add_u32_e32 v8, v8, v9
	v_add_u32_e32 v9, 0x6200, v8
	buffer_store_dword v9, off, s[20:23], 0 offset:136 ; 4-byte Folded Spill
	v_mov_b32_e32 v9, 0x7280
	v_lshl_add_u32 v9, v62, 4, v9
	buffer_store_dword v5, off, s[20:23], 0 offset:20 ; 4-byte Folded Spill
	buffer_store_dword v3, off, s[20:23], 0 offset:28 ; 4-byte Folded Spill
	buffer_store_dword v0, off, s[20:23], 0 offset:32 ; 4-byte Folded Spill
	buffer_store_dword v9, off, s[20:23], 0 offset:36 ; 4-byte Folded Spill
	buffer_store_dword v69, off, s[20:23], 0 offset:120 ; 4-byte Folded Spill
	v_add_u32_e32 v9, 0x4200, v69
	v_lshlrev_b32_e32 v1, 7, v30
	buffer_store_dword v9, off, s[20:23], 0 offset:40 ; 4-byte Folded Spill
	v_mad_u32_u24 v9, v63, s0, 64
	v_add_u32_e32 v4, 0x6610, v4
	v_lshlrev_b32_e32 v5, 7, v29
	v_lshlrev_b32_e32 v3, 7, v31
	;; [unrolled: 1-line block ×3, first 2 shown]
	buffer_store_dword v9, off, s[20:23], 0 offset:160 ; 4-byte Folded Spill
	v_add_u32_e32 v7, 0x6e10, v7
	v_add_u32_e32 v6, 0x6a10, v6
	buffer_store_dword v4, off, s[20:23], 0 offset:172 ; 4-byte Folded Spill
	v_add_u32_e32 v4, 0x6210, v8
	v_add_u32_e32 v9, v68, v59
	;; [unrolled: 1-line block ×4, first 2 shown]
	buffer_store_dword v7, off, s[20:23], 0 offset:164 ; 4-byte Folded Spill
	buffer_store_dword v6, off, s[20:23], 0 offset:168 ; 4-byte Folded Spill
	;; [unrolled: 1-line block ×3, first 2 shown]
	v_add_u32_e32 v4, v35, v36
	v_add_u32_e32 v6, v37, v38
	;; [unrolled: 1-line block ×4, first 2 shown]
	buffer_store_dword v9, off, s[20:23], 0 offset:44 ; 4-byte Folded Spill
	v_add_u32_e32 v9, v68, v60
	buffer_store_dword v2, off, s[20:23], 0 offset:52 ; 4-byte Folded Spill
	v_add_u32_e32 v2, v68, v5
	;; [unrolled: 2-line block ×3, first 2 shown]
	v_add_u32_e32 v0, v68, v0
	buffer_store_dword v9, off, s[20:23], 0 offset:48 ; 4-byte Folded Spill
	buffer_store_dword v2, off, s[20:23], 0 offset:56 ; 4-byte Folded Spill
	;; [unrolled: 1-line block ×6, first 2 shown]
	s_nop 0
	buffer_store_dword v65, off, s[20:23], 0 offset:80 ; 4-byte Folded Spill
	buffer_store_dword v65, off, s[20:23], 0 offset:84 ; 4-byte Folded Spill
	s_nop 0
	buffer_store_dword v66, off, s[20:23], 0 offset:88 ; 4-byte Folded Spill
	buffer_store_dword v66, off, s[20:23], 0 offset:92 ; 4-byte Folded Spill
	;; [unrolled: 3-line block ×3, first 2 shown]
	buffer_store_dword v4, off, s[20:23], 0 offset:140 ; 4-byte Folded Spill
	buffer_store_dword v6, off, s[20:23], 0 offset:144 ; 4-byte Folded Spill
	;; [unrolled: 1-line block ×4, first 2 shown]
	s_branch .LBB140_7
.LBB140_5:                              ;   in Loop: Header=BB140_7 Depth=1
	buffer_load_dword v64, off, s[20:23], 0 offset:76 ; 4-byte Folded Reload
	buffer_load_dword v65, off, s[20:23], 0 offset:80 ; 4-byte Folded Reload
	;; [unrolled: 1-line block ×11, first 2 shown]
.LBB140_6:                              ;   in Loop: Header=BB140_7 Depth=1
	s_add_i32 s9, s9, 8
	s_add_i32 s8, s8, -8
	s_cmp_ge_i32 s9, s4
	s_cbranch_scc1 .LBB140_14
.LBB140_7:                              ; =>This Loop Header: Depth=1
                                        ;     Child Loop BB140_9 Depth 2
                                        ;     Child Loop BB140_12 Depth 2
	s_mul_i32 s0, s9, 20
	s_mul_hi_u32 s1, s9, 20
	s_add_u32 s0, s5, s0
	s_addc_u32 s1, s7, s1
	v_mad_u64_u32 v[2:3], s[16:17], v11, 20, s[0:1]
	s_cmp_gt_u32 s8, 3
	v_mad_i64_i32 v[0:1], s[16:17], v12, 20, v[2:3]
	v_add_co_u32_e32 v0, vcc, v0, v34
	v_addc_co_u32_e32 v1, vcc, 0, v1, vcc
	global_load_dword v0, v[0:1], off offset:4
	s_waitcnt vmcnt(0)
	ds_write_b32 v13, v0
	v_mad_i64_i32 v[0:1], s[16:17], v14, 20, v[2:3]
	v_add_co_u32_e32 v0, vcc, v0, v34
	v_addc_co_u32_e32 v1, vcc, 0, v1, vcc
	global_load_dword v0, v[0:1], off offset:4
	s_waitcnt vmcnt(0)
	ds_write_b32 v40, v0
	;; [unrolled: 6-line block ×16, first 2 shown]
	v_mad_u64_u32 v[0:1], s[0:1], v88, 20, s[0:1]
	v_mad_i64_i32 v[2:3], s[0:1], v86, 20, v[0:1]
	global_load_dword v2, v[2:3], off
	s_waitcnt vmcnt(0)
	ds_write_b32 v4, v2
	v_mad_i64_i32 v[2:3], s[0:1], v90, 20, v[0:1]
	global_load_dword v2, v[2:3], off
	s_waitcnt vmcnt(0)
	ds_write_b32 v6, v2
	v_mad_i64_i32 v[2:3], s[0:1], v92, 20, v[0:1]
	v_mad_i64_i32 v[0:1], s[0:1], v67, 20, v[0:1]
	global_load_dword v2, v[2:3], off
	s_nop 0
	global_load_dword v0, v[0:1], off
	s_waitcnt vmcnt(1)
	ds_write_b32 v7, v2
	s_waitcnt vmcnt(0)
	ds_write_b32 v8, v0
	s_cbranch_scc0 .LBB140_6
; %bb.8:                                ;   in Loop: Header=BB140_7 Depth=1
	buffer_load_dword v0, off, s[20:23], 0 offset:112 ; 4-byte Folded Reload
	buffer_load_dword v1, off, s[20:23], 0 offset:116 ; 4-byte Folded Reload
	s_waitcnt vmcnt(1)
	v_add_u32_e32 v122, s9, v0
	buffer_load_dword v0, off, s[20:23], 0 offset:100 ; 4-byte Folded Reload
	s_waitcnt vmcnt(0)
	v_add_u32_e32 v2, s9, v0
	;; [unrolled: 3-line block ×3, first 2 shown]
	v_mad_i64_i32 v[0:1], s[0:1], v0, 36, v[27:28]
	global_load_dword v0, v[0:1], off offset:4
	s_nop 0
	buffer_load_dword v1, off, s[20:23], 0 offset:108 ; 4-byte Folded Reload
	buffer_load_dword v3, off, s[20:23], 0 offset:120 ; 4-byte Folded Reload
	s_waitcnt vmcnt(0)
	v_add_u32_e32 v123, v1, v3
	ds_write_b32 v123, v0
	buffer_load_dword v0, off, s[20:23], 0 offset:8 ; 4-byte Folded Reload
	s_waitcnt vmcnt(0)
	v_add_u32_e32 v0, v2, v0
	v_mad_i64_i32 v[0:1], s[0:1], v0, 36, v[27:28]
	global_load_dword v0, v[0:1], off offset:4
	s_nop 0
	buffer_load_dword v1, off, s[20:23], 0 offset:44 ; 4-byte Folded Reload
	s_waitcnt vmcnt(0)
	ds_write_b32 v1, v0
	buffer_load_dword v0, off, s[20:23], 0 offset:12 ; 4-byte Folded Reload
	s_waitcnt vmcnt(0)
	v_add_u32_e32 v0, v2, v0
	v_mad_i64_i32 v[0:1], s[0:1], v0, 36, v[27:28]
	global_load_dword v0, v[0:1], off offset:4
	s_nop 0
	buffer_load_dword v1, off, s[20:23], 0 offset:48 ; 4-byte Folded Reload
	s_waitcnt vmcnt(0)
	;; [unrolled: 9-line block ×7, first 2 shown]
	ds_write_b32 v1, v0
	v_mad_u64_u32 v[0:1], s[0:1], v122, 36, s[2:3]
	s_mov_b32 s0, -4
	global_load_dword v0, v[0:1], off
	s_nop 0
	buffer_load_dword v1, off, s[20:23], 0  ; 4-byte Folded Reload
	s_waitcnt vmcnt(0)
	ds_write_b32 v1, v0
	s_waitcnt lgkmcnt(0)
	s_barrier
	buffer_load_dword v124, off, s[20:23], 0 offset:40 ; 4-byte Folded Reload
	buffer_load_dword v125, off, s[20:23], 0 offset:36 ; 4-byte Folded Reload
	;; [unrolled: 1-line block ×7, first 2 shown]
	s_waitcnt vmcnt(0)
	v_mul_u32_u24_e32 v68, 0x84, v0
.LBB140_9:                              ;   Parent Loop BB140_7 Depth=1
                                        ; =>  This Inner Loop Header: Depth=2
	ds_read_b128 v[2:5], v124
	ds_read_b128 v[6:9], v124 offset:16
	ds_read2_b32 v[29:30], v125 offset1:32
	ds_read_b32 v77, v126
	ds_read2_b32 v[0:1], v68 offset1:1
	s_add_i32 s0, s0, 4
	v_add_u32_e32 v126, 4, v126
	s_cmp_lt_u32 s0, 12
	s_waitcnt lgkmcnt(0)
	v_and_b32_e32 v79, 0xf0f0f0f, v0
	v_lshrrev_b32_e32 v0, 4, v0
	v_and_b32_e32 v81, 0xf0f0f0f, v0
	v_dot4_i32_i8 v0, v79, v2, 0
	v_dot4_i32_i8 v0, v81, v6, v0
	v_and_b32_e32 v82, 0xf0f0f0f, v1
	v_lshrrev_b32_e32 v1, 4, v1
	v_and_b32_e32 v84, 0xf0f0f0f, v1
	v_dot4_i32_i8 v0, v82, v3, v0
	v_dot4_i32_i8 v10, v84, v7, v0
	ds_read2_b32 v[0:1], v68 offset0:2 offset1:3
	s_waitcnt lgkmcnt(0)
	v_and_b32_e32 v31, 0xf0f0f0f, v0
	v_lshrrev_b32_e32 v0, 4, v0
	v_and_b32_e32 v76, 0xf0f0f0f, v0
	v_dot4_i32_i8 v0, v31, v4, v10
	v_dot4_i32_i8 v0, v76, v8, v0
	v_and_b32_e32 v33, 0xf0f0f0f, v1
	v_lshrrev_b32_e32 v1, 4, v1
	v_and_b32_e32 v51, 0xf0f0f0f, v1
	v_dot4_i32_i8 v0, v33, v5, v0
	v_dot4_i32_i8 v0, v51, v9, v0
	v_cvt_f32_i32_e32 v0, v0
	v_pk_mul_f16 v1, v29, v77
	v_fma_mix_f32 v0, v1, v0, v1 op_sel:[0,0,1] op_sel_hi:[1,0,1]
	v_add_f32_e32 v32, v32, v0
	v_add_u32_e32 v0, 0x1080, v68
	ds_read_b32 v60, v127
	ds_read2_b32 v[0:1], v0 offset1:1
	v_add_u32_e32 v127, 4, v127
	s_waitcnt lgkmcnt(0)
	v_and_b32_e32 v73, 0xf0f0f0f, v1
	v_lshrrev_b32_e32 v1, 4, v1
	v_and_b32_e32 v57, 0xf0f0f0f, v1
	v_add_u32_e32 v1, 0x1088, v68
	ds_read2_b32 v[35:36], v1 offset1:1
	v_and_b32_e32 v52, 0xf0f0f0f, v0
	v_lshrrev_b32_e32 v0, 4, v0
	v_and_b32_e32 v71, 0xf0f0f0f, v0
	v_dot4_i32_i8 v0, v52, v2, 0
	v_dot4_i32_i8 v0, v71, v6, v0
	;; [unrolled: 1-line block ×4, first 2 shown]
	s_waitcnt lgkmcnt(0)
	v_and_b32_e32 v58, 0xf0f0f0f, v35
	v_lshrrev_b32_e32 v1, 4, v35
	v_and_b32_e32 v1, 0xf0f0f0f, v1
	v_dot4_i32_i8 v0, v58, v4, v0
	v_dot4_i32_i8 v0, v1, v8, v0
	v_and_b32_e32 v59, 0xf0f0f0f, v36
	v_lshrrev_b32_e32 v10, 4, v36
	v_and_b32_e32 v61, 0xf0f0f0f, v10
	v_dot4_i32_i8 v0, v59, v5, v0
	v_dot4_i32_i8 v0, v61, v9, v0
	v_cvt_f32_i32_e32 v0, v0
	v_pk_mul_f16 v10, v29, v60
	v_fma_mix_f32 v0, v10, v0, v10 op_sel:[0,0,1] op_sel_hi:[1,0,1]
	v_add_f32_e32 v113, v113, v0
	v_add_u32_e32 v0, 0x2100, v68
	ds_read_b32 v62, v70
	ds_read2_b32 v[35:36], v0 offset1:1
	v_add_u32_e32 v70, 4, v70
	s_waitcnt lgkmcnt(0)
	v_lshrrev_b32_e32 v10, 4, v36
	v_and_b32_e32 v66, 0xf0f0f0f, v10
	v_add_u32_e32 v10, 0x2108, v68
	v_and_b32_e32 v63, 0xf0f0f0f, v35
	v_lshrrev_b32_e32 v0, 4, v35
	v_and_b32_e32 v65, 0xf0f0f0f, v36
	ds_read2_b32 v[35:36], v10 offset1:1
	v_and_b32_e32 v64, 0xf0f0f0f, v0
	v_dot4_i32_i8 v0, v63, v2, 0
	v_dot4_i32_i8 v0, v64, v6, v0
	v_dot4_i32_i8 v0, v65, v3, v0
	v_dot4_i32_i8 v0, v66, v7, v0
	s_waitcnt lgkmcnt(0)
	v_and_b32_e32 v67, 0xf0f0f0f, v35
	v_lshrrev_b32_e32 v10, 4, v35
	v_and_b32_e32 v94, 0xf0f0f0f, v10
	v_dot4_i32_i8 v0, v67, v4, v0
	v_dot4_i32_i8 v0, v94, v8, v0
	v_and_b32_e32 v96, 0xf0f0f0f, v36
	v_lshrrev_b32_e32 v10, 4, v36
	v_and_b32_e32 v98, 0xf0f0f0f, v10
	v_dot4_i32_i8 v0, v96, v5, v0
	v_dot4_i32_i8 v0, v98, v9, v0
	v_cvt_f32_i32_e32 v0, v0
	v_pk_mul_f16 v10, v29, v62
	v_fma_mix_f32 v0, v10, v0, v10 op_sel:[0,0,1] op_sel_hi:[1,0,1]
	v_add_f32_e32 v118, v118, v0
	v_add_u32_e32 v0, 0x3180, v68
	ds_read_b32 v26, v69
	ds_read2_b32 v[36:37], v0 offset1:1
	v_add_u32_e32 v69, 4, v69
	s_waitcnt lgkmcnt(0)
	v_and_b32_e32 v35, 0xf0f0f0f, v36
	v_lshrrev_b32_e32 v0, 4, v36
	v_and_b32_e32 v0, 0xf0f0f0f, v0
	v_dot4_i32_i8 v2, v35, v2, 0
	v_dot4_i32_i8 v2, v0, v6, v2
	v_and_b32_e32 v106, 0xf0f0f0f, v37
	v_lshrrev_b32_e32 v6, 4, v37
	v_and_b32_e32 v100, 0xf0f0f0f, v6
	v_dot4_i32_i8 v2, v106, v3, v2
	v_dot4_i32_i8 v6, v100, v7, v2
	v_add_u32_e32 v2, 0x3188, v68
	ds_read2_b32 v[2:3], v2 offset1:1
	v_pk_mul_f16 v36, v77, v30
	v_add_u32_e32 v68, 16, v68
	s_waitcnt lgkmcnt(0)
	v_and_b32_e32 v10, 0xf0f0f0f, v2
	v_lshrrev_b32_e32 v2, 4, v2
	v_and_b32_e32 v75, 0xf0f0f0f, v2
	v_dot4_i32_i8 v2, v10, v4, v6
	v_dot4_i32_i8 v2, v75, v8, v2
	v_and_b32_e32 v102, 0xf0f0f0f, v3
	v_lshrrev_b32_e32 v3, 4, v3
	v_and_b32_e32 v104, 0xf0f0f0f, v3
	v_dot4_i32_i8 v2, v102, v5, v2
	v_dot4_i32_i8 v2, v104, v9, v2
	v_cvt_f32_i32_e32 v2, v2
	v_pk_mul_f16 v3, v29, v26
	v_fma_mix_f32 v2, v3, v2, v3 op_sel:[0,0,1] op_sel_hi:[1,0,1]
	v_add_f32_e32 v121, v121, v2
	ds_read_b128 v[2:5], v124 offset:1024
	ds_read_b128 v[6:9], v124 offset:1040
	s_waitcnt lgkmcnt(1)
	v_dot4_i32_i8 v29, v79, v2, 0
	s_waitcnt lgkmcnt(0)
	v_dot4_i32_i8 v29, v81, v6, v29
	v_dot4_i32_i8 v29, v82, v3, v29
	;; [unrolled: 1-line block ×7, first 2 shown]
	v_cvt_f32_i32_e32 v29, v29
	v_fma_mix_f32 v29, v29, v36, v36 op_sel:[0,0,1] op_sel_hi:[0,1,1]
	v_add_f32_e32 v99, v99, v29
	v_dot4_i32_i8 v29, v52, v2, 0
	v_dot4_i32_i8 v29, v71, v6, v29
	;; [unrolled: 1-line block ×8, first 2 shown]
	v_cvt_f32_i32_e32 v29, v29
	v_pk_mul_f16 v36, v60, v30
	v_fma_mix_f32 v29, v29, v36, v36 op_sel:[0,0,1] op_sel_hi:[0,1,1]
	v_add_f32_e32 v110, v110, v29
	v_dot4_i32_i8 v29, v63, v2, 0
	v_dot4_i32_i8 v2, v35, v2, 0
	;; [unrolled: 1-line block ×16, first 2 shown]
	v_cvt_f32_i32_e32 v2, v2
	v_cvt_f32_i32_e32 v29, v29
	v_pk_mul_f16 v3, v26, v30
	v_pk_mul_f16 v36, v62, v30
	v_fma_mix_f32 v2, v2, v3, v3 op_sel:[0,0,1] op_sel_hi:[0,1,1]
	v_fma_mix_f32 v29, v29, v36, v36 op_sel:[0,0,1] op_sel_hi:[0,1,1]
	v_add_f32_e32 v120, v120, v2
	ds_read_b128 v[4:7], v124 offset:2048
	ds_read_b128 v[36:39], v124 offset:2064
	ds_read2_b32 v[2:3], v125 offset0:64 offset1:96
	v_add_f32_e32 v116, v116, v29
	s_waitcnt lgkmcnt(2)
	v_dot4_i32_i8 v8, v79, v4, 0
	s_waitcnt lgkmcnt(1)
	v_dot4_i32_i8 v8, v81, v36, v8
	v_dot4_i32_i8 v8, v82, v5, v8
	;; [unrolled: 1-line block ×7, first 2 shown]
	v_cvt_f32_i32_e32 v8, v8
	s_waitcnt lgkmcnt(0)
	v_pk_mul_f16 v9, v77, v2
	v_fma_mix_f32 v8, v8, v9, v9 op_sel:[0,0,1] op_sel_hi:[0,1,1]
	v_add_f32_e32 v93, v93, v8
	v_dot4_i32_i8 v8, v52, v4, 0
	v_dot4_i32_i8 v8, v71, v36, v8
	;; [unrolled: 1-line block ×8, first 2 shown]
	v_cvt_f32_i32_e32 v8, v8
	v_pk_mul_f16 v9, v60, v2
	v_fma_mix_f32 v8, v8, v9, v9 op_sel:[0,0,1] op_sel_hi:[0,1,1]
	v_add_f32_e32 v107, v107, v8
	v_dot4_i32_i8 v8, v63, v4, 0
	v_dot4_i32_i8 v4, v35, v4, 0
	;; [unrolled: 1-line block ×12, first 2 shown]
	v_cvt_f32_i32_e32 v4, v4
	v_dot4_i32_i8 v8, v67, v6, v8
	v_dot4_i32_i8 v8, v94, v38, v8
	;; [unrolled: 1-line block ×3, first 2 shown]
	v_pk_mul_f16 v9, v62, v2
	v_pk_mul_f16 v2, v26, v2
	v_dot4_i32_i8 v8, v98, v39, v8
	v_fma_mix_f32 v2, v4, v2, v2 op_sel:[0,0,1] op_sel_hi:[0,1,1]
	ds_read_b128 v[4:7], v124 offset:3072
	ds_read_b128 v[36:39], v124 offset:3088
	v_add_f32_e32 v119, v119, v2
	v_cvt_f32_i32_e32 v8, v8
	s_waitcnt lgkmcnt(1)
	v_dot4_i32_i8 v2, v79, v4, 0
	s_waitcnt lgkmcnt(0)
	v_dot4_i32_i8 v2, v81, v36, v2
	v_dot4_i32_i8 v2, v82, v5, v2
	;; [unrolled: 1-line block ×7, first 2 shown]
	v_cvt_f32_i32_e32 v2, v2
	v_fma_mix_f32 v8, v8, v9, v9 op_sel:[0,0,1] op_sel_hi:[0,1,1]
	v_add_f32_e32 v114, v114, v8
	v_pk_mul_f16 v8, v77, v3
	v_fma_mix_f32 v2, v2, v8, v8 op_sel:[0,0,1] op_sel_hi:[0,1,1]
	v_add_f32_e32 v87, v87, v2
	v_dot4_i32_i8 v2, v52, v4, 0
	v_dot4_i32_i8 v2, v71, v36, v2
	v_dot4_i32_i8 v2, v73, v5, v2
	v_dot4_i32_i8 v2, v57, v37, v2
	v_dot4_i32_i8 v2, v58, v6, v2
	v_dot4_i32_i8 v2, v1, v38, v2
	v_dot4_i32_i8 v2, v59, v7, v2
	v_dot4_i32_i8 v2, v61, v39, v2
	v_cvt_f32_i32_e32 v2, v2
	v_pk_mul_f16 v8, v60, v3
	v_fma_mix_f32 v2, v2, v8, v8 op_sel:[0,0,1] op_sel_hi:[0,1,1]
	v_add_f32_e32 v101, v101, v2
	v_dot4_i32_i8 v2, v63, v4, 0
	v_dot4_i32_i8 v2, v64, v36, v2
	v_dot4_i32_i8 v2, v65, v5, v2
	v_dot4_i32_i8 v2, v66, v37, v2
	v_dot4_i32_i8 v2, v67, v6, v2
	v_dot4_i32_i8 v2, v94, v38, v2
	v_dot4_i32_i8 v2, v96, v7, v2
	v_dot4_i32_i8 v2, v98, v39, v2
	v_cvt_f32_i32_e32 v2, v2
	v_pk_mul_f16 v8, v62, v3
	v_pk_mul_f16 v3, v26, v3
	v_fma_mix_f32 v2, v2, v8, v8 op_sel:[0,0,1] op_sel_hi:[0,1,1]
	v_add_f32_e32 v111, v111, v2
	v_dot4_i32_i8 v2, v35, v4, 0
	v_dot4_i32_i8 v2, v0, v36, v2
	;; [unrolled: 1-line block ×8, first 2 shown]
	v_cvt_f32_i32_e32 v2, v2
	v_fma_mix_f32 v2, v2, v3, v3 op_sel:[0,0,1] op_sel_hi:[0,1,1]
	v_add_f32_e32 v117, v117, v2
	ds_read_b128 v[2:5], v124 offset:4096
	ds_read_b128 v[6:9], v124 offset:4112
	ds_read2_b32 v[29:30], v125 offset0:128 offset1:160
	s_waitcnt lgkmcnt(2)
	v_dot4_i32_i8 v36, v79, v2, 0
	s_waitcnt lgkmcnt(1)
	v_dot4_i32_i8 v36, v81, v6, v36
	v_dot4_i32_i8 v36, v82, v3, v36
	;; [unrolled: 1-line block ×7, first 2 shown]
	v_cvt_f32_i32_e32 v36, v36
	s_waitcnt lgkmcnt(0)
	v_pk_mul_f16 v37, v77, v29
	v_fma_mix_f32 v36, v36, v37, v37 op_sel:[0,0,1] op_sel_hi:[0,1,1]
	v_add_f32_e32 v83, v83, v36
	v_dot4_i32_i8 v36, v52, v2, 0
	v_dot4_i32_i8 v36, v71, v6, v36
	;; [unrolled: 1-line block ×8, first 2 shown]
	v_cvt_f32_i32_e32 v36, v36
	v_pk_mul_f16 v37, v60, v29
	v_fma_mix_f32 v36, v36, v37, v37 op_sel:[0,0,1] op_sel_hi:[0,1,1]
	v_add_f32_e32 v95, v95, v36
	v_dot4_i32_i8 v36, v63, v2, 0
	v_dot4_i32_i8 v2, v35, v2, 0
	;; [unrolled: 1-line block ×11, first 2 shown]
	v_cvt_f32_i32_e32 v2, v2
	v_dot4_i32_i8 v36, v66, v7, v36
	v_dot4_i32_i8 v36, v67, v4, v36
	v_dot4_i32_i8 v36, v94, v8, v36
	v_pk_mul_f16 v3, v26, v29
	v_dot4_i32_i8 v36, v96, v5, v36
	v_fma_mix_f32 v2, v2, v3, v3 op_sel:[0,0,1] op_sel_hi:[0,1,1]
	v_dot4_i32_i8 v36, v98, v9, v36
	v_add_f32_e32 v115, v115, v2
	ds_read_b128 v[2:5], v124 offset:5120
	ds_read_b128 v[6:9], v124 offset:5136
	v_pk_mul_f16 v37, v62, v29
	v_cvt_f32_i32_e32 v36, v36
	s_waitcnt lgkmcnt(1)
	v_dot4_i32_i8 v29, v79, v2, 0
	s_waitcnt lgkmcnt(0)
	v_dot4_i32_i8 v29, v81, v6, v29
	v_dot4_i32_i8 v29, v82, v3, v29
	;; [unrolled: 1-line block ×7, first 2 shown]
	v_cvt_f32_i32_e32 v29, v29
	v_fma_mix_f32 v36, v36, v37, v37 op_sel:[0,0,1] op_sel_hi:[0,1,1]
	v_add_f32_e32 v108, v108, v36
	v_pk_mul_f16 v36, v77, v30
	v_fma_mix_f32 v29, v29, v36, v36 op_sel:[0,0,1] op_sel_hi:[0,1,1]
	v_add_f32_e32 v78, v78, v29
	v_dot4_i32_i8 v29, v52, v2, 0
	v_dot4_i32_i8 v29, v71, v6, v29
	;; [unrolled: 1-line block ×8, first 2 shown]
	v_cvt_f32_i32_e32 v29, v29
	v_pk_mul_f16 v36, v60, v30
	v_fma_mix_f32 v29, v29, v36, v36 op_sel:[0,0,1] op_sel_hi:[0,1,1]
	v_add_f32_e32 v89, v89, v29
	v_dot4_i32_i8 v29, v63, v2, 0
	v_dot4_i32_i8 v2, v35, v2, 0
	v_dot4_i32_i8 v2, v0, v6, v2
	v_dot4_i32_i8 v29, v64, v6, v29
	v_dot4_i32_i8 v2, v106, v3, v2
	v_dot4_i32_i8 v29, v65, v3, v29
	v_dot4_i32_i8 v2, v100, v7, v2
	v_dot4_i32_i8 v29, v66, v7, v29
	v_dot4_i32_i8 v2, v10, v4, v2
	v_dot4_i32_i8 v29, v67, v4, v29
	v_dot4_i32_i8 v2, v75, v8, v2
	v_dot4_i32_i8 v29, v94, v8, v29
	v_dot4_i32_i8 v2, v102, v5, v2
	v_dot4_i32_i8 v29, v96, v5, v29
	v_dot4_i32_i8 v2, v104, v9, v2
	v_dot4_i32_i8 v29, v98, v9, v29
	v_cvt_f32_i32_e32 v2, v2
	v_cvt_f32_i32_e32 v29, v29
	v_pk_mul_f16 v3, v26, v30
	v_pk_mul_f16 v36, v62, v30
	v_fma_mix_f32 v2, v2, v3, v3 op_sel:[0,0,1] op_sel_hi:[0,1,1]
	v_fma_mix_f32 v29, v29, v36, v36 op_sel:[0,0,1] op_sel_hi:[0,1,1]
	v_add_f32_e32 v112, v112, v2
	ds_read_b128 v[4:7], v124 offset:6144
	ds_read_b128 v[36:39], v124 offset:6160
	ds_read2_b32 v[2:3], v125 offset0:192 offset1:224
	v_add_f32_e32 v103, v103, v29
	v_add_u32_e32 v125, 4, v125
	s_waitcnt lgkmcnt(2)
	v_dot4_i32_i8 v8, v79, v4, 0
	s_waitcnt lgkmcnt(1)
	v_dot4_i32_i8 v8, v81, v36, v8
	v_dot4_i32_i8 v8, v82, v5, v8
	;; [unrolled: 1-line block ×7, first 2 shown]
	v_cvt_f32_i32_e32 v8, v8
	s_waitcnt lgkmcnt(0)
	v_pk_mul_f16 v9, v77, v2
	v_fma_mix_f32 v8, v8, v9, v9 op_sel:[0,0,1] op_sel_hi:[0,1,1]
	v_add_f32_e32 v74, v74, v8
	v_dot4_i32_i8 v8, v52, v4, 0
	v_dot4_i32_i8 v8, v71, v36, v8
	;; [unrolled: 1-line block ×8, first 2 shown]
	v_cvt_f32_i32_e32 v8, v8
	v_pk_mul_f16 v9, v60, v2
	v_fma_mix_f32 v8, v8, v9, v9 op_sel:[0,0,1] op_sel_hi:[0,1,1]
	v_add_f32_e32 v85, v85, v8
	v_dot4_i32_i8 v8, v63, v4, 0
	v_dot4_i32_i8 v4, v35, v4, 0
	;; [unrolled: 1-line block ×12, first 2 shown]
	v_cvt_f32_i32_e32 v4, v4
	v_dot4_i32_i8 v8, v67, v6, v8
	v_dot4_i32_i8 v8, v94, v38, v8
	;; [unrolled: 1-line block ×3, first 2 shown]
	v_pk_mul_f16 v9, v62, v2
	v_pk_mul_f16 v2, v26, v2
	v_dot4_i32_i8 v8, v98, v39, v8
	v_fma_mix_f32 v2, v4, v2, v2 op_sel:[0,0,1] op_sel_hi:[0,1,1]
	ds_read_b128 v[4:7], v124 offset:7168
	ds_read_b128 v[36:39], v124 offset:7184
	v_add_f32_e32 v109, v109, v2
	v_cvt_f32_i32_e32 v8, v8
	v_add_u32_e32 v124, 32, v124
	s_waitcnt lgkmcnt(1)
	v_dot4_i32_i8 v2, v79, v4, 0
	s_waitcnt lgkmcnt(0)
	v_dot4_i32_i8 v2, v81, v36, v2
	v_dot4_i32_i8 v2, v82, v5, v2
	;; [unrolled: 1-line block ×7, first 2 shown]
	v_cvt_f32_i32_e32 v2, v2
	v_fma_mix_f32 v8, v8, v9, v9 op_sel:[0,0,1] op_sel_hi:[0,1,1]
	v_add_f32_e32 v97, v97, v8
	v_pk_mul_f16 v8, v77, v3
	v_fma_mix_f32 v2, v2, v8, v8 op_sel:[0,0,1] op_sel_hi:[0,1,1]
	v_add_f32_e32 v72, v72, v2
	v_dot4_i32_i8 v2, v52, v4, 0
	v_dot4_i32_i8 v2, v71, v36, v2
	v_dot4_i32_i8 v2, v73, v5, v2
	v_dot4_i32_i8 v2, v57, v37, v2
	v_dot4_i32_i8 v2, v58, v6, v2
	v_dot4_i32_i8 v1, v1, v38, v2
	v_dot4_i32_i8 v1, v59, v7, v1
	v_dot4_i32_i8 v1, v61, v39, v1
	v_cvt_f32_i32_e32 v1, v1
	v_pk_mul_f16 v2, v60, v3
	v_fma_mix_f32 v1, v1, v2, v2 op_sel:[0,0,1] op_sel_hi:[0,1,1]
	v_add_f32_e32 v80, v80, v1
	v_dot4_i32_i8 v1, v63, v4, 0
	v_dot4_i32_i8 v1, v64, v36, v1
	v_dot4_i32_i8 v1, v65, v5, v1
	v_dot4_i32_i8 v1, v66, v37, v1
	v_dot4_i32_i8 v1, v67, v6, v1
	v_dot4_i32_i8 v1, v94, v38, v1
	v_dot4_i32_i8 v1, v96, v7, v1
	v_dot4_i32_i8 v1, v98, v39, v1
	v_cvt_f32_i32_e32 v1, v1
	;; [unrolled: 12-line block ×3, first 2 shown]
	v_pk_mul_f16 v1, v26, v3
	v_fma_mix_f32 v0, v0, v1, v1 op_sel:[0,0,1] op_sel_hi:[0,1,1]
	v_add_f32_e32 v105, v105, v0
	s_cbranch_scc1 .LBB140_9
; %bb.10:                               ;   in Loop: Header=BB140_7 Depth=1
	s_and_b32 s0, s8, -4
	s_cmp_eq_u32 s0, 4
	s_barrier
	s_cbranch_scc1 .LBB140_5
; %bb.11:                               ;   in Loop: Header=BB140_7 Depth=1
	buffer_load_dword v0, off, s[20:23], 0 offset:156 ; 4-byte Folded Reload
	s_waitcnt vmcnt(0)
	v_add_u32_e32 v2, s9, v0
	buffer_load_dword v0, off, s[20:23], 0 offset:4 ; 4-byte Folded Reload
	s_waitcnt vmcnt(0)
	v_add_u32_e32 v0, v2, v0
	v_mad_i64_i32 v[0:1], s[0:1], v0, 36, v[27:28]
	global_load_dword v0, v[0:1], off offset:4
	s_waitcnt vmcnt(0)
	ds_write_b32 v123, v0
	buffer_load_dword v0, off, s[20:23], 0 offset:8 ; 4-byte Folded Reload
	s_waitcnt vmcnt(0)
	v_add_u32_e32 v0, v2, v0
	v_mad_i64_i32 v[0:1], s[0:1], v0, 36, v[27:28]
	global_load_dword v0, v[0:1], off offset:4
	s_nop 0
	buffer_load_dword v1, off, s[20:23], 0 offset:44 ; 4-byte Folded Reload
	s_waitcnt vmcnt(0)
	ds_write_b32 v1, v0
	buffer_load_dword v0, off, s[20:23], 0 offset:12 ; 4-byte Folded Reload
	s_waitcnt vmcnt(0)
	v_add_u32_e32 v0, v2, v0
	v_mad_i64_i32 v[0:1], s[0:1], v0, 36, v[27:28]
	global_load_dword v0, v[0:1], off offset:4
	s_nop 0
	buffer_load_dword v1, off, s[20:23], 0 offset:48 ; 4-byte Folded Reload
	;; [unrolled: 9-line block ×7, first 2 shown]
	s_waitcnt vmcnt(0)
	ds_write_b32 v1, v0
	v_add_u32_e32 v0, 4, v122
	v_mad_u64_u32 v[0:1], s[0:1], v0, 36, s[2:3]
	s_mov_b32 s0, 12
	global_load_dword v0, v[0:1], off
	s_nop 0
	buffer_load_dword v1, off, s[20:23], 0  ; 4-byte Folded Reload
	s_waitcnt vmcnt(0)
	ds_write_b32 v1, v0
	s_waitcnt lgkmcnt(0)
	s_barrier
	buffer_load_dword v122, off, s[20:23], 0 offset:36 ; 4-byte Folded Reload
	buffer_load_dword v123, off, s[20:23], 0 offset:40 ; 4-byte Folded Reload
	;; [unrolled: 1-line block ×7, first 2 shown]
.LBB140_12:                             ;   Parent Loop BB140_7 Depth=1
                                        ; =>  This Inner Loop Header: Depth=2
	s_waitcnt vmcnt(5)
	ds_read_b128 v[2:5], v123
	ds_read_b128 v[6:9], v123 offset:16
	ds_read2_b32 v[29:30], v122 offset1:32
	s_waitcnt vmcnt(4)
	ds_read_b32 v77, v124
	s_waitcnt vmcnt(0)
	ds_read2_b32 v[0:1], v68 offset1:1
	s_add_i32 s0, s0, 4
	v_add_u32_e32 v124, 4, v124
	s_cmp_lt_u32 s0, 28
	s_waitcnt lgkmcnt(0)
	v_and_b32_e32 v79, 0xf0f0f0f, v0
	v_lshrrev_b32_e32 v0, 4, v0
	v_and_b32_e32 v81, 0xf0f0f0f, v0
	v_dot4_i32_i8 v0, v79, v2, 0
	v_dot4_i32_i8 v0, v81, v6, v0
	v_and_b32_e32 v82, 0xf0f0f0f, v1
	v_lshrrev_b32_e32 v1, 4, v1
	v_and_b32_e32 v84, 0xf0f0f0f, v1
	v_dot4_i32_i8 v0, v82, v3, v0
	v_dot4_i32_i8 v10, v84, v7, v0
	ds_read2_b32 v[0:1], v68 offset0:2 offset1:3
	s_waitcnt lgkmcnt(0)
	v_and_b32_e32 v31, 0xf0f0f0f, v0
	v_lshrrev_b32_e32 v0, 4, v0
	v_and_b32_e32 v76, 0xf0f0f0f, v0
	v_dot4_i32_i8 v0, v31, v4, v10
	v_dot4_i32_i8 v0, v76, v8, v0
	v_and_b32_e32 v33, 0xf0f0f0f, v1
	v_lshrrev_b32_e32 v1, 4, v1
	v_and_b32_e32 v26, 0xf0f0f0f, v1
	v_dot4_i32_i8 v0, v33, v5, v0
	v_dot4_i32_i8 v0, v26, v9, v0
	v_cvt_f32_i32_e32 v0, v0
	v_pk_mul_f16 v1, v29, v77
	v_fma_mix_f32 v0, v1, v0, v1 op_sel:[0,0,1] op_sel_hi:[1,0,1]
	v_add_f32_e32 v32, v32, v0
	v_add_u32_e32 v0, 0x1080, v68
	ds_read_b32 v60, v70
	ds_read2_b32 v[0:1], v0 offset1:1
	v_add_u32_e32 v70, 4, v70
	s_waitcnt lgkmcnt(0)
	v_and_b32_e32 v73, 0xf0f0f0f, v1
	v_lshrrev_b32_e32 v1, 4, v1
	v_and_b32_e32 v57, 0xf0f0f0f, v1
	v_add_u32_e32 v1, 0x1088, v68
	ds_read2_b32 v[35:36], v1 offset1:1
	v_and_b32_e32 v52, 0xf0f0f0f, v0
	v_lshrrev_b32_e32 v0, 4, v0
	v_and_b32_e32 v71, 0xf0f0f0f, v0
	v_dot4_i32_i8 v0, v52, v2, 0
	v_dot4_i32_i8 v0, v71, v6, v0
	;; [unrolled: 1-line block ×4, first 2 shown]
	s_waitcnt lgkmcnt(0)
	v_and_b32_e32 v58, 0xf0f0f0f, v35
	v_lshrrev_b32_e32 v1, 4, v35
	v_and_b32_e32 v1, 0xf0f0f0f, v1
	v_dot4_i32_i8 v0, v58, v4, v0
	v_dot4_i32_i8 v0, v1, v8, v0
	v_and_b32_e32 v59, 0xf0f0f0f, v36
	v_lshrrev_b32_e32 v10, 4, v36
	v_and_b32_e32 v61, 0xf0f0f0f, v10
	v_dot4_i32_i8 v0, v59, v5, v0
	v_dot4_i32_i8 v0, v61, v9, v0
	v_cvt_f32_i32_e32 v0, v0
	v_pk_mul_f16 v10, v29, v60
	v_fma_mix_f32 v0, v10, v0, v10 op_sel:[0,0,1] op_sel_hi:[1,0,1]
	v_add_f32_e32 v113, v113, v0
	v_add_u32_e32 v0, 0x2100, v68
	ds_read_b32 v62, v69
	ds_read2_b32 v[35:36], v0 offset1:1
	v_add_u32_e32 v69, 4, v69
	s_waitcnt lgkmcnt(0)
	v_lshrrev_b32_e32 v10, 4, v36
	v_and_b32_e32 v66, 0xf0f0f0f, v10
	v_add_u32_e32 v10, 0x2108, v68
	v_and_b32_e32 v63, 0xf0f0f0f, v35
	v_lshrrev_b32_e32 v0, 4, v35
	v_and_b32_e32 v65, 0xf0f0f0f, v36
	ds_read2_b32 v[35:36], v10 offset1:1
	v_and_b32_e32 v64, 0xf0f0f0f, v0
	v_dot4_i32_i8 v0, v63, v2, 0
	v_dot4_i32_i8 v0, v64, v6, v0
	;; [unrolled: 1-line block ×4, first 2 shown]
	s_waitcnt lgkmcnt(0)
	v_and_b32_e32 v67, 0xf0f0f0f, v35
	v_lshrrev_b32_e32 v10, 4, v35
	v_and_b32_e32 v94, 0xf0f0f0f, v10
	v_dot4_i32_i8 v0, v67, v4, v0
	v_dot4_i32_i8 v0, v94, v8, v0
	v_and_b32_e32 v96, 0xf0f0f0f, v36
	v_lshrrev_b32_e32 v10, 4, v36
	v_and_b32_e32 v98, 0xf0f0f0f, v10
	v_dot4_i32_i8 v0, v96, v5, v0
	v_dot4_i32_i8 v0, v98, v9, v0
	v_cvt_f32_i32_e32 v0, v0
	v_pk_mul_f16 v10, v29, v62
	v_fma_mix_f32 v0, v10, v0, v10 op_sel:[0,0,1] op_sel_hi:[1,0,1]
	v_add_f32_e32 v118, v118, v0
	v_add_u32_e32 v0, 0x3180, v68
	ds_read_b32 v51, v125
	ds_read2_b32 v[36:37], v0 offset1:1
	v_add_u32_e32 v125, 4, v125
	s_waitcnt lgkmcnt(0)
	v_and_b32_e32 v35, 0xf0f0f0f, v36
	v_lshrrev_b32_e32 v0, 4, v36
	v_and_b32_e32 v0, 0xf0f0f0f, v0
	v_dot4_i32_i8 v2, v35, v2, 0
	v_dot4_i32_i8 v2, v0, v6, v2
	v_and_b32_e32 v106, 0xf0f0f0f, v37
	v_lshrrev_b32_e32 v6, 4, v37
	v_and_b32_e32 v100, 0xf0f0f0f, v6
	v_dot4_i32_i8 v2, v106, v3, v2
	v_dot4_i32_i8 v6, v100, v7, v2
	v_add_u32_e32 v2, 0x3188, v68
	ds_read2_b32 v[2:3], v2 offset1:1
	v_pk_mul_f16 v36, v77, v30
	v_add_u32_e32 v68, 16, v68
	s_waitcnt lgkmcnt(0)
	v_and_b32_e32 v10, 0xf0f0f0f, v2
	v_lshrrev_b32_e32 v2, 4, v2
	v_and_b32_e32 v75, 0xf0f0f0f, v2
	v_dot4_i32_i8 v2, v10, v4, v6
	v_dot4_i32_i8 v2, v75, v8, v2
	v_and_b32_e32 v102, 0xf0f0f0f, v3
	v_lshrrev_b32_e32 v3, 4, v3
	v_and_b32_e32 v104, 0xf0f0f0f, v3
	v_dot4_i32_i8 v2, v102, v5, v2
	v_dot4_i32_i8 v2, v104, v9, v2
	v_cvt_f32_i32_e32 v2, v2
	v_pk_mul_f16 v3, v29, v51
	v_fma_mix_f32 v2, v3, v2, v3 op_sel:[0,0,1] op_sel_hi:[1,0,1]
	v_add_f32_e32 v121, v121, v2
	ds_read_b128 v[2:5], v123 offset:1024
	ds_read_b128 v[6:9], v123 offset:1040
	s_waitcnt lgkmcnt(1)
	v_dot4_i32_i8 v29, v79, v2, 0
	s_waitcnt lgkmcnt(0)
	v_dot4_i32_i8 v29, v81, v6, v29
	v_dot4_i32_i8 v29, v82, v3, v29
	;; [unrolled: 1-line block ×7, first 2 shown]
	v_cvt_f32_i32_e32 v29, v29
	v_fma_mix_f32 v29, v29, v36, v36 op_sel:[0,0,1] op_sel_hi:[0,1,1]
	v_add_f32_e32 v99, v99, v29
	v_dot4_i32_i8 v29, v52, v2, 0
	v_dot4_i32_i8 v29, v71, v6, v29
	;; [unrolled: 1-line block ×8, first 2 shown]
	v_cvt_f32_i32_e32 v29, v29
	v_pk_mul_f16 v36, v60, v30
	v_fma_mix_f32 v29, v29, v36, v36 op_sel:[0,0,1] op_sel_hi:[0,1,1]
	v_add_f32_e32 v110, v110, v29
	v_dot4_i32_i8 v29, v63, v2, 0
	v_dot4_i32_i8 v2, v35, v2, 0
	;; [unrolled: 1-line block ×16, first 2 shown]
	v_cvt_f32_i32_e32 v2, v2
	v_cvt_f32_i32_e32 v29, v29
	v_pk_mul_f16 v3, v51, v30
	v_pk_mul_f16 v36, v62, v30
	v_fma_mix_f32 v2, v2, v3, v3 op_sel:[0,0,1] op_sel_hi:[0,1,1]
	v_fma_mix_f32 v29, v29, v36, v36 op_sel:[0,0,1] op_sel_hi:[0,1,1]
	v_add_f32_e32 v120, v120, v2
	ds_read_b128 v[4:7], v123 offset:2048
	ds_read_b128 v[36:39], v123 offset:2064
	ds_read2_b32 v[2:3], v122 offset0:64 offset1:96
	v_add_f32_e32 v116, v116, v29
	s_waitcnt lgkmcnt(2)
	v_dot4_i32_i8 v8, v79, v4, 0
	s_waitcnt lgkmcnt(1)
	v_dot4_i32_i8 v8, v81, v36, v8
	v_dot4_i32_i8 v8, v82, v5, v8
	;; [unrolled: 1-line block ×7, first 2 shown]
	v_cvt_f32_i32_e32 v8, v8
	s_waitcnt lgkmcnt(0)
	v_pk_mul_f16 v9, v77, v2
	v_fma_mix_f32 v8, v8, v9, v9 op_sel:[0,0,1] op_sel_hi:[0,1,1]
	v_add_f32_e32 v93, v93, v8
	v_dot4_i32_i8 v8, v52, v4, 0
	v_dot4_i32_i8 v8, v71, v36, v8
	v_dot4_i32_i8 v8, v73, v5, v8
	v_dot4_i32_i8 v8, v57, v37, v8
	v_dot4_i32_i8 v8, v58, v6, v8
	v_dot4_i32_i8 v8, v1, v38, v8
	v_dot4_i32_i8 v8, v59, v7, v8
	v_dot4_i32_i8 v8, v61, v39, v8
	v_cvt_f32_i32_e32 v8, v8
	v_pk_mul_f16 v9, v60, v2
	v_fma_mix_f32 v8, v8, v9, v9 op_sel:[0,0,1] op_sel_hi:[0,1,1]
	v_add_f32_e32 v107, v107, v8
	v_dot4_i32_i8 v8, v63, v4, 0
	v_dot4_i32_i8 v4, v35, v4, 0
	;; [unrolled: 1-line block ×12, first 2 shown]
	v_cvt_f32_i32_e32 v4, v4
	v_dot4_i32_i8 v8, v67, v6, v8
	v_dot4_i32_i8 v8, v94, v38, v8
	;; [unrolled: 1-line block ×3, first 2 shown]
	v_pk_mul_f16 v9, v62, v2
	v_pk_mul_f16 v2, v51, v2
	v_dot4_i32_i8 v8, v98, v39, v8
	v_fma_mix_f32 v2, v4, v2, v2 op_sel:[0,0,1] op_sel_hi:[0,1,1]
	ds_read_b128 v[4:7], v123 offset:3072
	ds_read_b128 v[36:39], v123 offset:3088
	v_add_f32_e32 v119, v119, v2
	v_cvt_f32_i32_e32 v8, v8
	s_waitcnt lgkmcnt(1)
	v_dot4_i32_i8 v2, v79, v4, 0
	s_waitcnt lgkmcnt(0)
	v_dot4_i32_i8 v2, v81, v36, v2
	v_dot4_i32_i8 v2, v82, v5, v2
	;; [unrolled: 1-line block ×7, first 2 shown]
	v_cvt_f32_i32_e32 v2, v2
	v_fma_mix_f32 v8, v8, v9, v9 op_sel:[0,0,1] op_sel_hi:[0,1,1]
	v_add_f32_e32 v114, v114, v8
	v_pk_mul_f16 v8, v77, v3
	v_fma_mix_f32 v2, v2, v8, v8 op_sel:[0,0,1] op_sel_hi:[0,1,1]
	v_add_f32_e32 v87, v87, v2
	v_dot4_i32_i8 v2, v52, v4, 0
	v_dot4_i32_i8 v2, v71, v36, v2
	;; [unrolled: 1-line block ×8, first 2 shown]
	v_cvt_f32_i32_e32 v2, v2
	v_pk_mul_f16 v8, v60, v3
	v_fma_mix_f32 v2, v2, v8, v8 op_sel:[0,0,1] op_sel_hi:[0,1,1]
	v_add_f32_e32 v101, v101, v2
	v_dot4_i32_i8 v2, v63, v4, 0
	v_dot4_i32_i8 v2, v64, v36, v2
	;; [unrolled: 1-line block ×8, first 2 shown]
	v_cvt_f32_i32_e32 v2, v2
	v_pk_mul_f16 v8, v62, v3
	v_pk_mul_f16 v3, v51, v3
	v_fma_mix_f32 v2, v2, v8, v8 op_sel:[0,0,1] op_sel_hi:[0,1,1]
	v_add_f32_e32 v111, v111, v2
	v_dot4_i32_i8 v2, v35, v4, 0
	v_dot4_i32_i8 v2, v0, v36, v2
	;; [unrolled: 1-line block ×8, first 2 shown]
	v_cvt_f32_i32_e32 v2, v2
	v_fma_mix_f32 v2, v2, v3, v3 op_sel:[0,0,1] op_sel_hi:[0,1,1]
	v_add_f32_e32 v117, v117, v2
	ds_read_b128 v[2:5], v123 offset:4096
	ds_read_b128 v[6:9], v123 offset:4112
	ds_read2_b32 v[29:30], v122 offset0:128 offset1:160
	s_waitcnt lgkmcnt(2)
	v_dot4_i32_i8 v36, v79, v2, 0
	s_waitcnt lgkmcnt(1)
	v_dot4_i32_i8 v36, v81, v6, v36
	v_dot4_i32_i8 v36, v82, v3, v36
	v_dot4_i32_i8 v36, v84, v7, v36
	v_dot4_i32_i8 v36, v31, v4, v36
	v_dot4_i32_i8 v36, v76, v8, v36
	v_dot4_i32_i8 v36, v33, v5, v36
	v_dot4_i32_i8 v36, v26, v9, v36
	v_cvt_f32_i32_e32 v36, v36
	s_waitcnt lgkmcnt(0)
	v_pk_mul_f16 v37, v77, v29
	v_fma_mix_f32 v36, v36, v37, v37 op_sel:[0,0,1] op_sel_hi:[0,1,1]
	v_add_f32_e32 v83, v83, v36
	v_dot4_i32_i8 v36, v52, v2, 0
	v_dot4_i32_i8 v36, v71, v6, v36
	;; [unrolled: 1-line block ×8, first 2 shown]
	v_cvt_f32_i32_e32 v36, v36
	v_pk_mul_f16 v37, v60, v29
	v_fma_mix_f32 v36, v36, v37, v37 op_sel:[0,0,1] op_sel_hi:[0,1,1]
	v_add_f32_e32 v95, v95, v36
	v_dot4_i32_i8 v36, v63, v2, 0
	v_dot4_i32_i8 v2, v35, v2, 0
	;; [unrolled: 1-line block ×11, first 2 shown]
	v_cvt_f32_i32_e32 v2, v2
	v_dot4_i32_i8 v36, v66, v7, v36
	v_dot4_i32_i8 v36, v67, v4, v36
	;; [unrolled: 1-line block ×3, first 2 shown]
	v_pk_mul_f16 v3, v51, v29
	v_dot4_i32_i8 v36, v96, v5, v36
	v_fma_mix_f32 v2, v2, v3, v3 op_sel:[0,0,1] op_sel_hi:[0,1,1]
	v_dot4_i32_i8 v36, v98, v9, v36
	v_add_f32_e32 v115, v115, v2
	ds_read_b128 v[2:5], v123 offset:5120
	ds_read_b128 v[6:9], v123 offset:5136
	v_pk_mul_f16 v37, v62, v29
	v_cvt_f32_i32_e32 v36, v36
	s_waitcnt lgkmcnt(1)
	v_dot4_i32_i8 v29, v79, v2, 0
	s_waitcnt lgkmcnt(0)
	v_dot4_i32_i8 v29, v81, v6, v29
	v_dot4_i32_i8 v29, v82, v3, v29
	;; [unrolled: 1-line block ×7, first 2 shown]
	v_cvt_f32_i32_e32 v29, v29
	v_fma_mix_f32 v36, v36, v37, v37 op_sel:[0,0,1] op_sel_hi:[0,1,1]
	v_add_f32_e32 v108, v108, v36
	v_pk_mul_f16 v36, v77, v30
	v_fma_mix_f32 v29, v29, v36, v36 op_sel:[0,0,1] op_sel_hi:[0,1,1]
	v_add_f32_e32 v78, v78, v29
	v_dot4_i32_i8 v29, v52, v2, 0
	v_dot4_i32_i8 v29, v71, v6, v29
	;; [unrolled: 1-line block ×8, first 2 shown]
	v_cvt_f32_i32_e32 v29, v29
	v_pk_mul_f16 v36, v60, v30
	v_fma_mix_f32 v29, v29, v36, v36 op_sel:[0,0,1] op_sel_hi:[0,1,1]
	v_add_f32_e32 v89, v89, v29
	v_dot4_i32_i8 v29, v63, v2, 0
	v_dot4_i32_i8 v2, v35, v2, 0
	;; [unrolled: 1-line block ×16, first 2 shown]
	v_cvt_f32_i32_e32 v2, v2
	v_cvt_f32_i32_e32 v29, v29
	v_pk_mul_f16 v3, v51, v30
	v_pk_mul_f16 v36, v62, v30
	v_fma_mix_f32 v2, v2, v3, v3 op_sel:[0,0,1] op_sel_hi:[0,1,1]
	v_fma_mix_f32 v29, v29, v36, v36 op_sel:[0,0,1] op_sel_hi:[0,1,1]
	v_add_f32_e32 v112, v112, v2
	ds_read_b128 v[4:7], v123 offset:6144
	ds_read_b128 v[36:39], v123 offset:6160
	ds_read2_b32 v[2:3], v122 offset0:192 offset1:224
	v_add_f32_e32 v103, v103, v29
	v_add_u32_e32 v122, 4, v122
	s_waitcnt lgkmcnt(2)
	v_dot4_i32_i8 v8, v79, v4, 0
	s_waitcnt lgkmcnt(1)
	v_dot4_i32_i8 v8, v81, v36, v8
	v_dot4_i32_i8 v8, v82, v5, v8
	;; [unrolled: 1-line block ×7, first 2 shown]
	v_cvt_f32_i32_e32 v8, v8
	s_waitcnt lgkmcnt(0)
	v_pk_mul_f16 v9, v77, v2
	v_fma_mix_f32 v8, v8, v9, v9 op_sel:[0,0,1] op_sel_hi:[0,1,1]
	v_add_f32_e32 v74, v74, v8
	v_dot4_i32_i8 v8, v52, v4, 0
	v_dot4_i32_i8 v8, v71, v36, v8
	;; [unrolled: 1-line block ×8, first 2 shown]
	v_cvt_f32_i32_e32 v8, v8
	v_pk_mul_f16 v9, v60, v2
	v_fma_mix_f32 v8, v8, v9, v9 op_sel:[0,0,1] op_sel_hi:[0,1,1]
	v_add_f32_e32 v85, v85, v8
	v_dot4_i32_i8 v8, v63, v4, 0
	v_dot4_i32_i8 v4, v35, v4, 0
	;; [unrolled: 1-line block ×12, first 2 shown]
	v_cvt_f32_i32_e32 v4, v4
	v_dot4_i32_i8 v8, v67, v6, v8
	v_dot4_i32_i8 v8, v94, v38, v8
	;; [unrolled: 1-line block ×3, first 2 shown]
	v_pk_mul_f16 v9, v62, v2
	v_pk_mul_f16 v2, v51, v2
	v_dot4_i32_i8 v8, v98, v39, v8
	v_fma_mix_f32 v2, v4, v2, v2 op_sel:[0,0,1] op_sel_hi:[0,1,1]
	ds_read_b128 v[4:7], v123 offset:7168
	ds_read_b128 v[36:39], v123 offset:7184
	v_add_f32_e32 v109, v109, v2
	v_cvt_f32_i32_e32 v8, v8
	v_add_u32_e32 v123, 32, v123
	s_waitcnt lgkmcnt(1)
	v_dot4_i32_i8 v2, v79, v4, 0
	s_waitcnt lgkmcnt(0)
	v_dot4_i32_i8 v2, v81, v36, v2
	v_dot4_i32_i8 v2, v82, v5, v2
	;; [unrolled: 1-line block ×7, first 2 shown]
	v_cvt_f32_i32_e32 v2, v2
	v_fma_mix_f32 v8, v8, v9, v9 op_sel:[0,0,1] op_sel_hi:[0,1,1]
	v_add_f32_e32 v97, v97, v8
	v_pk_mul_f16 v8, v77, v3
	v_fma_mix_f32 v2, v2, v8, v8 op_sel:[0,0,1] op_sel_hi:[0,1,1]
	v_add_f32_e32 v72, v72, v2
	v_dot4_i32_i8 v2, v52, v4, 0
	v_dot4_i32_i8 v2, v71, v36, v2
	v_dot4_i32_i8 v2, v73, v5, v2
	v_dot4_i32_i8 v2, v57, v37, v2
	v_dot4_i32_i8 v2, v58, v6, v2
	v_dot4_i32_i8 v1, v1, v38, v2
	v_dot4_i32_i8 v1, v59, v7, v1
	v_dot4_i32_i8 v1, v61, v39, v1
	v_cvt_f32_i32_e32 v1, v1
	v_pk_mul_f16 v2, v60, v3
	v_fma_mix_f32 v1, v1, v2, v2 op_sel:[0,0,1] op_sel_hi:[0,1,1]
	v_add_f32_e32 v80, v80, v1
	v_dot4_i32_i8 v1, v63, v4, 0
	v_dot4_i32_i8 v1, v64, v36, v1
	v_dot4_i32_i8 v1, v65, v5, v1
	v_dot4_i32_i8 v1, v66, v37, v1
	v_dot4_i32_i8 v1, v67, v6, v1
	v_dot4_i32_i8 v1, v94, v38, v1
	v_dot4_i32_i8 v1, v96, v7, v1
	v_dot4_i32_i8 v1, v98, v39, v1
	v_cvt_f32_i32_e32 v1, v1
	;; [unrolled: 12-line block ×3, first 2 shown]
	v_pk_mul_f16 v1, v51, v3
	v_fma_mix_f32 v0, v0, v1, v1 op_sel:[0,0,1] op_sel_hi:[0,1,1]
	v_add_f32_e32 v105, v105, v0
	s_cbranch_scc1 .LBB140_12
; %bb.13:                               ;   in Loop: Header=BB140_7 Depth=1
	s_barrier
	s_branch .LBB140_5
.LBB140_14:
	buffer_load_dword v9, off, s[20:23], 0 offset:184 ; 4-byte Folded Reload
	buffer_load_dword v62, off, s[20:23], 0 offset:180 ; 4-byte Folded Reload
	v_cvt_f16_f32_e32 v10, v32
	v_cvt_f16_f32_e32 v11, v113
	;; [unrolled: 1-line block ×23, first 2 shown]
	s_waitcnt vmcnt(7)
	v_cvt_f16_f32_e32 v8, v112
	v_cvt_f16_f32_e32 v7, v74
	;; [unrolled: 1-line block ×9, first 2 shown]
.LBB140_15:
	s_waitcnt vmcnt(1)
	v_cmp_gt_u32_e32 vcc, s10, v9
	s_and_saveexec_b64 s[0:1], vcc
	s_cbranch_execz .LBB140_66
; %bb.16:
	v_mul_lo_u32 v33, v9, s14
	buffer_load_dword v9, off, s[20:23], 0 offset:72 ; 4-byte Folded Reload
	s_waitcnt vmcnt(0)
	v_add_u32_e32 v9, s6, v9
	v_cmp_gt_u32_e32 vcc, s14, v9
	s_and_saveexec_b64 s[2:3], vcc
	s_cbranch_execz .LBB140_18
; %bb.17:
	v_add_u32_e32 v34, v9, v33
	v_mov_b32_e32 v35, 0
	v_lshlrev_b64 v[34:35], 1, v[34:35]
	s_waitcnt lgkmcnt(0)
	v_mov_b32_e32 v36, s13
	v_add_co_u32_e64 v34, s[0:1], s12, v34
	v_addc_co_u32_e64 v35, s[0:1], v36, v35, s[0:1]
	global_store_short v[34:35], v10, off
.LBB140_18:
	s_or_b64 exec, exec, s[2:3]
	v_add_u32_e32 v10, 32, v9
	v_cmp_gt_u32_e64 s[0:1], s14, v10
	s_and_saveexec_b64 s[4:5], s[0:1]
	s_cbranch_execz .LBB140_20
; %bb.19:
	v_add_u32_e32 v34, v10, v33
	v_mov_b32_e32 v35, 0
	v_lshlrev_b64 v[34:35], 1, v[34:35]
	s_waitcnt lgkmcnt(0)
	v_mov_b32_e32 v36, s13
	v_add_co_u32_e64 v34, s[2:3], s12, v34
	v_addc_co_u32_e64 v35, s[2:3], v36, v35, s[2:3]
	global_store_short v[34:35], v11, off
.LBB140_20:
	s_or_b64 exec, exec, s[4:5]
	v_add_u32_e32 v11, 64, v9
	v_cmp_gt_u32_e64 s[2:3], s14, v11
	s_and_saveexec_b64 s[6:7], s[2:3]
	;; [unrolled: 15-line block ×3, first 2 shown]
	s_cbranch_execz .LBB140_24
; %bb.23:
	v_add_u32_e32 v33, v12, v33
	v_mov_b32_e32 v34, 0
	v_lshlrev_b64 v[33:34], 1, v[33:34]
	s_waitcnt lgkmcnt(0)
	v_mov_b32_e32 v35, s13
	v_add_co_u32_e64 v33, s[6:7], s12, v33
	v_addc_co_u32_e64 v34, s[6:7], v35, v34, s[6:7]
	global_store_short v[33:34], v32, off
.LBB140_24:
	s_or_b64 exec, exec, s[8:9]
	v_add3_u32 v32, v62, s15, 8
	v_cmp_gt_u32_e64 s[6:7], s10, v32
	s_and_b64 exec, exec, s[6:7]
	s_cbranch_execz .LBB140_66
; %bb.25:
	v_mul_lo_u32 v32, v32, s14
	s_and_saveexec_b64 s[8:9], vcc
	s_cbranch_execnz .LBB140_67
; %bb.26:
	s_or_b64 exec, exec, s[8:9]
	s_and_saveexec_b64 s[8:9], s[0:1]
	s_cbranch_execnz .LBB140_68
.LBB140_27:
	s_or_b64 exec, exec, s[8:9]
	s_and_saveexec_b64 s[8:9], s[2:3]
	s_cbranch_execnz .LBB140_69
.LBB140_28:
	s_or_b64 exec, exec, s[8:9]
	s_and_saveexec_b64 s[8:9], s[4:5]
	s_cbranch_execz .LBB140_30
.LBB140_29:
	v_add_u32_e32 v29, v32, v12
	v_mov_b32_e32 v30, 0
	v_lshlrev_b64 v[29:30], 1, v[29:30]
	s_waitcnt lgkmcnt(0)
	v_mov_b32_e32 v31, s13
	v_add_co_u32_e64 v29, s[6:7], s12, v29
	v_addc_co_u32_e64 v30, s[6:7], v31, v30, s[6:7]
	global_store_short v[29:30], v28, off
.LBB140_30:
	s_or_b64 exec, exec, s[8:9]
	v_add3_u32 v28, v62, s15, 16
	v_cmp_gt_u32_e64 s[6:7], s10, v28
	s_and_b64 exec, exec, s[6:7]
	s_cbranch_execz .LBB140_66
; %bb.31:
	v_mul_lo_u32 v28, v28, s14
	s_and_saveexec_b64 s[8:9], vcc
	s_cbranch_execnz .LBB140_70
; %bb.32:
	s_or_b64 exec, exec, s[8:9]
	s_and_saveexec_b64 s[8:9], s[0:1]
	s_cbranch_execnz .LBB140_71
.LBB140_33:
	s_or_b64 exec, exec, s[8:9]
	s_and_saveexec_b64 s[8:9], s[2:3]
	s_cbranch_execnz .LBB140_72
.LBB140_34:
	s_or_b64 exec, exec, s[8:9]
	s_and_saveexec_b64 s[8:9], s[4:5]
	s_cbranch_execz .LBB140_36
.LBB140_35:
	v_add_u32_e32 v25, v28, v12
	v_mov_b32_e32 v26, 0
	v_lshlrev_b64 v[25:26], 1, v[25:26]
	s_waitcnt lgkmcnt(0)
	v_mov_b32_e32 v27, s13
	v_add_co_u32_e64 v25, s[6:7], s12, v25
	v_addc_co_u32_e64 v26, s[6:7], v27, v26, s[6:7]
	global_store_short v[25:26], v24, off
.LBB140_36:
	s_or_b64 exec, exec, s[8:9]
	v_add3_u32 v24, v62, s15, 24
	v_cmp_gt_u32_e64 s[6:7], s10, v24
	s_and_b64 exec, exec, s[6:7]
	s_cbranch_execz .LBB140_66
; %bb.37:
	v_mul_lo_u32 v24, v24, s14
	s_and_saveexec_b64 s[8:9], vcc
	s_cbranch_execnz .LBB140_73
; %bb.38:
	s_or_b64 exec, exec, s[8:9]
	s_and_saveexec_b64 s[8:9], s[0:1]
	s_cbranch_execnz .LBB140_74
.LBB140_39:
	s_or_b64 exec, exec, s[8:9]
	s_and_saveexec_b64 s[8:9], s[2:3]
	s_cbranch_execnz .LBB140_75
.LBB140_40:
	s_or_b64 exec, exec, s[8:9]
	s_and_saveexec_b64 s[8:9], s[4:5]
	s_cbranch_execz .LBB140_42
.LBB140_41:
	v_add_u32_e32 v21, v24, v12
	v_mov_b32_e32 v22, 0
	v_lshlrev_b64 v[21:22], 1, v[21:22]
	s_waitcnt lgkmcnt(0)
	v_mov_b32_e32 v23, s13
	v_add_co_u32_e64 v21, s[6:7], s12, v21
	v_addc_co_u32_e64 v22, s[6:7], v23, v22, s[6:7]
	global_store_short v[21:22], v20, off
.LBB140_42:
	s_or_b64 exec, exec, s[8:9]
	v_add3_u32 v20, v62, s15, 32
	v_cmp_gt_u32_e64 s[6:7], s10, v20
	s_and_b64 exec, exec, s[6:7]
	s_cbranch_execz .LBB140_66
; %bb.43:
	v_mul_lo_u32 v20, v20, s14
	s_and_saveexec_b64 s[8:9], vcc
	s_cbranch_execnz .LBB140_76
; %bb.44:
	s_or_b64 exec, exec, s[8:9]
	s_and_saveexec_b64 s[8:9], s[0:1]
	s_cbranch_execnz .LBB140_77
.LBB140_45:
	s_or_b64 exec, exec, s[8:9]
	s_and_saveexec_b64 s[8:9], s[2:3]
	s_cbranch_execnz .LBB140_78
.LBB140_46:
	s_or_b64 exec, exec, s[8:9]
	s_and_saveexec_b64 s[8:9], s[4:5]
	s_cbranch_execz .LBB140_48
.LBB140_47:
	v_add_u32_e32 v17, v20, v12
	v_mov_b32_e32 v18, 0
	v_lshlrev_b64 v[17:18], 1, v[17:18]
	s_waitcnt lgkmcnt(0)
	v_mov_b32_e32 v19, s13
	v_add_co_u32_e64 v17, s[6:7], s12, v17
	v_addc_co_u32_e64 v18, s[6:7], v19, v18, s[6:7]
	global_store_short v[17:18], v16, off
.LBB140_48:
	s_or_b64 exec, exec, s[8:9]
	v_add3_u32 v16, v62, s15, 40
	v_cmp_gt_u32_e64 s[6:7], s10, v16
	s_and_b64 exec, exec, s[6:7]
	s_cbranch_execz .LBB140_66
; %bb.49:
	v_mul_lo_u32 v16, v16, s14
	s_and_saveexec_b64 s[8:9], vcc
	s_cbranch_execnz .LBB140_79
; %bb.50:
	s_or_b64 exec, exec, s[8:9]
	s_and_saveexec_b64 s[8:9], s[0:1]
	s_cbranch_execnz .LBB140_80
.LBB140_51:
	s_or_b64 exec, exec, s[8:9]
	s_and_saveexec_b64 s[8:9], s[2:3]
	s_cbranch_execnz .LBB140_81
.LBB140_52:
	s_or_b64 exec, exec, s[8:9]
	s_and_saveexec_b64 s[8:9], s[4:5]
	s_cbranch_execz .LBB140_54
.LBB140_53:
	v_add_u32_e32 v13, v16, v12
	v_mov_b32_e32 v14, 0
	v_lshlrev_b64 v[13:14], 1, v[13:14]
	s_waitcnt lgkmcnt(0)
	v_mov_b32_e32 v15, s13
	v_add_co_u32_e64 v13, s[6:7], s12, v13
	v_addc_co_u32_e64 v14, s[6:7], v15, v14, s[6:7]
	global_store_short v[13:14], v8, off
.LBB140_54:
	s_or_b64 exec, exec, s[8:9]
	v_add3_u32 v8, v62, s15, 48
	v_cmp_gt_u32_e64 s[6:7], s10, v8
	s_and_b64 exec, exec, s[6:7]
	s_cbranch_execz .LBB140_66
; %bb.55:
	v_mul_lo_u32 v8, v8, s14
	s_and_saveexec_b64 s[8:9], vcc
	s_cbranch_execnz .LBB140_82
; %bb.56:
	s_or_b64 exec, exec, s[8:9]
	s_and_saveexec_b64 s[8:9], s[0:1]
	s_cbranch_execnz .LBB140_83
.LBB140_57:
	s_or_b64 exec, exec, s[8:9]
	s_and_saveexec_b64 s[8:9], s[2:3]
	s_cbranch_execnz .LBB140_84
.LBB140_58:
	s_or_b64 exec, exec, s[8:9]
	s_and_saveexec_b64 s[8:9], s[4:5]
	s_cbranch_execz .LBB140_60
.LBB140_59:
	v_add_u32_e32 v5, v8, v12
	v_mov_b32_e32 v6, 0
	v_lshlrev_b64 v[5:6], 1, v[5:6]
	s_waitcnt lgkmcnt(0)
	v_mov_b32_e32 v7, s13
	v_add_co_u32_e64 v5, s[6:7], s12, v5
	v_addc_co_u32_e64 v6, s[6:7], v7, v6, s[6:7]
	global_store_short v[5:6], v4, off
.LBB140_60:
	s_or_b64 exec, exec, s[8:9]
	v_add3_u32 v4, v62, s15, 56
	v_cmp_gt_u32_e64 s[6:7], s10, v4
	s_and_b64 exec, exec, s[6:7]
	s_cbranch_execz .LBB140_66
; %bb.61:
	v_mul_lo_u32 v4, v4, s14
	s_and_saveexec_b64 s[6:7], vcc
	s_cbranch_execnz .LBB140_85
; %bb.62:
	s_or_b64 exec, exec, s[6:7]
	s_and_saveexec_b64 s[6:7], s[0:1]
	s_cbranch_execnz .LBB140_86
.LBB140_63:
	s_or_b64 exec, exec, s[6:7]
	s_and_saveexec_b64 s[0:1], s[2:3]
	s_cbranch_execnz .LBB140_87
.LBB140_64:
	s_or_b64 exec, exec, s[0:1]
	s_and_b64 exec, exec, s[4:5]
	s_cbranch_execz .LBB140_66
.LBB140_65:
	v_add_u32_e32 v1, v4, v12
	v_mov_b32_e32 v2, 0
	v_lshlrev_b64 v[1:2], 1, v[1:2]
	s_waitcnt lgkmcnt(0)
	v_mov_b32_e32 v3, s13
	v_add_co_u32_e32 v1, vcc, s12, v1
	v_addc_co_u32_e32 v2, vcc, v3, v2, vcc
	global_store_short v[1:2], v0, off
.LBB140_66:
	s_endpgm
.LBB140_67:
	v_add_u32_e32 v33, v32, v9
	v_mov_b32_e32 v34, 0
	v_lshlrev_b64 v[33:34], 1, v[33:34]
	s_waitcnt lgkmcnt(0)
	v_mov_b32_e32 v35, s13
	v_add_co_u32_e64 v33, s[6:7], s12, v33
	v_addc_co_u32_e64 v34, s[6:7], v35, v34, s[6:7]
	global_store_short v[33:34], v31, off
	s_or_b64 exec, exec, s[8:9]
	s_and_saveexec_b64 s[8:9], s[0:1]
	s_cbranch_execz .LBB140_27
.LBB140_68:
	v_add_u32_e32 v33, v32, v10
	v_mov_b32_e32 v34, 0
	v_lshlrev_b64 v[33:34], 1, v[33:34]
	s_waitcnt lgkmcnt(0)
	v_mov_b32_e32 v31, s13
	v_add_co_u32_e64 v33, s[6:7], s12, v33
	v_addc_co_u32_e64 v34, s[6:7], v31, v34, s[6:7]
	global_store_short v[33:34], v30, off
	s_or_b64 exec, exec, s[8:9]
	s_and_saveexec_b64 s[8:9], s[2:3]
	s_cbranch_execz .LBB140_28
.LBB140_69:
	v_add_u32_e32 v30, v32, v11
	v_mov_b32_e32 v31, 0
	v_lshlrev_b64 v[30:31], 1, v[30:31]
	s_waitcnt lgkmcnt(0)
	v_mov_b32_e32 v33, s13
	v_add_co_u32_e64 v30, s[6:7], s12, v30
	v_addc_co_u32_e64 v31, s[6:7], v33, v31, s[6:7]
	global_store_short v[30:31], v29, off
	s_or_b64 exec, exec, s[8:9]
	s_and_saveexec_b64 s[8:9], s[4:5]
	s_cbranch_execnz .LBB140_29
	s_branch .LBB140_30
.LBB140_70:
	v_add_u32_e32 v29, v28, v9
	v_mov_b32_e32 v30, 0
	v_lshlrev_b64 v[29:30], 1, v[29:30]
	s_waitcnt lgkmcnt(0)
	v_mov_b32_e32 v31, s13
	v_add_co_u32_e64 v29, s[6:7], s12, v29
	v_addc_co_u32_e64 v30, s[6:7], v31, v30, s[6:7]
	global_store_short v[29:30], v27, off
	s_or_b64 exec, exec, s[8:9]
	s_and_saveexec_b64 s[8:9], s[0:1]
	s_cbranch_execz .LBB140_33
.LBB140_71:
	v_add_u32_e32 v29, v28, v10
	v_mov_b32_e32 v30, 0
	v_lshlrev_b64 v[29:30], 1, v[29:30]
	s_waitcnt lgkmcnt(0)
	v_mov_b32_e32 v27, s13
	v_add_co_u32_e64 v29, s[6:7], s12, v29
	v_addc_co_u32_e64 v30, s[6:7], v27, v30, s[6:7]
	global_store_short v[29:30], v26, off
	s_or_b64 exec, exec, s[8:9]
	s_and_saveexec_b64 s[8:9], s[2:3]
	s_cbranch_execz .LBB140_34
.LBB140_72:
	v_add_u32_e32 v26, v28, v11
	v_mov_b32_e32 v27, 0
	v_lshlrev_b64 v[26:27], 1, v[26:27]
	s_waitcnt lgkmcnt(0)
	v_mov_b32_e32 v29, s13
	v_add_co_u32_e64 v26, s[6:7], s12, v26
	v_addc_co_u32_e64 v27, s[6:7], v29, v27, s[6:7]
	global_store_short v[26:27], v25, off
	s_or_b64 exec, exec, s[8:9]
	s_and_saveexec_b64 s[8:9], s[4:5]
	s_cbranch_execnz .LBB140_35
	s_branch .LBB140_36
.LBB140_73:
	v_add_u32_e32 v25, v24, v9
	v_mov_b32_e32 v26, 0
	v_lshlrev_b64 v[25:26], 1, v[25:26]
	s_waitcnt lgkmcnt(0)
	v_mov_b32_e32 v27, s13
	v_add_co_u32_e64 v25, s[6:7], s12, v25
	v_addc_co_u32_e64 v26, s[6:7], v27, v26, s[6:7]
	global_store_short v[25:26], v23, off
	s_or_b64 exec, exec, s[8:9]
	s_and_saveexec_b64 s[8:9], s[0:1]
	s_cbranch_execz .LBB140_39
.LBB140_74:
	v_add_u32_e32 v25, v24, v10
	v_mov_b32_e32 v26, 0
	v_lshlrev_b64 v[25:26], 1, v[25:26]
	s_waitcnt lgkmcnt(0)
	v_mov_b32_e32 v23, s13
	v_add_co_u32_e64 v25, s[6:7], s12, v25
	v_addc_co_u32_e64 v26, s[6:7], v23, v26, s[6:7]
	global_store_short v[25:26], v22, off
	s_or_b64 exec, exec, s[8:9]
	s_and_saveexec_b64 s[8:9], s[2:3]
	s_cbranch_execz .LBB140_40
.LBB140_75:
	v_add_u32_e32 v22, v24, v11
	v_mov_b32_e32 v23, 0
	v_lshlrev_b64 v[22:23], 1, v[22:23]
	s_waitcnt lgkmcnt(0)
	v_mov_b32_e32 v25, s13
	v_add_co_u32_e64 v22, s[6:7], s12, v22
	v_addc_co_u32_e64 v23, s[6:7], v25, v23, s[6:7]
	global_store_short v[22:23], v21, off
	s_or_b64 exec, exec, s[8:9]
	s_and_saveexec_b64 s[8:9], s[4:5]
	s_cbranch_execnz .LBB140_41
	s_branch .LBB140_42
.LBB140_76:
	v_add_u32_e32 v21, v20, v9
	v_mov_b32_e32 v22, 0
	v_lshlrev_b64 v[21:22], 1, v[21:22]
	s_waitcnt lgkmcnt(0)
	v_mov_b32_e32 v23, s13
	v_add_co_u32_e64 v21, s[6:7], s12, v21
	v_addc_co_u32_e64 v22, s[6:7], v23, v22, s[6:7]
	global_store_short v[21:22], v19, off
	s_or_b64 exec, exec, s[8:9]
	s_and_saveexec_b64 s[8:9], s[0:1]
	s_cbranch_execz .LBB140_45
.LBB140_77:
	v_add_u32_e32 v21, v20, v10
	v_mov_b32_e32 v22, 0
	v_lshlrev_b64 v[21:22], 1, v[21:22]
	s_waitcnt lgkmcnt(0)
	v_mov_b32_e32 v19, s13
	v_add_co_u32_e64 v21, s[6:7], s12, v21
	v_addc_co_u32_e64 v22, s[6:7], v19, v22, s[6:7]
	global_store_short v[21:22], v18, off
	s_or_b64 exec, exec, s[8:9]
	s_and_saveexec_b64 s[8:9], s[2:3]
	s_cbranch_execz .LBB140_46
.LBB140_78:
	v_add_u32_e32 v18, v20, v11
	v_mov_b32_e32 v19, 0
	v_lshlrev_b64 v[18:19], 1, v[18:19]
	s_waitcnt lgkmcnt(0)
	v_mov_b32_e32 v21, s13
	v_add_co_u32_e64 v18, s[6:7], s12, v18
	v_addc_co_u32_e64 v19, s[6:7], v21, v19, s[6:7]
	global_store_short v[18:19], v17, off
	s_or_b64 exec, exec, s[8:9]
	s_and_saveexec_b64 s[8:9], s[4:5]
	s_cbranch_execnz .LBB140_47
	s_branch .LBB140_48
.LBB140_79:
	v_add_u32_e32 v17, v16, v9
	v_mov_b32_e32 v18, 0
	v_lshlrev_b64 v[17:18], 1, v[17:18]
	s_waitcnt lgkmcnt(0)
	v_mov_b32_e32 v19, s13
	v_add_co_u32_e64 v17, s[6:7], s12, v17
	v_addc_co_u32_e64 v18, s[6:7], v19, v18, s[6:7]
	global_store_short v[17:18], v15, off
	s_or_b64 exec, exec, s[8:9]
	s_and_saveexec_b64 s[8:9], s[0:1]
	s_cbranch_execz .LBB140_51
.LBB140_80:
	v_add_u32_e32 v17, v16, v10
	v_mov_b32_e32 v18, 0
	v_lshlrev_b64 v[17:18], 1, v[17:18]
	s_waitcnt lgkmcnt(0)
	v_mov_b32_e32 v15, s13
	v_add_co_u32_e64 v17, s[6:7], s12, v17
	v_addc_co_u32_e64 v18, s[6:7], v15, v18, s[6:7]
	global_store_short v[17:18], v14, off
	s_or_b64 exec, exec, s[8:9]
	s_and_saveexec_b64 s[8:9], s[2:3]
	s_cbranch_execz .LBB140_52
.LBB140_81:
	v_add_u32_e32 v14, v16, v11
	v_mov_b32_e32 v15, 0
	v_lshlrev_b64 v[14:15], 1, v[14:15]
	s_waitcnt lgkmcnt(0)
	v_mov_b32_e32 v17, s13
	v_add_co_u32_e64 v14, s[6:7], s12, v14
	v_addc_co_u32_e64 v15, s[6:7], v17, v15, s[6:7]
	global_store_short v[14:15], v13, off
	s_or_b64 exec, exec, s[8:9]
	s_and_saveexec_b64 s[8:9], s[4:5]
	s_cbranch_execnz .LBB140_53
	s_branch .LBB140_54
.LBB140_82:
	v_add_u32_e32 v13, v8, v9
	v_mov_b32_e32 v14, 0
	v_lshlrev_b64 v[13:14], 1, v[13:14]
	s_waitcnt lgkmcnt(0)
	v_mov_b32_e32 v15, s13
	v_add_co_u32_e64 v13, s[6:7], s12, v13
	v_addc_co_u32_e64 v14, s[6:7], v15, v14, s[6:7]
	global_store_short v[13:14], v7, off
	s_or_b64 exec, exec, s[8:9]
	s_and_saveexec_b64 s[8:9], s[0:1]
	s_cbranch_execz .LBB140_57
.LBB140_83:
	v_add_u32_e32 v13, v8, v10
	v_mov_b32_e32 v14, 0
	v_lshlrev_b64 v[13:14], 1, v[13:14]
	s_waitcnt lgkmcnt(0)
	v_mov_b32_e32 v7, s13
	v_add_co_u32_e64 v13, s[6:7], s12, v13
	v_addc_co_u32_e64 v14, s[6:7], v7, v14, s[6:7]
	global_store_short v[13:14], v6, off
	s_or_b64 exec, exec, s[8:9]
	s_and_saveexec_b64 s[8:9], s[2:3]
	s_cbranch_execz .LBB140_58
.LBB140_84:
	v_add_u32_e32 v6, v8, v11
	v_mov_b32_e32 v7, 0
	v_lshlrev_b64 v[6:7], 1, v[6:7]
	s_waitcnt lgkmcnt(0)
	v_mov_b32_e32 v13, s13
	v_add_co_u32_e64 v6, s[6:7], s12, v6
	v_addc_co_u32_e64 v7, s[6:7], v13, v7, s[6:7]
	global_store_short v[6:7], v5, off
	s_or_b64 exec, exec, s[8:9]
	s_and_saveexec_b64 s[8:9], s[4:5]
	s_cbranch_execnz .LBB140_59
	s_branch .LBB140_60
.LBB140_85:
	v_add_u32_e32 v5, v4, v9
	v_mov_b32_e32 v6, 0
	v_lshlrev_b64 v[5:6], 1, v[5:6]
	s_waitcnt lgkmcnt(0)
	v_mov_b32_e32 v7, s13
	v_add_co_u32_e32 v5, vcc, s12, v5
	v_addc_co_u32_e32 v6, vcc, v7, v6, vcc
	global_store_short v[5:6], v3, off
	s_or_b64 exec, exec, s[6:7]
	s_and_saveexec_b64 s[6:7], s[0:1]
	s_cbranch_execz .LBB140_63
.LBB140_86:
	v_add_u32_e32 v5, v4, v10
	v_mov_b32_e32 v6, 0
	v_lshlrev_b64 v[5:6], 1, v[5:6]
	s_waitcnt lgkmcnt(0)
	v_mov_b32_e32 v3, s13
	v_add_co_u32_e32 v5, vcc, s12, v5
	v_addc_co_u32_e32 v6, vcc, v3, v6, vcc
	global_store_short v[5:6], v2, off
	s_or_b64 exec, exec, s[6:7]
	s_and_saveexec_b64 s[0:1], s[2:3]
	s_cbranch_execz .LBB140_64
.LBB140_87:
	v_add_u32_e32 v2, v4, v11
	v_mov_b32_e32 v3, 0
	v_lshlrev_b64 v[2:3], 1, v[2:3]
	s_waitcnt lgkmcnt(0)
	v_mov_b32_e32 v5, s13
	v_add_co_u32_e32 v2, vcc, s12, v2
	v_addc_co_u32_e32 v3, vcc, v5, v3, vcc
	global_store_short v[2:3], v1, off
	s_or_b64 exec, exec, s[0:1]
	s_and_b64 exec, exec, s[4:5]
	s_cbranch_execnz .LBB140_65
	s_branch .LBB140_66
	.section	.rodata,"a",@progbits
	.p2align	6, 0x0
	.amdhsa_kernel _ZL12mul_mat_q4_1IN3c104HalfELb1EEvPKvS3_PT_iiiii
		.amdhsa_group_segment_fixed_size 30336
		.amdhsa_private_segment_fixed_size 192
		.amdhsa_kernarg_size 44
		.amdhsa_user_sgpr_count 6
		.amdhsa_user_sgpr_private_segment_buffer 1
		.amdhsa_user_sgpr_dispatch_ptr 0
		.amdhsa_user_sgpr_queue_ptr 0
		.amdhsa_user_sgpr_kernarg_segment_ptr 1
		.amdhsa_user_sgpr_dispatch_id 0
		.amdhsa_user_sgpr_flat_scratch_init 0
		.amdhsa_user_sgpr_private_segment_size 0
		.amdhsa_uses_dynamic_stack 0
		.amdhsa_system_sgpr_private_segment_wavefront_offset 1
		.amdhsa_system_sgpr_workgroup_id_x 1
		.amdhsa_system_sgpr_workgroup_id_y 1
		.amdhsa_system_sgpr_workgroup_id_z 0
		.amdhsa_system_sgpr_workgroup_info 0
		.amdhsa_system_vgpr_workitem_id 1
		.amdhsa_next_free_vgpr 128
		.amdhsa_next_free_sgpr 98
		.amdhsa_reserve_vcc 1
		.amdhsa_reserve_flat_scratch 0
		.amdhsa_float_round_mode_32 0
		.amdhsa_float_round_mode_16_64 0
		.amdhsa_float_denorm_mode_32 3
		.amdhsa_float_denorm_mode_16_64 3
		.amdhsa_dx10_clamp 1
		.amdhsa_ieee_mode 1
		.amdhsa_fp16_overflow 0
		.amdhsa_exception_fp_ieee_invalid_op 0
		.amdhsa_exception_fp_denorm_src 0
		.amdhsa_exception_fp_ieee_div_zero 0
		.amdhsa_exception_fp_ieee_overflow 0
		.amdhsa_exception_fp_ieee_underflow 0
		.amdhsa_exception_fp_ieee_inexact 0
		.amdhsa_exception_int_div_zero 0
	.end_amdhsa_kernel
	.section	.text._ZL12mul_mat_q4_1IN3c104HalfELb1EEvPKvS3_PT_iiiii,"axG",@progbits,_ZL12mul_mat_q4_1IN3c104HalfELb1EEvPKvS3_PT_iiiii,comdat
.Lfunc_end140:
	.size	_ZL12mul_mat_q4_1IN3c104HalfELb1EEvPKvS3_PT_iiiii, .Lfunc_end140-_ZL12mul_mat_q4_1IN3c104HalfELb1EEvPKvS3_PT_iiiii
                                        ; -- End function
	.set _ZL12mul_mat_q4_1IN3c104HalfELb1EEvPKvS3_PT_iiiii.num_vgpr, 128
	.set _ZL12mul_mat_q4_1IN3c104HalfELb1EEvPKvS3_PT_iiiii.num_agpr, 0
	.set _ZL12mul_mat_q4_1IN3c104HalfELb1EEvPKvS3_PT_iiiii.numbered_sgpr, 24
	.set _ZL12mul_mat_q4_1IN3c104HalfELb1EEvPKvS3_PT_iiiii.num_named_barrier, 0
	.set _ZL12mul_mat_q4_1IN3c104HalfELb1EEvPKvS3_PT_iiiii.private_seg_size, 192
	.set _ZL12mul_mat_q4_1IN3c104HalfELb1EEvPKvS3_PT_iiiii.uses_vcc, 1
	.set _ZL12mul_mat_q4_1IN3c104HalfELb1EEvPKvS3_PT_iiiii.uses_flat_scratch, 0
	.set _ZL12mul_mat_q4_1IN3c104HalfELb1EEvPKvS3_PT_iiiii.has_dyn_sized_stack, 0
	.set _ZL12mul_mat_q4_1IN3c104HalfELb1EEvPKvS3_PT_iiiii.has_recursion, 0
	.set _ZL12mul_mat_q4_1IN3c104HalfELb1EEvPKvS3_PT_iiiii.has_indirect_call, 0
	.section	.AMDGPU.csdata,"",@progbits
; Kernel info:
; codeLenInByte = 13860
; TotalNumSgprs: 28
; NumVgprs: 128
; ScratchSize: 192
; MemoryBound: 0
; FloatMode: 240
; IeeeMode: 1
; LDSByteSize: 30336 bytes/workgroup (compile time only)
; SGPRBlocks: 12
; VGPRBlocks: 31
; NumSGPRsForWavesPerEU: 102
; NumVGPRsForWavesPerEU: 128
; Occupancy: 2
; WaveLimiterHint : 0
; COMPUTE_PGM_RSRC2:SCRATCH_EN: 1
; COMPUTE_PGM_RSRC2:USER_SGPR: 6
; COMPUTE_PGM_RSRC2:TRAP_HANDLER: 0
; COMPUTE_PGM_RSRC2:TGID_X_EN: 1
; COMPUTE_PGM_RSRC2:TGID_Y_EN: 1
; COMPUTE_PGM_RSRC2:TGID_Z_EN: 0
; COMPUTE_PGM_RSRC2:TIDIG_COMP_CNT: 1
	.section	.text._ZL12mul_mat_q5_0IN3c104HalfELb0EEvPKvS3_PT_iiiii,"axG",@progbits,_ZL12mul_mat_q5_0IN3c104HalfELb0EEvPKvS3_PT_iiiii,comdat
	.globl	_ZL12mul_mat_q5_0IN3c104HalfELb0EEvPKvS3_PT_iiiii ; -- Begin function _ZL12mul_mat_q5_0IN3c104HalfELb0EEvPKvS3_PT_iiiii
	.p2align	8
	.type	_ZL12mul_mat_q5_0IN3c104HalfELb0EEvPKvS3_PT_iiiii,@function
_ZL12mul_mat_q5_0IN3c104HalfELb0EEvPKvS3_PT_iiiii: ; @_ZL12mul_mat_q5_0IN3c104HalfELb0EEvPKvS3_PT_iiiii
; %bb.0:
	s_load_dword s14, s[4:5], 0x18
	s_load_dwordx4 s[8:11], s[4:5], 0x20
	s_waitcnt lgkmcnt(0)
	s_lshl_b32 s11, s7, 6
	v_add_u32_e32 v69, s11, v1
	s_cmp_gt_i32 s14, 31
	s_cbranch_scc1 .LBB141_2
; %bb.1:
	v_add_u32_e32 v8, s11, v1
	s_mov_b64 s[0:1], 0
	s_branch .LBB141_3
.LBB141_2:
	s_mov_b64 s[0:1], -1
                                        ; implicit-def: $vgpr8
.LBB141_3:
	s_load_dwordx2 s[12:13], s[4:5], 0x10
	s_lshl_b32 s6, s6, 7
	v_mov_b32_e32 v2, 0
	s_andn2_b64 vcc, exec, s[0:1]
	v_mov_b32_e32 v6, 0
	v_mov_b32_e32 v14, 0
	;; [unrolled: 1-line block ×31, first 2 shown]
	s_cbranch_vccnz .LBB141_14
; %bb.4:
	s_load_dwordx4 s[0:3], s[4:5], 0x0
	s_ashr_i32 s4, s14, 31
	s_lshr_b32 s4, s4, 27
	s_ashr_i32 s5, s9, 31
	s_add_i32 s14, s14, s4
	s_lshr_b32 s5, s5, 27
	s_ashr_i32 s4, s14, 5
	s_add_i32 s5, s9, s5
	s_ashr_i32 s16, s5, 5
	s_mul_i32 s5, s4, s6
	v_mul_lo_u32 v72, s4, v1
	s_mul_hi_i32 s7, s5, 22
	s_mul_i32 s5, s5, 22
	s_waitcnt lgkmcnt(0)
	s_add_u32 s5, s0, s5
	s_addc_u32 s7, s1, s7
	s_lshl_b32 s1, s4, 3
	v_add_u32_e32 v74, s1, v72
	v_add_u32_e32 v76, s1, v74
	v_add_u32_e32 v78, s1, v76
	v_add_u32_e32 v80, s1, v78
	v_add_u32_e32 v82, s1, v80
	v_add_u32_e32 v84, s1, v82
	v_add_u32_e32 v86, s1, v84
	v_add_u32_e32 v88, s1, v86
	v_add_u32_e32 v90, s1, v88
	v_add_u32_e32 v92, s1, v90
	v_add_u32_e32 v94, s1, v92
	v_add_u32_e32 v96, s1, v94
	v_lshlrev_b32_e32 v4, 3, v0
	s_movk_i32 s0, 0x104
	v_add_u32_e32 v98, s1, v96
	v_lshrrev_b32_e32 v105, 3, v0
	v_mad_u32_u24 v73, v1, s0, v4
	v_add_u32_e32 v100, s1, v98
	v_and_b32_e32 v104, 7, v0
	v_lshl_add_u32 v4, v1, 2, v105
	v_add_u32_e32 v102, s1, v100
	v_and_b32_e32 v5, 0x7fc, v4
	v_lshlrev_b32_e32 v6, 2, v104
	s_mov_b32 s1, 0xa200
	v_add3_u32 v18, v5, v6, s1
	v_add_u32_e32 v5, 32, v4
	v_mul_lo_u32 v106, s4, v4
	v_lshlrev_b32_e32 v19, 5, v4
	v_and_b32_e32 v7, 0xffc, v5
	v_lshlrev_b32_e32 v21, 5, v5
	v_add_u32_e32 v5, 64, v4
	v_add_u32_e32 v4, 0x60, v4
	v_add3_u32 v20, v7, v6, s1
	v_and_b32_e32 v7, 0xffc, v5
	v_lshlrev_b32_e32 v23, 5, v5
	v_and_b32_e32 v5, 0xffc, v4
	v_add3_u32 v22, v7, v6, s1
	v_add3_u32 v24, v5, v6, s1
	v_lshlrev_b32_e32 v25, 5, v4
	s_add_i32 s1, s8, -1
	v_lshlrev_b32_e32 v4, 2, v0
	v_cvt_f64_i32_e32 v[6:7], s1
	v_and_b32_e32 v26, 28, v4
	v_cvt_f64_u32_e32 v[4:5], v69
	v_lshrrev_b32_e32 v70, 2, v0
	v_and_b32_e32 v8, 31, v0
	v_mov_b32_e32 v9, 0x8200
	v_lshl_or_b32 v110, v8, 2, v9
	v_lshl_add_u32 v8, v1, 3, v70
	v_and_b32_e32 v14, 63, v8
	v_min_f64 v[8:9], v[4:5], v[6:7]
	v_add_u32_e32 v4, 8, v69
	v_cvt_f64_u32_e32 v[4:5], v4
	v_or_b32_e32 v12, s11, v14
	v_min_i32_e32 v15, s1, v12
	v_add_u32_e32 v10, 16, v69
	v_min_f64 v[12:13], v[4:5], v[6:7]
	s_andn2_b32 s14, s14, 31
	v_cvt_f64_u32_e32 v[10:11], v10
	v_and_b32_e32 v3, 3, v0
	v_add_u32_e32 v107, s14, v106
	v_lshlrev_b32_e32 v71, 2, v3
	v_add_u32_e32 v108, s14, v107
	v_add_u32_e32 v109, s14, v108
	v_mad_u64_u32 v[4:5], s[14:15], v15, s16, v[3:4]
	v_lshl_or_b32 v3, v14, 4, v71
	v_min_f64 v[10:11], v[10:11], v[6:7]
	v_add_u32_e32 v111, 0xb280, v3
	v_cvt_i32_f64_e32 v3, v[12:13]
	v_cvt_i32_f64_e32 v5, v[8:9]
	v_mov_b32_e32 v2, 0
	v_lshlrev_b32_e32 v113, 7, v1
	v_mul_lo_u32 v114, s16, v3
	v_add_u32_e32 v3, 24, v69
	v_cvt_f64_u32_e32 v[8:9], v3
	v_add_u32_e32 v3, 32, v69
	v_mul_lo_u32 v112, s16, v5
	v_cvt_i32_f64_e32 v5, v[10:11]
	v_cvt_f64_u32_e32 v[10:11], v3
	v_add_u32_e32 v3, 40, v69
	v_cvt_f64_u32_e32 v[12:13], v3
	v_min_f64 v[8:9], v[8:9], v[6:7]
	v_add_u32_e32 v3, 48, v69
	v_cvt_f64_u32_e32 v[14:15], v3
	v_add_u32_e32 v3, 56, v69
	v_min_f64 v[12:13], v[12:13], v[6:7]
	v_cvt_f64_u32_e32 v[16:17], v3
	v_mul_lo_u32 v115, s16, v5
	v_min_f64 v[10:11], v[10:11], v[6:7]
	v_cvt_i32_f64_e32 v3, v[8:9]
	v_min_f64 v[8:9], v[14:15], v[6:7]
	v_min_f64 v[5:6], v[16:17], v[6:7]
	v_lshlrev_b32_e32 v14, 5, v0
	v_mul_lo_u32 v116, s16, v3
	v_cvt_i32_f64_e32 v3, v[12:13]
	v_add_u32_e32 v12, 64, v0
	v_cvt_i32_f64_e32 v10, v[10:11]
	v_add_u32_e32 v13, 0x60, v0
	v_mul_lo_u32 v118, s16, v3
	v_cvt_i32_f64_e32 v3, v[5:6]
	v_cvt_i32_f64_e32 v8, v[8:9]
	v_mul_lo_u32 v117, s16, v10
	v_and_b32_e32 v13, 0x1fc, v13
	v_mul_lo_u32 v120, s16, v3
	v_add_u32_e32 v3, 32, v0
	v_lshrrev_b32_e32 v122, 3, v3
	v_and_b32_e32 v3, 0x1fc, v3
	v_add_u32_e32 v3, v14, v3
	v_mul_lo_u32 v119, s16, v8
	v_and_b32_e32 v12, 0x1fc, v12
	v_add_u32_e32 v125, 0xa600, v3
	v_and_b32_e32 v15, 0xfc, v0
	v_add_u32_e32 v131, 0xa610, v3
	v_mov_b32_e32 v3, 0x80
	v_add_u32_e32 v27, 0x400, v113
	v_add_u32_e32 v28, 0x800, v113
	;; [unrolled: 1-line block ×10, first 2 shown]
	v_mov_b32_e32 v15, 0xb280
	v_mad_u32_u24 v133, v0, s0, v3
	v_mov_b32_e32 v3, v2
	v_mov_b32_e32 v6, s3
	v_add_co_u32_e32 v5, vcc, s2, v26
	v_add_u32_e32 v123, 0xae00, v13
	v_add_u32_e32 v124, 0xaa00, v12
	;; [unrolled: 1-line block ×3, first 2 shown]
	v_lshl_add_u32 v127, v1, 4, v15
	v_add_u32_e32 v129, 0xae10, v13
	v_add_u32_e32 v130, 0xaa10, v12
	;; [unrolled: 1-line block ×14, first 2 shown]
	v_mov_b32_e32 v22, v3
	v_mov_b32_e32 v14, v3
	;; [unrolled: 1-line block ×15, first 2 shown]
	v_add_u32_e32 v75, 0x820, v73
	v_add_u32_e32 v77, 0x1040, v73
	;; [unrolled: 1-line block ×15, first 2 shown]
	s_add_i32 s9, s4, 3
	v_mul_u32_u24_e32 v121, 0x104, v0
	v_addc_co_u32_e32 v6, vcc, 0, v6, vcc
	v_add_u32_e32 v128, 0x8200, v113
	s_mov_b32 s14, 0
	s_movk_i32 s15, 0x1f00
	s_mov_b32 s16, 0xc0c0105
	v_mov_b32_e32 v138, 8
	v_mov_b32_e32 v21, v2
	;; [unrolled: 1-line block ×16, first 2 shown]
	s_branch .LBB141_6
.LBB141_5:                              ;   in Loop: Header=BB141_6 Depth=1
	s_add_i32 s14, s14, 8
	s_add_i32 s9, s9, -8
	s_cmp_ge_i32 s14, s4
	s_cbranch_scc1 .LBB141_13
.LBB141_6:                              ; =>This Loop Header: Depth=1
                                        ;     Child Loop BB141_8 Depth 2
                                        ;     Child Loop BB141_11 Depth 2
	s_mul_i32 s0, s14, 22
	s_mul_hi_u32 s1, s14, 22
	s_add_u32 s0, s5, s0
	s_addc_u32 s1, s7, s1
	v_mad_u64_u32 v[37:38], s[18:19], v70, 22, s[0:1]
	s_cmp_gt_u32 s9, 3
	v_mad_u64_u32 v[39:40], s[18:19], v72, 22, v[37:38]
	v_mad_u64_u32 v[45:46], s[18:19], v78, 22, v[37:38]
	v_add_co_u32_e32 v41, vcc, v39, v71
	v_addc_co_u32_e32 v42, vcc, 0, v40, vcc
	v_mad_u64_u32 v[43:44], s[18:19], v76, 22, v[37:38]
	v_mad_u64_u32 v[47:48], s[18:19], v74, 22, v[37:38]
	global_load_dword v49, v[41:42], off offset:6
	global_load_dword v55, v[45:46], off offset:2
                                        ; kill: killed $vgpr41 killed $vgpr42
	global_load_dword v50, v[43:44], off offset:2
	global_load_dword v51, v[47:48], off offset:2
	;; [unrolled: 1-line block ×3, first 2 shown]
	v_add_co_u32_e32 v39, vcc, v47, v71
	v_addc_co_u32_e32 v40, vcc, 0, v48, vcc
	global_load_dword v47, v[39:40], off offset:6
	v_add_co_u32_e32 v39, vcc, v43, v71
	v_addc_co_u32_e32 v40, vcc, 0, v44, vcc
	v_add_co_u32_e32 v41, vcc, v45, v71
	v_addc_co_u32_e32 v42, vcc, 0, v46, vcc
	global_load_dword v56, v[39:40], off offset:6
	global_load_dword v57, v[41:42], off offset:6
	s_waitcnt vmcnt(7)
	v_and_b32_e32 v40, 0xf0f0f0f, v49
	v_lshrrev_b32_e32 v41, 4, v49
	v_and_b32_e32 v41, 0xf0f0f0f, v41
	s_waitcnt vmcnt(4)
	v_ashrrev_i32_e32 v42, v71, v51
	s_waitcnt vmcnt(3)
	v_ashrrev_i32_e32 v39, v71, v52
	v_lshlrev_b32_e32 v44, 4, v39
	v_lshlrev_b32_e32 v45, 11, v39
	;; [unrolled: 1-line block ×4, first 2 shown]
	v_lshrrev_b32_e32 v49, 12, v39
	v_lshrrev_b32_e32 v51, 5, v39
	v_lshlrev_b32_e32 v52, 2, v39
	v_lshlrev_b32_e32 v39, 9, v39
	v_and_b32_e32 v44, 16, v44
	v_and_b32_e32 v45, 0x1000, v45
	;; [unrolled: 1-line block ×8, first 2 shown]
	v_or3_b32 v44, v44, v40, v45
	v_or3_b32 v40, v40, v46, v48
	;; [unrolled: 1-line block ×4, first 2 shown]
	v_and_b32_e32 v46, 0x1f00, v44
	v_lshlrev_b16_e32 v44, 8, v44
	v_and_b32_sdwa v48, v40, s15 dst_sel:DWORD dst_unused:UNUSED_PAD src0_sel:WORD_1 src1_sel:DWORD
	v_lshlrev_b16_sdwa v40, v138, v40 dst_sel:DWORD dst_unused:UNUSED_PAD src0_sel:DWORD src1_sel:WORD_1
	v_and_b32_e32 v51, 0x1f00, v45
	v_lshlrev_b16_e32 v45, 8, v45
	v_and_b32_sdwa v49, v39, s15 dst_sel:DWORD dst_unused:UNUSED_PAD src0_sel:WORD_1 src1_sel:DWORD
	v_lshlrev_b16_sdwa v39, v138, v39 dst_sel:DWORD dst_unused:UNUSED_PAD src0_sel:DWORD src1_sel:WORD_1
	v_add_u16_e32 v46, 0xf000, v46
	v_add_u16_e32 v44, 0xf000, v44
	;; [unrolled: 1-line block ×5, first 2 shown]
	v_lshlrev_b32_e32 v53, 4, v42
	v_lshlrev_b32_e32 v54, 11, v42
	v_add_u16_e32 v49, 0xf000, v49
	v_add_u16_e32 v39, 0xf000, v39
	v_perm_b32 v44, v44, v46, s16
	v_perm_b32 v40, v40, v48, s16
	v_or_b32_sdwa v45, v51, v45 dst_sel:DWORD dst_unused:UNUSED_PAD src0_sel:DWORD src1_sel:BYTE_1
	s_waitcnt vmcnt(2)
	v_and_b32_e32 v43, 0xf0f0f0f, v47
	v_lshlrev_b32_e32 v58, 18, v42
	v_lshlrev_b32_e32 v59, 25, v42
	v_and_b32_e32 v53, 16, v53
	v_and_b32_e32 v54, 0x1000, v54
	v_perm_b32 v39, v39, v49, s16
	v_lshl_or_b32 v40, v40, 16, v44
	v_add_u16_e32 v44, 0xf000, v45
	v_and_b32_e32 v58, 0x100000, v58
	v_and_b32_e32 v59, 0x10000000, v59
	v_or3_b32 v41, v53, v43, v54
	v_lshl_or_b32 v39, v39, 16, v44
	v_or3_b32 v43, v43, v58, v59
	ds_write2_b32 v73, v40, v39 offset1:1
	v_lshlrev_b16_e32 v40, 8, v41
	v_and_b32_sdwa v52, v43, s15 dst_sel:DWORD dst_unused:UNUSED_PAD src0_sel:WORD_1 src1_sel:DWORD
	v_lshlrev_b16_sdwa v43, v138, v43 dst_sel:DWORD dst_unused:UNUSED_PAD src0_sel:DWORD src1_sel:WORD_1
	v_and_b32_e32 v39, 0x1f00, v41
	v_add_u16_e32 v40, 0xf000, v40
	v_add_u16_e32 v52, 0xf000, v52
	;; [unrolled: 1-line block ×3, first 2 shown]
	v_or_b32_sdwa v39, v39, v40 dst_sel:DWORD dst_unused:UNUSED_PAD src0_sel:DWORD src1_sel:BYTE_1
	v_perm_b32 v43, v43, v52, s16
	v_add_u16_e32 v39, 0xf000, v39
	v_lshl_or_b32 v39, v43, 16, v39
	v_lshrrev_b32_e32 v40, 4, v47
	v_lshrrev_b32_e32 v41, 12, v42
	;; [unrolled: 1-line block ×3, first 2 shown]
	v_and_b32_e32 v40, 0xf0f0f0f, v40
	v_and_b32_e32 v41, 16, v41
	;; [unrolled: 1-line block ×3, first 2 shown]
	v_or3_b32 v41, v41, v40, v43
	v_lshlrev_b32_e32 v43, 2, v42
	v_lshlrev_b32_e32 v42, 9, v42
	v_and_b32_e32 v43, 0x100000, v43
	v_and_b32_e32 v42, 0x10000000, v42
	v_or3_b32 v40, v40, v43, v42
	v_and_b32_e32 v42, 0x1f00, v41
	v_lshlrev_b16_e32 v41, 8, v41
	v_add_u16_e32 v42, 0xf000, v42
	v_add_u16_e32 v41, 0xf000, v41
	v_perm_b32 v41, v41, v42, s16
	v_and_b32_sdwa v42, v40, s15 dst_sel:DWORD dst_unused:UNUSED_PAD src0_sel:WORD_1 src1_sel:DWORD
	v_lshlrev_b16_sdwa v40, v138, v40 dst_sel:DWORD dst_unused:UNUSED_PAD src0_sel:DWORD src1_sel:WORD_1
	v_add_u16_e32 v42, 0xf000, v42
	v_add_u16_e32 v40, 0xf000, v40
	v_perm_b32 v40, v40, v42, s16
	v_lshl_or_b32 v40, v40, 16, v41
	v_ashrrev_i32_e32 v58, v71, v50
	ds_write2_b32 v75, v39, v40 offset1:1
	v_lshlrev_b32_e32 v40, 4, v58
	v_lshlrev_b32_e32 v41, 11, v58
	s_waitcnt vmcnt(1)
	v_and_b32_e32 v39, 0xf0f0f0f, v56
	v_and_b32_e32 v40, 16, v40
	;; [unrolled: 1-line block ×3, first 2 shown]
	v_or3_b32 v59, v40, v39, v41
	v_lshlrev_b32_e32 v40, 18, v58
	v_lshlrev_b32_e32 v41, 25, v58
	v_and_b32_e32 v40, 0x100000, v40
	v_and_b32_e32 v41, 0x10000000, v41
	v_or3_b32 v39, v39, v40, v41
	v_and_b32_sdwa v40, v39, s15 dst_sel:DWORD dst_unused:UNUSED_PAD src0_sel:WORD_1 src1_sel:DWORD
	v_add_u16_e32 v60, 0xf000, v40
	v_lshlrev_b16_sdwa v61, v138, v39 dst_sel:DWORD dst_unused:UNUSED_PAD src0_sel:DWORD src1_sel:WORD_1
	v_mad_u64_u32 v[39:40], s[18:19], v80, 22, v[37:38]
	v_mad_u64_u32 v[41:42], s[18:19], v82, 22, v[37:38]
	v_add_co_u32_e32 v43, vcc, v39, v71
	v_mad_u64_u32 v[47:48], s[18:19], v84, 22, v[37:38]
	v_addc_co_u32_e32 v44, vcc, 0, v40, vcc
	v_add_co_u32_e32 v45, vcc, v41, v71
	v_mad_u64_u32 v[49:50], s[18:19], v86, 22, v[37:38]
	v_addc_co_u32_e32 v46, vcc, 0, v42, vcc
	v_add_co_u32_e32 v51, vcc, v47, v71
	v_addc_co_u32_e32 v52, vcc, 0, v48, vcc
	v_add_co_u32_e32 v53, vcc, v49, v71
	v_addc_co_u32_e32 v54, vcc, 0, v50, vcc
	global_load_dword v43, v[43:44], off offset:6
	s_nop 0
	global_load_dword v44, v[45:46], off offset:6
	global_load_dword v62, v[51:52], off offset:6
	;; [unrolled: 1-line block ×4, first 2 shown]
	s_nop 0
	global_load_dword v45, v[47:48], off offset:2
	s_nop 0
	global_load_dword v41, v[41:42], off offset:2
	;; [unrolled: 2-line block ×3, first 2 shown]
	v_lshlrev_b16_e32 v46, 8, v59
	v_and_b32_e32 v42, 0x1f00, v59
	v_add_u16_e32 v46, 0xf000, v46
	v_add_u16_e32 v40, 0xf000, v61
	v_or_b32_sdwa v42, v42, v46 dst_sel:DWORD dst_unused:UNUSED_PAD src0_sel:DWORD src1_sel:BYTE_1
	v_perm_b32 v40, v40, v60, s16
	v_add_u16_e32 v42, 0xf000, v42
	v_lshl_or_b32 v40, v40, 16, v42
	v_lshrrev_b32_e32 v42, 4, v56
	v_lshrrev_b32_e32 v46, 12, v58
	;; [unrolled: 1-line block ×3, first 2 shown]
	v_and_b32_e32 v42, 0xf0f0f0f, v42
	v_and_b32_e32 v46, 16, v46
	;; [unrolled: 1-line block ×3, first 2 shown]
	v_or3_b32 v46, v46, v42, v47
	v_lshlrev_b32_e32 v47, 2, v58
	v_lshlrev_b32_e32 v48, 9, v58
	v_and_b32_e32 v47, 0x100000, v47
	v_and_b32_e32 v48, 0x10000000, v48
	v_or3_b32 v42, v42, v47, v48
	v_and_b32_e32 v47, 0x1f00, v46
	v_lshlrev_b16_e32 v46, 8, v46
	v_add_u16_e32 v47, 0xf000, v47
	v_add_u16_e32 v46, 0xf000, v46
	v_perm_b32 v46, v46, v47, s16
	v_and_b32_sdwa v47, v42, s15 dst_sel:DWORD dst_unused:UNUSED_PAD src0_sel:WORD_1 src1_sel:DWORD
	v_lshlrev_b16_sdwa v42, v138, v42 dst_sel:DWORD dst_unused:UNUSED_PAD src0_sel:DWORD src1_sel:WORD_1
	v_add_u16_e32 v47, 0xf000, v47
	v_add_u16_e32 v42, 0xf000, v42
	v_perm_b32 v42, v42, v47, s16
	v_lshl_or_b32 v42, v42, 16, v46
	ds_write2_b32 v77, v40, v42 offset1:1
	v_ashrrev_i32_e32 v40, v71, v55
	v_lshlrev_b32_e32 v46, 4, v40
	v_lshlrev_b32_e32 v47, 11, v40
	s_waitcnt vmcnt(8)
	v_and_b32_e32 v42, 0xf0f0f0f, v57
	v_and_b32_e32 v46, 16, v46
	;; [unrolled: 1-line block ×3, first 2 shown]
	v_or3_b32 v46, v46, v42, v47
	v_lshlrev_b32_e32 v47, 18, v40
	v_lshlrev_b32_e32 v48, 25, v40
	v_and_b32_e32 v47, 0x100000, v47
	v_and_b32_e32 v48, 0x10000000, v48
	v_or3_b32 v42, v42, v47, v48
	v_and_b32_sdwa v47, v42, s15 dst_sel:DWORD dst_unused:UNUSED_PAD src0_sel:WORD_1 src1_sel:DWORD
	v_lshlrev_b16_sdwa v42, v138, v42 dst_sel:DWORD dst_unused:UNUSED_PAD src0_sel:DWORD src1_sel:WORD_1
	v_add_u16_e32 v47, 0xf000, v47
	v_add_u16_e32 v42, 0xf000, v42
	v_perm_b32 v42, v42, v47, s16
	v_and_b32_e32 v47, 0x1f00, v46
	v_lshlrev_b16_e32 v46, 8, v46
	v_add_u16_e32 v46, 0xf000, v46
	v_or_b32_sdwa v46, v47, v46 dst_sel:DWORD dst_unused:UNUSED_PAD src0_sel:DWORD src1_sel:BYTE_1
	v_add_u16_e32 v46, 0xf000, v46
	v_lshl_or_b32 v42, v42, 16, v46
	v_lshrrev_b32_e32 v46, 4, v57
	v_lshrrev_b32_e32 v47, 12, v40
	;; [unrolled: 1-line block ×3, first 2 shown]
	v_and_b32_e32 v46, 0xf0f0f0f, v46
	v_and_b32_e32 v47, 16, v47
	;; [unrolled: 1-line block ×3, first 2 shown]
	v_or3_b32 v47, v47, v46, v48
	v_lshlrev_b32_e32 v48, 2, v40
	v_lshlrev_b32_e32 v40, 9, v40
	v_and_b32_e32 v48, 0x100000, v48
	v_and_b32_e32 v40, 0x10000000, v40
	v_or3_b32 v40, v46, v48, v40
	v_and_b32_e32 v46, 0x1f00, v47
	v_lshlrev_b16_e32 v47, 8, v47
	v_add_u16_e32 v46, 0xf000, v46
	v_add_u16_e32 v47, 0xf000, v47
	v_perm_b32 v46, v47, v46, s16
	v_and_b32_sdwa v47, v40, s15 dst_sel:DWORD dst_unused:UNUSED_PAD src0_sel:WORD_1 src1_sel:DWORD
	v_lshlrev_b16_sdwa v40, v138, v40 dst_sel:DWORD dst_unused:UNUSED_PAD src0_sel:DWORD src1_sel:WORD_1
	v_add_u16_e32 v47, 0xf000, v47
	v_add_u16_e32 v40, 0xf000, v40
	v_perm_b32 v40, v40, v47, s16
	v_lshl_or_b32 v40, v40, 16, v46
	ds_write2_b32 v79, v42, v40 offset1:1
	s_waitcnt vmcnt(0)
	v_ashrrev_i32_e32 v39, v71, v39
	v_lshlrev_b32_e32 v42, 4, v39
	v_lshlrev_b32_e32 v46, 11, v39
	v_and_b32_e32 v40, 0xf0f0f0f, v43
	v_and_b32_e32 v42, 16, v42
	;; [unrolled: 1-line block ×3, first 2 shown]
	v_or3_b32 v42, v42, v40, v46
	v_lshlrev_b32_e32 v46, 18, v39
	v_lshlrev_b32_e32 v47, 25, v39
	v_and_b32_e32 v46, 0x100000, v46
	v_and_b32_e32 v47, 0x10000000, v47
	v_or3_b32 v40, v40, v46, v47
	v_and_b32_sdwa v46, v40, s15 dst_sel:DWORD dst_unused:UNUSED_PAD src0_sel:WORD_1 src1_sel:DWORD
	v_lshlrev_b16_sdwa v40, v138, v40 dst_sel:DWORD dst_unused:UNUSED_PAD src0_sel:DWORD src1_sel:WORD_1
	v_add_u16_e32 v46, 0xf000, v46
	v_add_u16_e32 v40, 0xf000, v40
	v_perm_b32 v40, v40, v46, s16
	v_and_b32_e32 v46, 0x1f00, v42
	v_lshlrev_b16_e32 v42, 8, v42
	v_add_u16_e32 v42, 0xf000, v42
	v_or_b32_sdwa v42, v46, v42 dst_sel:DWORD dst_unused:UNUSED_PAD src0_sel:DWORD src1_sel:BYTE_1
	v_add_u16_e32 v42, 0xf000, v42
	v_lshl_or_b32 v40, v40, 16, v42
	v_lshrrev_b32_e32 v42, 4, v43
	v_lshrrev_b32_e32 v43, 12, v39
	;; [unrolled: 1-line block ×3, first 2 shown]
	v_and_b32_e32 v42, 0xf0f0f0f, v42
	v_and_b32_e32 v43, 16, v43
	;; [unrolled: 1-line block ×3, first 2 shown]
	v_or3_b32 v43, v43, v42, v46
	v_lshlrev_b32_e32 v46, 2, v39
	v_lshlrev_b32_e32 v39, 9, v39
	v_and_b32_e32 v46, 0x100000, v46
	v_and_b32_e32 v39, 0x10000000, v39
	v_or3_b32 v39, v42, v46, v39
	v_and_b32_e32 v42, 0x1f00, v43
	v_lshlrev_b16_e32 v43, 8, v43
	v_add_u16_e32 v42, 0xf000, v42
	v_add_u16_e32 v43, 0xf000, v43
	v_perm_b32 v42, v43, v42, s16
	v_and_b32_sdwa v43, v39, s15 dst_sel:DWORD dst_unused:UNUSED_PAD src0_sel:WORD_1 src1_sel:DWORD
	v_lshlrev_b16_sdwa v39, v138, v39 dst_sel:DWORD dst_unused:UNUSED_PAD src0_sel:DWORD src1_sel:WORD_1
	v_add_u16_e32 v43, 0xf000, v43
	v_add_u16_e32 v39, 0xf000, v39
	v_perm_b32 v39, v39, v43, s16
	v_lshl_or_b32 v39, v39, 16, v42
	ds_write2_b32 v81, v40, v39 offset1:1
	v_ashrrev_i32_e32 v39, v71, v41
	v_lshlrev_b32_e32 v41, 4, v39
	v_lshlrev_b32_e32 v42, 11, v39
	v_and_b32_e32 v40, 0xf0f0f0f, v44
	v_and_b32_e32 v41, 16, v41
	;; [unrolled: 1-line block ×3, first 2 shown]
	v_or3_b32 v41, v41, v40, v42
	v_lshlrev_b32_e32 v42, 18, v39
	v_lshlrev_b32_e32 v43, 25, v39
	v_and_b32_e32 v42, 0x100000, v42
	v_and_b32_e32 v43, 0x10000000, v43
	v_or3_b32 v40, v40, v42, v43
	v_and_b32_sdwa v42, v40, s15 dst_sel:DWORD dst_unused:UNUSED_PAD src0_sel:WORD_1 src1_sel:DWORD
	v_lshlrev_b16_sdwa v40, v138, v40 dst_sel:DWORD dst_unused:UNUSED_PAD src0_sel:DWORD src1_sel:WORD_1
	v_add_u16_e32 v42, 0xf000, v42
	v_add_u16_e32 v40, 0xf000, v40
	v_perm_b32 v40, v40, v42, s16
	v_and_b32_e32 v42, 0x1f00, v41
	v_lshlrev_b16_e32 v41, 8, v41
	v_add_u16_e32 v41, 0xf000, v41
	v_or_b32_sdwa v41, v42, v41 dst_sel:DWORD dst_unused:UNUSED_PAD src0_sel:DWORD src1_sel:BYTE_1
	v_add_u16_e32 v41, 0xf000, v41
	v_lshl_or_b32 v40, v40, 16, v41
	v_lshrrev_b32_e32 v41, 4, v44
	v_lshrrev_b32_e32 v42, 12, v39
	;; [unrolled: 1-line block ×3, first 2 shown]
	v_and_b32_e32 v41, 0xf0f0f0f, v41
	v_and_b32_e32 v42, 16, v42
	;; [unrolled: 1-line block ×3, first 2 shown]
	v_or3_b32 v42, v42, v41, v43
	v_lshlrev_b32_e32 v43, 2, v39
	v_lshlrev_b32_e32 v39, 9, v39
	v_and_b32_e32 v43, 0x100000, v43
	v_and_b32_e32 v39, 0x10000000, v39
	v_or3_b32 v39, v41, v43, v39
	v_and_b32_e32 v41, 0x1f00, v42
	v_lshlrev_b16_e32 v42, 8, v42
	v_add_u16_e32 v41, 0xf000, v41
	v_add_u16_e32 v42, 0xf000, v42
	v_perm_b32 v41, v42, v41, s16
	v_and_b32_sdwa v42, v39, s15 dst_sel:DWORD dst_unused:UNUSED_PAD src0_sel:WORD_1 src1_sel:DWORD
	v_lshlrev_b16_sdwa v39, v138, v39 dst_sel:DWORD dst_unused:UNUSED_PAD src0_sel:DWORD src1_sel:WORD_1
	v_add_u16_e32 v42, 0xf000, v42
	v_add_u16_e32 v39, 0xf000, v39
	v_perm_b32 v39, v39, v42, s16
	v_lshl_or_b32 v39, v39, 16, v41
	v_ashrrev_i32_e32 v55, v71, v45
	ds_write2_b32 v83, v40, v39 offset1:1
	v_lshlrev_b32_e32 v40, 4, v55
	v_lshlrev_b32_e32 v41, 11, v55
	v_and_b32_e32 v39, 0xf0f0f0f, v62
	v_and_b32_e32 v40, 16, v40
	;; [unrolled: 1-line block ×3, first 2 shown]
	v_or3_b32 v40, v40, v39, v41
	v_lshlrev_b32_e32 v41, 18, v55
	v_lshlrev_b32_e32 v42, 25, v55
	v_and_b32_e32 v41, 0x100000, v41
	v_and_b32_e32 v42, 0x10000000, v42
	v_or3_b32 v56, v39, v41, v42
	v_and_b32_e32 v39, 0x1f00, v40
	v_add_u16_e32 v57, 0xf000, v39
	v_lshlrev_b16_e32 v58, 8, v40
	v_mad_u64_u32 v[39:40], s[18:19], v88, 22, v[37:38]
	v_mad_u64_u32 v[41:42], s[18:19], v90, 22, v[37:38]
	v_add_co_u32_e32 v43, vcc, v39, v71
	v_mad_u64_u32 v[47:48], s[18:19], v92, 22, v[37:38]
	v_addc_co_u32_e32 v44, vcc, 0, v40, vcc
	v_add_co_u32_e32 v45, vcc, v41, v71
	v_mad_u64_u32 v[49:50], s[18:19], v94, 22, v[37:38]
	v_addc_co_u32_e32 v46, vcc, 0, v42, vcc
	v_add_co_u32_e32 v51, vcc, v47, v71
	v_addc_co_u32_e32 v52, vcc, 0, v48, vcc
	v_add_co_u32_e32 v53, vcc, v49, v71
	v_addc_co_u32_e32 v54, vcc, 0, v50, vcc
	global_load_dword v43, v[43:44], off offset:6
	s_nop 0
	global_load_dword v44, v[45:46], off offset:6
	global_load_dword v59, v[51:52], off offset:6
	s_nop 0
	global_load_dword v53, v[53:54], off offset:6
	s_nop 0
	global_load_dword v54, v[49:50], off offset:2
	global_load_dword v45, v[47:48], off offset:2
	s_nop 0
	global_load_dword v41, v[41:42], off offset:2
	s_nop 0
	global_load_dword v39, v[39:40], off offset:2
	v_and_b32_sdwa v42, v56, s15 dst_sel:DWORD dst_unused:UNUSED_PAD src0_sel:WORD_1 src1_sel:DWORD
	v_lshlrev_b16_sdwa v46, v138, v56 dst_sel:DWORD dst_unused:UNUSED_PAD src0_sel:DWORD src1_sel:WORD_1
	v_add_u16_e32 v40, 0xf000, v58
	v_add_u16_e32 v42, 0xf000, v42
	;; [unrolled: 1-line block ×3, first 2 shown]
	v_perm_b32 v40, v40, v57, s16
	v_perm_b32 v42, v46, v42, s16
	v_lshl_or_b32 v40, v42, 16, v40
	v_lshrrev_b32_e32 v42, 4, v62
	v_lshrrev_b32_e32 v46, 12, v55
	;; [unrolled: 1-line block ×3, first 2 shown]
	v_and_b32_e32 v42, 0xf0f0f0f, v42
	v_and_b32_e32 v46, 16, v46
	;; [unrolled: 1-line block ×3, first 2 shown]
	v_or3_b32 v46, v46, v42, v47
	v_lshlrev_b32_e32 v47, 2, v55
	v_lshlrev_b32_e32 v48, 9, v55
	v_and_b32_e32 v47, 0x100000, v47
	v_and_b32_e32 v48, 0x10000000, v48
	v_or3_b32 v42, v42, v47, v48
	v_and_b32_sdwa v47, v42, s15 dst_sel:DWORD dst_unused:UNUSED_PAD src0_sel:WORD_1 src1_sel:DWORD
	v_lshlrev_b16_sdwa v42, v138, v42 dst_sel:DWORD dst_unused:UNUSED_PAD src0_sel:DWORD src1_sel:WORD_1
	v_add_u16_e32 v47, 0xf000, v47
	v_add_u16_e32 v42, 0xf000, v42
	v_perm_b32 v42, v42, v47, s16
	v_and_b32_e32 v47, 0x1f00, v46
	v_lshlrev_b16_e32 v46, 8, v46
	v_add_u16_e32 v46, 0xf000, v46
	v_or_b32_sdwa v46, v47, v46 dst_sel:DWORD dst_unused:UNUSED_PAD src0_sel:DWORD src1_sel:BYTE_1
	v_add_u16_e32 v46, 0xf000, v46
	v_lshl_or_b32 v42, v42, 16, v46
	ds_write2_b32 v85, v40, v42 offset1:1
	v_ashrrev_i32_e32 v40, v71, v64
	v_lshlrev_b32_e32 v46, 4, v40
	v_lshlrev_b32_e32 v47, 11, v40
	v_and_b32_e32 v42, 0xf0f0f0f, v63
	v_and_b32_e32 v46, 16, v46
	;; [unrolled: 1-line block ×3, first 2 shown]
	v_or3_b32 v46, v46, v42, v47
	v_lshlrev_b32_e32 v47, 18, v40
	v_lshlrev_b32_e32 v48, 25, v40
	v_and_b32_e32 v47, 0x100000, v47
	v_and_b32_e32 v48, 0x10000000, v48
	v_or3_b32 v42, v42, v47, v48
	v_and_b32_e32 v47, 0x1f00, v46
	v_lshlrev_b16_e32 v46, 8, v46
	v_add_u16_e32 v47, 0xf000, v47
	v_add_u16_e32 v46, 0xf000, v46
	v_perm_b32 v46, v46, v47, s16
	v_and_b32_sdwa v47, v42, s15 dst_sel:DWORD dst_unused:UNUSED_PAD src0_sel:WORD_1 src1_sel:DWORD
	v_lshlrev_b16_sdwa v42, v138, v42 dst_sel:DWORD dst_unused:UNUSED_PAD src0_sel:DWORD src1_sel:WORD_1
	v_add_u16_e32 v47, 0xf000, v47
	v_add_u16_e32 v42, 0xf000, v42
	v_perm_b32 v42, v42, v47, s16
	v_lshl_or_b32 v42, v42, 16, v46
	v_lshrrev_b32_e32 v46, 4, v63
	v_lshrrev_b32_e32 v47, 12, v40
	v_lshrrev_b32_e32 v48, 5, v40
	v_and_b32_e32 v46, 0xf0f0f0f, v46
	v_and_b32_e32 v47, 16, v47
	;; [unrolled: 1-line block ×3, first 2 shown]
	v_or3_b32 v47, v47, v46, v48
	v_lshlrev_b32_e32 v48, 2, v40
	v_lshlrev_b32_e32 v40, 9, v40
	v_and_b32_e32 v48, 0x100000, v48
	v_and_b32_e32 v40, 0x10000000, v40
	v_or3_b32 v40, v46, v48, v40
	v_and_b32_sdwa v46, v40, s15 dst_sel:DWORD dst_unused:UNUSED_PAD src0_sel:WORD_1 src1_sel:DWORD
	v_lshlrev_b16_sdwa v40, v138, v40 dst_sel:DWORD dst_unused:UNUSED_PAD src0_sel:DWORD src1_sel:WORD_1
	v_add_u16_e32 v46, 0xf000, v46
	v_add_u16_e32 v40, 0xf000, v40
	v_perm_b32 v40, v40, v46, s16
	v_and_b32_e32 v46, 0x1f00, v47
	v_lshlrev_b16_e32 v47, 8, v47
	v_add_u16_e32 v47, 0xf000, v47
	v_or_b32_sdwa v46, v46, v47 dst_sel:DWORD dst_unused:UNUSED_PAD src0_sel:DWORD src1_sel:BYTE_1
	v_add_u16_e32 v46, 0xf000, v46
	v_lshl_or_b32 v40, v40, 16, v46
	ds_write2_b32 v87, v42, v40 offset1:1
	s_waitcnt vmcnt(0)
	v_ashrrev_i32_e32 v39, v71, v39
	v_lshlrev_b32_e32 v42, 4, v39
	v_lshlrev_b32_e32 v46, 11, v39
	v_and_b32_e32 v40, 0xf0f0f0f, v43
	v_and_b32_e32 v42, 16, v42
	;; [unrolled: 1-line block ×3, first 2 shown]
	v_or3_b32 v42, v42, v40, v46
	v_lshlrev_b32_e32 v46, 18, v39
	v_lshlrev_b32_e32 v47, 25, v39
	v_and_b32_e32 v46, 0x100000, v46
	v_and_b32_e32 v47, 0x10000000, v47
	v_or3_b32 v40, v40, v46, v47
	v_and_b32_e32 v46, 0x1f00, v42
	v_lshlrev_b16_e32 v42, 8, v42
	v_add_u16_e32 v46, 0xf000, v46
	v_add_u16_e32 v42, 0xf000, v42
	v_perm_b32 v42, v42, v46, s16
	v_and_b32_sdwa v46, v40, s15 dst_sel:DWORD dst_unused:UNUSED_PAD src0_sel:WORD_1 src1_sel:DWORD
	v_lshlrev_b16_sdwa v40, v138, v40 dst_sel:DWORD dst_unused:UNUSED_PAD src0_sel:DWORD src1_sel:WORD_1
	v_add_u16_e32 v46, 0xf000, v46
	v_add_u16_e32 v40, 0xf000, v40
	v_perm_b32 v40, v40, v46, s16
	v_lshl_or_b32 v40, v40, 16, v42
	v_lshrrev_b32_e32 v42, 4, v43
	v_lshrrev_b32_e32 v43, 12, v39
	;; [unrolled: 1-line block ×3, first 2 shown]
	v_and_b32_e32 v42, 0xf0f0f0f, v42
	v_and_b32_e32 v43, 16, v43
	;; [unrolled: 1-line block ×3, first 2 shown]
	v_or3_b32 v43, v43, v42, v46
	v_lshlrev_b32_e32 v46, 2, v39
	v_lshlrev_b32_e32 v39, 9, v39
	v_and_b32_e32 v46, 0x100000, v46
	v_and_b32_e32 v39, 0x10000000, v39
	v_or3_b32 v39, v42, v46, v39
	v_and_b32_sdwa v42, v39, s15 dst_sel:DWORD dst_unused:UNUSED_PAD src0_sel:WORD_1 src1_sel:DWORD
	v_lshlrev_b16_sdwa v39, v138, v39 dst_sel:DWORD dst_unused:UNUSED_PAD src0_sel:DWORD src1_sel:WORD_1
	v_add_u16_e32 v42, 0xf000, v42
	v_add_u16_e32 v39, 0xf000, v39
	v_perm_b32 v39, v39, v42, s16
	v_and_b32_e32 v42, 0x1f00, v43
	v_lshlrev_b16_e32 v43, 8, v43
	v_add_u16_e32 v43, 0xf000, v43
	v_or_b32_sdwa v42, v42, v43 dst_sel:DWORD dst_unused:UNUSED_PAD src0_sel:DWORD src1_sel:BYTE_1
	v_add_u16_e32 v42, 0xf000, v42
	v_lshl_or_b32 v39, v39, 16, v42
	ds_write2_b32 v89, v40, v39 offset1:1
	v_ashrrev_i32_e32 v39, v71, v41
	v_lshlrev_b32_e32 v41, 4, v39
	v_lshlrev_b32_e32 v42, 11, v39
	v_and_b32_e32 v40, 0xf0f0f0f, v44
	v_and_b32_e32 v41, 16, v41
	;; [unrolled: 1-line block ×3, first 2 shown]
	v_or3_b32 v41, v41, v40, v42
	v_lshlrev_b32_e32 v42, 18, v39
	v_lshlrev_b32_e32 v43, 25, v39
	v_and_b32_e32 v42, 0x100000, v42
	v_and_b32_e32 v43, 0x10000000, v43
	v_or3_b32 v40, v40, v42, v43
	v_and_b32_e32 v42, 0x1f00, v41
	v_lshlrev_b16_e32 v41, 8, v41
	v_add_u16_e32 v42, 0xf000, v42
	v_add_u16_e32 v41, 0xf000, v41
	v_perm_b32 v41, v41, v42, s16
	v_and_b32_sdwa v42, v40, s15 dst_sel:DWORD dst_unused:UNUSED_PAD src0_sel:WORD_1 src1_sel:DWORD
	v_lshlrev_b16_sdwa v40, v138, v40 dst_sel:DWORD dst_unused:UNUSED_PAD src0_sel:DWORD src1_sel:WORD_1
	v_add_u16_e32 v42, 0xf000, v42
	v_add_u16_e32 v40, 0xf000, v40
	v_perm_b32 v40, v40, v42, s16
	v_lshl_or_b32 v40, v40, 16, v41
	v_lshrrev_b32_e32 v41, 4, v44
	v_lshrrev_b32_e32 v42, 12, v39
	;; [unrolled: 1-line block ×3, first 2 shown]
	v_and_b32_e32 v41, 0xf0f0f0f, v41
	v_and_b32_e32 v42, 16, v42
	;; [unrolled: 1-line block ×3, first 2 shown]
	v_or3_b32 v42, v42, v41, v43
	v_lshlrev_b32_e32 v43, 2, v39
	v_lshlrev_b32_e32 v39, 9, v39
	v_and_b32_e32 v43, 0x100000, v43
	v_and_b32_e32 v39, 0x10000000, v39
	v_or3_b32 v39, v41, v43, v39
	v_and_b32_sdwa v41, v39, s15 dst_sel:DWORD dst_unused:UNUSED_PAD src0_sel:WORD_1 src1_sel:DWORD
	v_lshlrev_b16_sdwa v39, v138, v39 dst_sel:DWORD dst_unused:UNUSED_PAD src0_sel:DWORD src1_sel:WORD_1
	v_add_u16_e32 v41, 0xf000, v41
	v_add_u16_e32 v39, 0xf000, v39
	v_perm_b32 v39, v39, v41, s16
	v_and_b32_e32 v41, 0x1f00, v42
	v_lshlrev_b16_e32 v42, 8, v42
	v_add_u16_e32 v42, 0xf000, v42
	v_or_b32_sdwa v41, v41, v42 dst_sel:DWORD dst_unused:UNUSED_PAD src0_sel:DWORD src1_sel:BYTE_1
	v_add_u16_e32 v41, 0xf000, v41
	v_lshl_or_b32 v39, v39, 16, v41
	v_ashrrev_i32_e32 v55, v71, v45
	ds_write2_b32 v91, v40, v39 offset1:1
	v_lshlrev_b32_e32 v40, 4, v55
	v_lshlrev_b32_e32 v41, 11, v55
	v_and_b32_e32 v39, 0xf0f0f0f, v59
	v_and_b32_e32 v40, 16, v40
	;; [unrolled: 1-line block ×3, first 2 shown]
	v_or3_b32 v40, v40, v39, v41
	v_lshlrev_b32_e32 v41, 18, v55
	v_lshlrev_b32_e32 v42, 25, v55
	v_and_b32_e32 v41, 0x100000, v41
	v_and_b32_e32 v42, 0x10000000, v42
	v_or3_b32 v56, v39, v41, v42
	v_and_b32_e32 v39, 0x1f00, v40
	v_add_u16_e32 v57, 0xf000, v39
	v_lshlrev_b16_e32 v58, 8, v40
	v_mad_u64_u32 v[39:40], s[18:19], v96, 22, v[37:38]
	v_mad_u64_u32 v[41:42], s[18:19], v98, 22, v[37:38]
	v_add_co_u32_e32 v43, vcc, v39, v71
	v_mad_u64_u32 v[47:48], s[18:19], v100, 22, v[37:38]
	v_addc_co_u32_e32 v44, vcc, 0, v40, vcc
	v_add_co_u32_e32 v45, vcc, v41, v71
	v_mad_u64_u32 v[37:38], s[18:19], v102, 22, v[37:38]
	v_addc_co_u32_e32 v46, vcc, 0, v42, vcc
	v_add_co_u32_e32 v49, vcc, v47, v71
	v_addc_co_u32_e32 v50, vcc, 0, v48, vcc
	v_add_co_u32_e32 v51, vcc, v37, v71
	v_addc_co_u32_e32 v52, vcc, 0, v38, vcc
	global_load_dword v43, v[43:44], off offset:6
	s_nop 0
	global_load_dword v44, v[45:46], off offset:6
	s_nop 0
	global_load_dword v45, v[49:50], off offset:6
	global_load_dword v46, v[51:52], off offset:6
	s_nop 0
	global_load_dword v49, v[37:38], off offset:2
	s_nop 0
	global_load_dword v37, v[47:48], off offset:2
	global_load_dword v38, v[41:42], off offset:2
	s_nop 0
	global_load_dword v39, v[39:40], off offset:2
	v_and_b32_sdwa v41, v56, s15 dst_sel:DWORD dst_unused:UNUSED_PAD src0_sel:WORD_1 src1_sel:DWORD
	v_lshlrev_b16_sdwa v42, v138, v56 dst_sel:DWORD dst_unused:UNUSED_PAD src0_sel:DWORD src1_sel:WORD_1
	v_add_u16_e32 v40, 0xf000, v58
	v_add_u16_e32 v41, 0xf000, v41
	v_add_u16_e32 v42, 0xf000, v42
	v_perm_b32 v40, v40, v57, s16
	v_perm_b32 v41, v42, v41, s16
	v_lshl_or_b32 v40, v41, 16, v40
	v_lshrrev_b32_e32 v41, 4, v59
	v_lshrrev_b32_e32 v42, 12, v55
	;; [unrolled: 1-line block ×3, first 2 shown]
	v_and_b32_e32 v41, 0xf0f0f0f, v41
	v_and_b32_e32 v42, 16, v42
	;; [unrolled: 1-line block ×3, first 2 shown]
	v_or3_b32 v42, v42, v41, v47
	v_lshlrev_b32_e32 v47, 2, v55
	v_lshlrev_b32_e32 v48, 9, v55
	v_and_b32_e32 v47, 0x100000, v47
	v_and_b32_e32 v48, 0x10000000, v48
	v_or3_b32 v41, v41, v47, v48
	v_and_b32_sdwa v47, v41, s15 dst_sel:DWORD dst_unused:UNUSED_PAD src0_sel:WORD_1 src1_sel:DWORD
	v_lshlrev_b16_sdwa v41, v138, v41 dst_sel:DWORD dst_unused:UNUSED_PAD src0_sel:DWORD src1_sel:WORD_1
	v_add_u16_e32 v47, 0xf000, v47
	v_add_u16_e32 v41, 0xf000, v41
	v_perm_b32 v41, v41, v47, s16
	v_and_b32_e32 v47, 0x1f00, v42
	v_lshlrev_b16_e32 v42, 8, v42
	v_add_u16_e32 v42, 0xf000, v42
	v_or_b32_sdwa v42, v47, v42 dst_sel:DWORD dst_unused:UNUSED_PAD src0_sel:DWORD src1_sel:BYTE_1
	v_add_u16_e32 v42, 0xf000, v42
	v_lshl_or_b32 v41, v41, 16, v42
	ds_write2_b32 v93, v40, v41 offset1:1
	v_ashrrev_i32_e32 v40, v71, v54
	v_lshlrev_b32_e32 v42, 4, v40
	v_lshlrev_b32_e32 v47, 11, v40
	v_and_b32_e32 v41, 0xf0f0f0f, v53
	v_and_b32_e32 v42, 16, v42
	;; [unrolled: 1-line block ×3, first 2 shown]
	v_or3_b32 v42, v42, v41, v47
	v_lshlrev_b32_e32 v47, 18, v40
	v_lshlrev_b32_e32 v48, 25, v40
	v_and_b32_e32 v47, 0x100000, v47
	v_and_b32_e32 v48, 0x10000000, v48
	v_or3_b32 v41, v41, v47, v48
	v_and_b32_e32 v47, 0x1f00, v42
	v_lshlrev_b16_e32 v42, 8, v42
	v_add_u16_e32 v47, 0xf000, v47
	v_add_u16_e32 v42, 0xf000, v42
	v_perm_b32 v42, v42, v47, s16
	v_and_b32_sdwa v47, v41, s15 dst_sel:DWORD dst_unused:UNUSED_PAD src0_sel:WORD_1 src1_sel:DWORD
	v_lshlrev_b16_sdwa v41, v138, v41 dst_sel:DWORD dst_unused:UNUSED_PAD src0_sel:DWORD src1_sel:WORD_1
	v_add_u16_e32 v47, 0xf000, v47
	v_add_u16_e32 v41, 0xf000, v41
	v_perm_b32 v41, v41, v47, s16
	v_lshl_or_b32 v41, v41, 16, v42
	v_lshrrev_b32_e32 v42, 4, v53
	v_lshrrev_b32_e32 v47, 12, v40
	;; [unrolled: 1-line block ×3, first 2 shown]
	v_and_b32_e32 v42, 0xf0f0f0f, v42
	v_and_b32_e32 v47, 16, v47
	;; [unrolled: 1-line block ×3, first 2 shown]
	v_or3_b32 v47, v47, v42, v48
	v_lshlrev_b32_e32 v48, 2, v40
	v_lshlrev_b32_e32 v40, 9, v40
	v_and_b32_e32 v48, 0x100000, v48
	v_and_b32_e32 v40, 0x10000000, v40
	v_or3_b32 v40, v42, v48, v40
	v_and_b32_sdwa v42, v40, s15 dst_sel:DWORD dst_unused:UNUSED_PAD src0_sel:WORD_1 src1_sel:DWORD
	v_lshlrev_b16_sdwa v40, v138, v40 dst_sel:DWORD dst_unused:UNUSED_PAD src0_sel:DWORD src1_sel:WORD_1
	v_add_u16_e32 v42, 0xf000, v42
	v_add_u16_e32 v40, 0xf000, v40
	v_perm_b32 v40, v40, v42, s16
	v_and_b32_e32 v42, 0x1f00, v47
	v_lshlrev_b16_e32 v47, 8, v47
	v_add_u16_e32 v47, 0xf000, v47
	v_or_b32_sdwa v42, v42, v47 dst_sel:DWORD dst_unused:UNUSED_PAD src0_sel:DWORD src1_sel:BYTE_1
	v_add_u16_e32 v42, 0xf000, v42
	v_lshl_or_b32 v40, v40, 16, v42
	ds_write2_b32 v95, v41, v40 offset1:1
	s_waitcnt vmcnt(0)
	v_ashrrev_i32_e32 v39, v71, v39
	v_lshlrev_b32_e32 v41, 4, v39
	v_lshlrev_b32_e32 v42, 11, v39
	v_and_b32_e32 v40, 0xf0f0f0f, v43
	v_and_b32_e32 v41, 16, v41
	;; [unrolled: 1-line block ×3, first 2 shown]
	v_or3_b32 v41, v41, v40, v42
	v_lshlrev_b32_e32 v42, 18, v39
	v_lshlrev_b32_e32 v47, 25, v39
	v_and_b32_e32 v42, 0x100000, v42
	v_and_b32_e32 v47, 0x10000000, v47
	v_or3_b32 v40, v40, v42, v47
	v_and_b32_e32 v42, 0x1f00, v41
	v_lshlrev_b16_e32 v41, 8, v41
	v_add_u16_e32 v42, 0xf000, v42
	v_add_u16_e32 v41, 0xf000, v41
	v_perm_b32 v41, v41, v42, s16
	v_and_b32_sdwa v42, v40, s15 dst_sel:DWORD dst_unused:UNUSED_PAD src0_sel:WORD_1 src1_sel:DWORD
	v_lshlrev_b16_sdwa v40, v138, v40 dst_sel:DWORD dst_unused:UNUSED_PAD src0_sel:DWORD src1_sel:WORD_1
	v_add_u16_e32 v42, 0xf000, v42
	v_add_u16_e32 v40, 0xf000, v40
	v_perm_b32 v40, v40, v42, s16
	v_lshl_or_b32 v40, v40, 16, v41
	v_lshrrev_b32_e32 v41, 4, v43
	v_lshrrev_b32_e32 v42, 12, v39
	;; [unrolled: 1-line block ×3, first 2 shown]
	v_and_b32_e32 v41, 0xf0f0f0f, v41
	v_and_b32_e32 v42, 16, v42
	;; [unrolled: 1-line block ×3, first 2 shown]
	v_or3_b32 v42, v42, v41, v43
	v_lshlrev_b32_e32 v43, 2, v39
	v_lshlrev_b32_e32 v39, 9, v39
	v_and_b32_e32 v43, 0x100000, v43
	v_and_b32_e32 v39, 0x10000000, v39
	v_or3_b32 v39, v41, v43, v39
	v_and_b32_sdwa v41, v39, s15 dst_sel:DWORD dst_unused:UNUSED_PAD src0_sel:WORD_1 src1_sel:DWORD
	v_lshlrev_b16_sdwa v39, v138, v39 dst_sel:DWORD dst_unused:UNUSED_PAD src0_sel:DWORD src1_sel:WORD_1
	v_add_u16_e32 v41, 0xf000, v41
	v_add_u16_e32 v39, 0xf000, v39
	v_perm_b32 v39, v39, v41, s16
	v_and_b32_e32 v41, 0x1f00, v42
	v_lshlrev_b16_e32 v42, 8, v42
	v_add_u16_e32 v42, 0xf000, v42
	v_or_b32_sdwa v41, v41, v42 dst_sel:DWORD dst_unused:UNUSED_PAD src0_sel:DWORD src1_sel:BYTE_1
	v_add_u16_e32 v41, 0xf000, v41
	v_lshl_or_b32 v39, v39, 16, v41
	v_ashrrev_i32_e32 v38, v71, v38
	ds_write2_b32 v97, v40, v39 offset1:1
	v_lshlrev_b32_e32 v40, 4, v38
	v_lshlrev_b32_e32 v41, 11, v38
	v_and_b32_e32 v39, 0xf0f0f0f, v44
	v_and_b32_e32 v40, 16, v40
	;; [unrolled: 1-line block ×3, first 2 shown]
	v_or3_b32 v40, v40, v39, v41
	v_lshlrev_b32_e32 v41, 18, v38
	v_lshlrev_b32_e32 v42, 25, v38
	v_and_b32_e32 v41, 0x100000, v41
	v_and_b32_e32 v42, 0x10000000, v42
	v_or3_b32 v39, v39, v41, v42
	v_and_b32_e32 v41, 0x1f00, v40
	v_lshlrev_b16_e32 v40, 8, v40
	v_add_u16_e32 v41, 0xf000, v41
	v_add_u16_e32 v40, 0xf000, v40
	v_perm_b32 v40, v40, v41, s16
	v_and_b32_sdwa v41, v39, s15 dst_sel:DWORD dst_unused:UNUSED_PAD src0_sel:WORD_1 src1_sel:DWORD
	v_lshlrev_b16_sdwa v39, v138, v39 dst_sel:DWORD dst_unused:UNUSED_PAD src0_sel:DWORD src1_sel:WORD_1
	v_add_u16_e32 v41, 0xf000, v41
	v_add_u16_e32 v39, 0xf000, v39
	v_perm_b32 v39, v39, v41, s16
	v_lshl_or_b32 v39, v39, 16, v40
	v_lshrrev_b32_e32 v40, 4, v44
	v_lshrrev_b32_e32 v41, 12, v38
	;; [unrolled: 1-line block ×3, first 2 shown]
	v_and_b32_e32 v40, 0xf0f0f0f, v40
	v_and_b32_e32 v41, 16, v41
	;; [unrolled: 1-line block ×3, first 2 shown]
	v_or3_b32 v41, v41, v40, v42
	v_lshlrev_b32_e32 v42, 2, v38
	v_lshlrev_b32_e32 v38, 9, v38
	v_and_b32_e32 v42, 0x100000, v42
	v_and_b32_e32 v38, 0x10000000, v38
	v_or3_b32 v38, v40, v42, v38
	v_and_b32_sdwa v40, v38, s15 dst_sel:DWORD dst_unused:UNUSED_PAD src0_sel:WORD_1 src1_sel:DWORD
	v_lshlrev_b16_sdwa v38, v138, v38 dst_sel:DWORD dst_unused:UNUSED_PAD src0_sel:DWORD src1_sel:WORD_1
	v_add_u16_e32 v40, 0xf000, v40
	v_add_u16_e32 v38, 0xf000, v38
	v_perm_b32 v38, v38, v40, s16
	v_and_b32_e32 v40, 0x1f00, v41
	v_lshlrev_b16_e32 v41, 8, v41
	v_add_u16_e32 v41, 0xf000, v41
	v_or_b32_sdwa v40, v40, v41 dst_sel:DWORD dst_unused:UNUSED_PAD src0_sel:DWORD src1_sel:BYTE_1
	v_add_u16_e32 v40, 0xf000, v40
	v_lshl_or_b32 v38, v38, 16, v40
	v_ashrrev_i32_e32 v43, v71, v37
	ds_write2_b32 v99, v39, v38 offset1:1
	v_lshlrev_b32_e32 v38, 4, v43
	v_lshlrev_b32_e32 v39, 11, v43
	v_and_b32_e32 v37, 0xf0f0f0f, v45
	v_and_b32_e32 v38, 16, v38
	;; [unrolled: 1-line block ×3, first 2 shown]
	v_or3_b32 v39, v38, v37, v39
	v_lshlrev_b32_e32 v38, 18, v43
	v_lshlrev_b32_e32 v40, 25, v43
	v_and_b32_e32 v38, 0x100000, v38
	v_and_b32_e32 v40, 0x10000000, v40
	v_or3_b32 v44, v37, v38, v40
	v_mad_u64_u32 v[37:38], s[0:1], v104, 22, s[0:1]
	v_and_b32_e32 v40, 0x1f00, v39
	v_add_u16_e32 v41, 0xf000, v40
	v_lshlrev_b16_e32 v42, 8, v39
	v_mad_u64_u32 v[39:40], s[0:1], v106, 22, v[37:38]
	v_add_u16_e32 v42, 0xf000, v42
	v_perm_b32 v47, v42, v41, s16
	global_load_ushort v50, v[39:40], off
	v_mad_u64_u32 v[39:40], s[0:1], v107, 22, v[37:38]
	v_mad_u64_u32 v[41:42], s[0:1], v108, 22, v[37:38]
	;; [unrolled: 1-line block ×3, first 2 shown]
	global_load_ushort v39, v[39:40], off
	s_nop 0
	global_load_ushort v40, v[41:42], off
	v_and_b32_sdwa v48, v44, s15 dst_sel:DWORD dst_unused:UNUSED_PAD src0_sel:WORD_1 src1_sel:DWORD
	global_load_ushort v37, v[37:38], off
	v_lshlrev_b16_sdwa v38, v138, v44 dst_sel:DWORD dst_unused:UNUSED_PAD src0_sel:DWORD src1_sel:WORD_1
	v_add_u16_e32 v41, 0xf000, v48
	v_add_u16_e32 v38, 0xf000, v38
	v_perm_b32 v38, v38, v41, s16
	v_lshrrev_b32_e32 v41, 4, v45
	v_lshrrev_b32_e32 v42, 12, v43
	;; [unrolled: 1-line block ×3, first 2 shown]
	v_and_b32_e32 v41, 0xf0f0f0f, v41
	v_and_b32_e32 v42, 16, v42
	;; [unrolled: 1-line block ×3, first 2 shown]
	v_or3_b32 v42, v42, v41, v44
	v_lshlrev_b32_e32 v44, 2, v43
	v_lshlrev_b32_e32 v43, 9, v43
	v_and_b32_e32 v44, 0x100000, v44
	v_and_b32_e32 v43, 0x10000000, v43
	v_or3_b32 v41, v41, v44, v43
	v_and_b32_sdwa v43, v41, s15 dst_sel:DWORD dst_unused:UNUSED_PAD src0_sel:WORD_1 src1_sel:DWORD
	v_lshlrev_b16_sdwa v41, v138, v41 dst_sel:DWORD dst_unused:UNUSED_PAD src0_sel:DWORD src1_sel:WORD_1
	v_add_u16_e32 v43, 0xf000, v43
	v_add_u16_e32 v41, 0xf000, v41
	v_perm_b32 v41, v41, v43, s16
	v_and_b32_e32 v43, 0x1f00, v42
	v_lshlrev_b16_e32 v42, 8, v42
	v_add_u16_e32 v42, 0xf000, v42
	v_or_b32_sdwa v42, v43, v42 dst_sel:DWORD dst_unused:UNUSED_PAD src0_sel:DWORD src1_sel:BYTE_1
	v_add_u16_e32 v42, 0xf000, v42
	v_lshl_or_b32 v38, v38, 16, v47
	v_lshl_or_b32 v41, v41, 16, v42
	ds_write2_b32 v101, v38, v41 offset1:1
	v_ashrrev_i32_e32 v38, v71, v49
	v_lshlrev_b32_e32 v42, 4, v38
	v_lshlrev_b32_e32 v43, 11, v38
	v_and_b32_e32 v41, 0xf0f0f0f, v46
	v_and_b32_e32 v42, 16, v42
	;; [unrolled: 1-line block ×3, first 2 shown]
	v_or3_b32 v42, v42, v41, v43
	v_lshlrev_b32_e32 v43, 18, v38
	v_lshlrev_b32_e32 v44, 25, v38
	v_and_b32_e32 v43, 0x100000, v43
	v_and_b32_e32 v44, 0x10000000, v44
	v_or3_b32 v41, v41, v43, v44
	v_and_b32_e32 v43, 0x1f00, v42
	v_lshlrev_b16_e32 v42, 8, v42
	v_add_u16_e32 v43, 0xf000, v43
	v_add_u16_e32 v42, 0xf000, v42
	v_perm_b32 v42, v42, v43, s16
	v_and_b32_sdwa v43, v41, s15 dst_sel:DWORD dst_unused:UNUSED_PAD src0_sel:WORD_1 src1_sel:DWORD
	v_lshlrev_b16_sdwa v41, v138, v41 dst_sel:DWORD dst_unused:UNUSED_PAD src0_sel:DWORD src1_sel:WORD_1
	v_add_u16_e32 v43, 0xf000, v43
	v_add_u16_e32 v41, 0xf000, v41
	v_perm_b32 v41, v41, v43, s16
	v_lshl_or_b32 v41, v41, 16, v42
	v_lshrrev_b32_e32 v42, 4, v46
	v_lshrrev_b32_e32 v43, 12, v38
	v_lshrrev_b32_e32 v44, 5, v38
	v_and_b32_e32 v42, 0xf0f0f0f, v42
	v_and_b32_e32 v43, 16, v43
	;; [unrolled: 1-line block ×3, first 2 shown]
	v_or3_b32 v43, v43, v42, v44
	v_lshlrev_b32_e32 v44, 2, v38
	v_lshlrev_b32_e32 v38, 9, v38
	v_and_b32_e32 v44, 0x100000, v44
	v_and_b32_e32 v38, 0x10000000, v38
	v_or3_b32 v38, v42, v44, v38
	v_and_b32_sdwa v42, v38, s15 dst_sel:DWORD dst_unused:UNUSED_PAD src0_sel:WORD_1 src1_sel:DWORD
	v_lshlrev_b16_sdwa v38, v138, v38 dst_sel:DWORD dst_unused:UNUSED_PAD src0_sel:DWORD src1_sel:WORD_1
	v_add_u16_e32 v42, 0xf000, v42
	v_add_u16_e32 v38, 0xf000, v38
	v_perm_b32 v38, v38, v42, s16
	v_and_b32_e32 v42, 0x1f00, v43
	v_lshlrev_b16_e32 v43, 8, v43
	v_add_u16_e32 v43, 0xf000, v43
	v_or_b32_sdwa v42, v42, v43 dst_sel:DWORD dst_unused:UNUSED_PAD src0_sel:DWORD src1_sel:BYTE_1
	v_add_u16_e32 v42, 0xf000, v42
	v_lshl_or_b32 v38, v38, 16, v42
	s_waitcnt vmcnt(3)
	v_cvt_f32_f16_e32 v42, v50
	ds_write2_b32 v103, v41, v38 offset1:1
	s_waitcnt vmcnt(2)
	v_cvt_f32_f16_e32 v38, v39
	s_waitcnt vmcnt(1)
	v_cvt_f32_f16_e32 v39, v40
	;; [unrolled: 2-line block ×3, first 2 shown]
	ds_write_b32 v134, v42
	ds_write_b32 v135, v38
	;; [unrolled: 1-line block ×4, first 2 shown]
	s_cbranch_scc0 .LBB141_5
; %bb.7:                                ;   in Loop: Header=BB141_6 Depth=1
	v_add_u32_e32 v146, s14, v4
	v_add_u32_e32 v53, s14, v105
	;; [unrolled: 1-line block ×3, first 2 shown]
	v_mad_u64_u32 v[51:52], s[0:1], v146, 36, s[2:3]
	v_mad_i64_i32 v[37:38], s[0:1], v37, 36, v[5:6]
	v_add_u32_e32 v39, v53, v114
	v_mad_i64_i32 v[39:40], s[0:1], v39, 36, v[5:6]
	v_add_u32_e32 v41, v53, v115
	v_add_u32_e32 v43, v53, v116
	v_mad_i64_i32 v[41:42], s[0:1], v41, 36, v[5:6]
	v_mad_i64_i32 v[43:44], s[0:1], v43, 36, v[5:6]
	v_add_u32_e32 v45, v53, v117
	v_add_u32_e32 v47, v53, v118
	;; [unrolled: 1-line block ×4, first 2 shown]
	v_mad_i64_i32 v[45:46], s[0:1], v45, 36, v[5:6]
	v_mad_i64_i32 v[47:48], s[0:1], v47, 36, v[5:6]
	;; [unrolled: 1-line block ×4, first 2 shown]
	global_load_dword v51, v[51:52], off
	s_nop 0
	global_load_dword v37, v[37:38], off offset:4
	s_nop 0
	global_load_dword v38, v[39:40], off offset:4
	;; [unrolled: 2-line block ×3, first 2 shown]
	global_load_dword v40, v[43:44], off offset:4
	s_nop 0
	global_load_dword v41, v[45:46], off offset:4
	global_load_dword v42, v[47:48], off offset:4
	;; [unrolled: 1-line block ×4, first 2 shown]
	v_add_u32_e32 v147, v110, v113
	s_mov_b32 s0, -4
	v_mov_b32_e32 v148, v128
	v_mov_b32_e32 v149, v121
	;; [unrolled: 1-line block ×7, first 2 shown]
	s_waitcnt vmcnt(8)
	v_cvt_f32_f16_e32 v45, v51
	s_waitcnt vmcnt(7)
	ds_write_b32 v147, v37
	s_waitcnt vmcnt(6)
	ds_write_b32 v139, v38
	;; [unrolled: 2-line block ×8, first 2 shown]
	ds_write_b32 v111, v45
	s_waitcnt lgkmcnt(0)
	s_barrier
.LBB141_8:                              ;   Parent Loop BB141_6 Depth=1
                                        ; =>  This Inner Loop Header: Depth=2
	ds_read_b128 v[159:162], v148
	ds_read_b128 v[163:166], v148 offset:16
	ds_read2_b32 v[167:168], v150 offset1:32
	ds_read_b32 v155, v151
	ds_read2_b32 v[37:38], v149 offset1:1
	s_add_i32 s0, s0, 4
	v_add_u32_e32 v151, 4, v151
	s_cmp_lt_u32 s0, 12
	s_waitcnt lgkmcnt(1)
	v_mul_f32_e32 v174, v155, v167
	s_waitcnt lgkmcnt(0)
	v_dot4_i32_i8 v39, v37, v159, 0
	v_dot4_i32_i8 v41, v38, v163, v39
	ds_read2_b32 v[39:40], v149 offset0:2 offset1:3
	v_mul_f32_e32 v175, v155, v168
	s_waitcnt lgkmcnt(0)
	v_dot4_i32_i8 v41, v39, v160, v41
	v_dot4_i32_i8 v43, v40, v164, v41
	ds_read2_b32 v[41:42], v149 offset0:4 offset1:5
	s_waitcnt lgkmcnt(0)
	v_dot4_i32_i8 v43, v41, v161, v43
	v_dot4_i32_i8 v45, v42, v165, v43
	ds_read2_b32 v[43:44], v149 offset0:6 offset1:7
	s_waitcnt lgkmcnt(0)
	v_dot4_i32_i8 v45, v43, v162, v45
	v_dot4_i32_i8 v169, v44, v166, v45
	v_add_u32_e32 v45, 0x2080, v149
	ds_read_b32 v156, v152
	ds_read2_b32 v[45:46], v45 offset1:1
	v_cvt_f32_i32_e32 v169, v169
	v_add_u32_e32 v152, 4, v152
	s_waitcnt lgkmcnt(0)
	v_dot4_i32_i8 v47, v45, v159, 0
	v_dot4_i32_i8 v49, v46, v163, v47
	v_add_u32_e32 v47, 0x2088, v149
	ds_read2_b32 v[47:48], v47 offset1:1
	v_fmac_f32_e32 v2, v174, v169
	v_mul_f32_e32 v174, v156, v168
	s_waitcnt lgkmcnt(0)
	v_dot4_i32_i8 v49, v47, v160, v49
	v_dot4_i32_i8 v51, v48, v164, v49
	v_add_u32_e32 v49, 0x2090, v149
	ds_read2_b32 v[49:50], v49 offset1:1
	s_waitcnt lgkmcnt(0)
	v_dot4_i32_i8 v51, v49, v161, v51
	v_dot4_i32_i8 v53, v50, v165, v51
	v_add_u32_e32 v51, 0x2098, v149
	ds_read2_b32 v[51:52], v51 offset1:1
	s_waitcnt lgkmcnt(0)
	v_dot4_i32_i8 v53, v51, v162, v53
	v_dot4_i32_i8 v170, v52, v166, v53
	v_add_u32_e32 v53, 0x4100, v149
	ds_read_b32 v157, v153
	ds_read2_b32 v[53:54], v53 offset1:1
	v_cvt_f32_i32_e32 v170, v170
	v_add_u32_e32 v153, 4, v153
	s_waitcnt lgkmcnt(0)
	v_dot4_i32_i8 v55, v53, v159, 0
	v_dot4_i32_i8 v57, v54, v163, v55
	v_add_u32_e32 v55, 0x4108, v149
	ds_read2_b32 v[55:56], v55 offset1:1
	s_waitcnt lgkmcnt(0)
	v_dot4_i32_i8 v57, v55, v160, v57
	v_dot4_i32_i8 v59, v56, v164, v57
	v_add_u32_e32 v57, 0x4110, v149
	ds_read2_b32 v[57:58], v57 offset1:1
	;; [unrolled: 5-line block ×3, first 2 shown]
	s_waitcnt lgkmcnt(0)
	v_dot4_i32_i8 v61, v59, v162, v61
	v_dot4_i32_i8 v171, v60, v166, v61
	v_add_u32_e32 v61, 0x6180, v149
	ds_read_b32 v158, v154
	ds_read2_b32 v[61:62], v61 offset1:1
	v_cvt_f32_i32_e32 v171, v171
	v_add_u32_e32 v154, 4, v154
	s_waitcnt lgkmcnt(0)
	v_dot4_i32_i8 v63, v61, v159, 0
	v_dot4_i32_i8 v65, v62, v163, v63
	v_add_u32_e32 v63, 0x6188, v149
	ds_read2_b32 v[63:64], v63 offset1:1
	s_waitcnt lgkmcnt(0)
	v_dot4_i32_i8 v65, v63, v160, v65
	v_dot4_i32_i8 v67, v64, v164, v65
	v_add_u32_e32 v65, 0x6190, v149
	ds_read2_b32 v[65:66], v65 offset1:1
	;; [unrolled: 5-line block ×3, first 2 shown]
	v_add_u32_e32 v149, 32, v149
	s_waitcnt lgkmcnt(0)
	v_dot4_i32_i8 v159, v67, v162, v159
	v_dot4_i32_i8 v172, v68, v166, v159
	ds_read_b128 v[159:162], v148 offset:1024
	ds_read_b128 v[163:166], v148 offset:1040
	s_waitcnt lgkmcnt(1)
	v_dot4_i32_i8 v169, v45, v159, 0
	s_waitcnt lgkmcnt(0)
	v_dot4_i32_i8 v169, v46, v163, v169
	v_dot4_i32_i8 v169, v47, v160, v169
	;; [unrolled: 1-line block ×7, first 2 shown]
	v_cvt_f32_i32_e32 v169, v169
	v_dot4_i32_i8 v173, v37, v159, 0
	v_dot4_i32_i8 v173, v38, v163, v173
	;; [unrolled: 1-line block ×3, first 2 shown]
	v_fma_f32 v32, v174, v169, v32
	v_dot4_i32_i8 v169, v53, v159, 0
	v_dot4_i32_i8 v159, v61, v159, 0
	;; [unrolled: 1-line block ×17, first 2 shown]
	v_cvt_f32_i32_e32 v173, v173
	v_dot4_i32_i8 v169, v58, v165, v169
	v_dot4_i32_i8 v159, v68, v166, v159
	;; [unrolled: 1-line block ×3, first 2 shown]
	v_cvt_f32_i32_e32 v162, v172
	v_cvt_f32_i32_e32 v159, v159
	v_dot4_i32_i8 v169, v60, v166, v169
	v_fma_f32 v3, v175, v173, v3
	v_mul_f32_e32 v173, v156, v167
	v_cvt_f32_i32_e32 v169, v169
	v_mul_f32_e32 v160, v158, v167
	v_mul_f32_e32 v161, v158, v168
	v_fmac_f32_e32 v31, v173, v170
	v_mul_f32_e32 v170, v157, v167
	v_mul_f32_e32 v173, v157, v168
	v_fma_f32 v36, v161, v159, v36
	v_fmac_f32_e32 v35, v160, v162
	ds_read_b128 v[159:162], v148 offset:2048
	ds_read_b128 v[163:166], v148 offset:2064
	ds_read2_b32 v[167:168], v150 offset0:64 offset1:96
	v_fma_f32 v34, v173, v169, v34
	v_fmac_f32_e32 v33, v170, v171
	s_waitcnt lgkmcnt(2)
	v_dot4_i32_i8 v169, v37, v159, 0
	s_waitcnt lgkmcnt(1)
	v_dot4_i32_i8 v169, v38, v163, v169
	v_dot4_i32_i8 v170, v45, v159, 0
	;; [unrolled: 1-line block ×31, first 2 shown]
	ds_read_b128 v[159:162], v148 offset:3072
	ds_read_b128 v[163:166], v148 offset:3088
	v_cvt_f32_i32_e32 v169, v169
	s_waitcnt lgkmcnt(2)
	v_mul_f32_e32 v174, v155, v167
	v_cvt_f32_i32_e32 v170, v170
	s_waitcnt lgkmcnt(1)
	v_dot4_i32_i8 v173, v37, v159, 0
	v_fmac_f32_e32 v21, v174, v169
	v_dot4_i32_i8 v169, v45, v159, 0
	s_waitcnt lgkmcnt(0)
	v_dot4_i32_i8 v169, v46, v163, v169
	v_dot4_i32_i8 v169, v47, v160, v169
	;; [unrolled: 1-line block ×7, first 2 shown]
	v_cvt_f32_i32_e32 v169, v169
	v_mul_f32_e32 v174, v156, v168
	v_dot4_i32_i8 v173, v38, v163, v173
	v_dot4_i32_i8 v173, v39, v160, v173
	v_fma_f32 v26, v174, v169, v26
	v_dot4_i32_i8 v169, v53, v159, 0
	v_dot4_i32_i8 v159, v61, v159, 0
	;; [unrolled: 1-line block ×17, first 2 shown]
	v_cvt_f32_i32_e32 v173, v173
	v_dot4_i32_i8 v169, v58, v165, v169
	v_dot4_i32_i8 v159, v68, v166, v159
	;; [unrolled: 1-line block ×3, first 2 shown]
	v_cvt_f32_i32_e32 v162, v172
	v_cvt_f32_i32_e32 v159, v159
	v_mul_f32_e32 v175, v155, v168
	v_dot4_i32_i8 v169, v60, v166, v169
	v_fma_f32 v22, v175, v173, v22
	v_mul_f32_e32 v173, v156, v167
	v_cvt_f32_i32_e32 v169, v169
	v_mul_f32_e32 v160, v158, v167
	v_mul_f32_e32 v161, v158, v168
	v_fmac_f32_e32 v25, v173, v170
	v_mul_f32_e32 v170, v157, v167
	v_mul_f32_e32 v173, v157, v168
	v_cvt_f32_i32_e32 v171, v171
	v_fma_f32 v30, v161, v159, v30
	v_fmac_f32_e32 v29, v160, v162
	ds_read_b128 v[159:162], v148 offset:4096
	ds_read_b128 v[163:166], v148 offset:4112
	ds_read2_b32 v[167:168], v150 offset0:128 offset1:160
	v_fma_f32 v28, v173, v169, v28
	v_fmac_f32_e32 v27, v170, v171
	s_waitcnt lgkmcnt(2)
	v_dot4_i32_i8 v169, v37, v159, 0
	s_waitcnt lgkmcnt(1)
	v_dot4_i32_i8 v169, v38, v163, v169
	v_dot4_i32_i8 v170, v45, v159, 0
	;; [unrolled: 1-line block ×31, first 2 shown]
	ds_read_b128 v[159:162], v148 offset:5120
	ds_read_b128 v[163:166], v148 offset:5136
	v_cvt_f32_i32_e32 v169, v169
	s_waitcnt lgkmcnt(2)
	v_mul_f32_e32 v174, v155, v167
	v_cvt_f32_i32_e32 v170, v170
	s_waitcnt lgkmcnt(1)
	v_dot4_i32_i8 v173, v37, v159, 0
	v_fmac_f32_e32 v13, v174, v169
	v_dot4_i32_i8 v169, v45, v159, 0
	s_waitcnt lgkmcnt(0)
	v_dot4_i32_i8 v169, v46, v163, v169
	v_dot4_i32_i8 v169, v47, v160, v169
	;; [unrolled: 1-line block ×7, first 2 shown]
	v_cvt_f32_i32_e32 v169, v169
	v_mul_f32_e32 v174, v156, v168
	v_dot4_i32_i8 v173, v38, v163, v173
	v_dot4_i32_i8 v173, v39, v160, v173
	v_fma_f32 v18, v174, v169, v18
	v_dot4_i32_i8 v169, v53, v159, 0
	v_dot4_i32_i8 v159, v61, v159, 0
	;; [unrolled: 1-line block ×17, first 2 shown]
	v_cvt_f32_i32_e32 v173, v173
	v_dot4_i32_i8 v169, v58, v165, v169
	v_dot4_i32_i8 v159, v68, v166, v159
	;; [unrolled: 1-line block ×3, first 2 shown]
	v_cvt_f32_i32_e32 v162, v172
	v_cvt_f32_i32_e32 v159, v159
	v_mul_f32_e32 v175, v155, v168
	v_dot4_i32_i8 v169, v60, v166, v169
	v_fma_f32 v14, v175, v173, v14
	v_mul_f32_e32 v173, v156, v167
	v_cvt_f32_i32_e32 v171, v171
	v_cvt_f32_i32_e32 v169, v169
	v_mul_f32_e32 v160, v158, v167
	v_mul_f32_e32 v161, v158, v168
	v_fmac_f32_e32 v17, v173, v170
	v_mul_f32_e32 v170, v157, v167
	v_mul_f32_e32 v173, v157, v168
	v_fma_f32 v24, v161, v159, v24
	v_fmac_f32_e32 v23, v160, v162
	ds_read_b128 v[159:162], v148 offset:6144
	ds_read_b128 v[163:166], v148 offset:6160
	ds_read2_b32 v[167:168], v150 offset0:192 offset1:224
	v_fma_f32 v20, v173, v169, v20
	v_fmac_f32_e32 v19, v170, v171
	s_waitcnt lgkmcnt(2)
	v_dot4_i32_i8 v169, v37, v159, 0
	v_dot4_i32_i8 v170, v45, v159, 0
	v_dot4_i32_i8 v171, v53, v159, 0
	v_dot4_i32_i8 v159, v61, v159, 0
	s_waitcnt lgkmcnt(1)
	v_dot4_i32_i8 v169, v38, v163, v169
	v_dot4_i32_i8 v170, v46, v163, v170
	;; [unrolled: 1-line block ×28, first 2 shown]
	ds_read_b128 v[159:162], v148 offset:7168
	ds_read_b128 v[163:166], v148 offset:7184
	v_add_u32_e32 v150, 4, v150
	v_add_u32_e32 v148, 32, v148
	s_waitcnt lgkmcnt(1)
	v_dot4_i32_i8 v37, v37, v159, 0
	s_waitcnt lgkmcnt(0)
	v_dot4_i32_i8 v37, v38, v163, v37
	v_dot4_i32_i8 v37, v39, v160, v37
	;; [unrolled: 1-line block ×7, first 2 shown]
	v_cvt_f32_i32_e32 v37, v37
	v_mul_f32_e32 v39, v155, v168
	v_cvt_f32_i32_e32 v40, v169
	v_mul_f32_e32 v38, v155, v167
	v_fma_f32 v8, v39, v37, v8
	v_dot4_i32_i8 v37, v45, v159, 0
	v_dot4_i32_i8 v37, v46, v163, v37
	;; [unrolled: 1-line block ×8, first 2 shown]
	v_cvt_f32_i32_e32 v37, v37
	v_mul_f32_e32 v39, v156, v168
	v_fmac_f32_e32 v7, v38, v40
	v_cvt_f32_i32_e32 v40, v170
	v_fma_f32 v10, v39, v37, v10
	v_dot4_i32_i8 v37, v53, v159, 0
	v_dot4_i32_i8 v37, v54, v163, v37
	;; [unrolled: 1-line block ×8, first 2 shown]
	v_cvt_f32_i32_e32 v37, v37
	v_mul_f32_e32 v39, v157, v168
	v_mul_f32_e32 v38, v156, v167
	v_fmac_f32_e32 v9, v38, v40
	v_fma_f32 v12, v39, v37, v12
	v_dot4_i32_i8 v37, v61, v159, 0
	v_dot4_i32_i8 v37, v62, v163, v37
	;; [unrolled: 1-line block ×4, first 2 shown]
	v_cvt_f32_i32_e32 v40, v171
	v_dot4_i32_i8 v37, v65, v161, v37
	v_dot4_i32_i8 v37, v66, v165, v37
	;; [unrolled: 1-line block ×3, first 2 shown]
	v_mul_f32_e32 v38, v157, v167
	v_dot4_i32_i8 v37, v68, v166, v37
	v_fmac_f32_e32 v11, v38, v40
	v_cvt_f32_i32_e32 v40, v172
	v_cvt_f32_i32_e32 v37, v37
	v_mul_f32_e32 v38, v158, v167
	v_mul_f32_e32 v39, v158, v168
	v_fmac_f32_e32 v15, v38, v40
	v_fma_f32 v16, v39, v37, v16
	s_cbranch_scc1 .LBB141_8
; %bb.9:                                ;   in Loop: Header=BB141_6 Depth=1
	s_and_b32 s0, s9, -4
	s_cmp_eq_u32 s0, 4
	s_barrier
	s_cbranch_scc1 .LBB141_5
; %bb.10:                               ;   in Loop: Header=BB141_6 Depth=1
	v_add_u32_e32 v53, s14, v122
	v_add_u32_e32 v51, 4, v146
	;; [unrolled: 1-line block ×3, first 2 shown]
	v_mad_u64_u32 v[51:52], s[0:1], v51, 36, s[2:3]
	v_mad_i64_i32 v[37:38], s[0:1], v37, 36, v[5:6]
	v_add_u32_e32 v39, v53, v114
	v_mad_i64_i32 v[39:40], s[0:1], v39, 36, v[5:6]
	v_add_u32_e32 v41, v53, v115
	v_add_u32_e32 v43, v53, v116
	v_mad_i64_i32 v[41:42], s[0:1], v41, 36, v[5:6]
	v_mad_i64_i32 v[43:44], s[0:1], v43, 36, v[5:6]
	v_add_u32_e32 v45, v53, v117
	v_add_u32_e32 v47, v53, v118
	v_add_u32_e32 v49, v53, v119
	v_add_u32_e32 v53, v53, v120
	v_mad_i64_i32 v[45:46], s[0:1], v45, 36, v[5:6]
	v_mad_i64_i32 v[47:48], s[0:1], v47, 36, v[5:6]
	;; [unrolled: 1-line block ×4, first 2 shown]
	global_load_dword v51, v[51:52], off
	s_nop 0
	global_load_dword v37, v[37:38], off offset:4
	s_nop 0
	global_load_dword v38, v[39:40], off offset:4
	;; [unrolled: 2-line block ×3, first 2 shown]
	global_load_dword v40, v[43:44], off offset:4
	s_nop 0
	global_load_dword v41, v[45:46], off offset:4
	global_load_dword v42, v[47:48], off offset:4
	;; [unrolled: 1-line block ×4, first 2 shown]
	s_mov_b32 s0, 12
	v_mov_b32_e32 v146, v127
	v_mov_b32_e32 v148, v128
	;; [unrolled: 1-line block ×6, first 2 shown]
	s_waitcnt vmcnt(8)
	v_cvt_f32_f16_e32 v45, v51
	s_waitcnt vmcnt(7)
	ds_write_b32 v147, v37
	s_waitcnt vmcnt(6)
	ds_write_b32 v139, v38
	;; [unrolled: 2-line block ×8, first 2 shown]
	ds_write_b32 v111, v45
	v_mov_b32_e32 v147, v129
	s_waitcnt lgkmcnt(0)
	s_barrier
.LBB141_11:                             ;   Parent Loop BB141_6 Depth=1
                                        ; =>  This Inner Loop Header: Depth=2
	ds_read_b128 v[157:160], v148
	ds_read_b128 v[161:164], v148 offset:16
	ds_read2_b32 v[165:166], v146 offset1:32
	ds_read_b32 v153, v150
	ds_read2_b32 v[37:38], v149 offset1:1
	s_add_i32 s0, s0, 4
	v_add_u32_e32 v150, 4, v150
	s_cmp_lt_u32 s0, 28
	s_waitcnt lgkmcnt(1)
	v_mul_f32_e32 v172, v153, v165
	s_waitcnt lgkmcnt(0)
	v_dot4_i32_i8 v39, v37, v157, 0
	v_dot4_i32_i8 v41, v38, v161, v39
	ds_read2_b32 v[39:40], v149 offset0:2 offset1:3
	v_mul_f32_e32 v173, v153, v166
	s_waitcnt lgkmcnt(0)
	v_dot4_i32_i8 v41, v39, v158, v41
	v_dot4_i32_i8 v43, v40, v162, v41
	ds_read2_b32 v[41:42], v149 offset0:4 offset1:5
	s_waitcnt lgkmcnt(0)
	v_dot4_i32_i8 v43, v41, v159, v43
	v_dot4_i32_i8 v45, v42, v163, v43
	ds_read2_b32 v[43:44], v149 offset0:6 offset1:7
	s_waitcnt lgkmcnt(0)
	v_dot4_i32_i8 v45, v43, v160, v45
	v_dot4_i32_i8 v167, v44, v164, v45
	v_add_u32_e32 v45, 0x2080, v149
	ds_read_b32 v154, v151
	ds_read2_b32 v[45:46], v45 offset1:1
	v_cvt_f32_i32_e32 v167, v167
	v_add_u32_e32 v151, 4, v151
	s_waitcnt lgkmcnt(0)
	v_dot4_i32_i8 v47, v45, v157, 0
	v_dot4_i32_i8 v49, v46, v161, v47
	v_add_u32_e32 v47, 0x2088, v149
	ds_read2_b32 v[47:48], v47 offset1:1
	v_fmac_f32_e32 v2, v172, v167
	v_mul_f32_e32 v172, v154, v166
	s_waitcnt lgkmcnt(0)
	v_dot4_i32_i8 v49, v47, v158, v49
	v_dot4_i32_i8 v51, v48, v162, v49
	v_add_u32_e32 v49, 0x2090, v149
	ds_read2_b32 v[49:50], v49 offset1:1
	s_waitcnt lgkmcnt(0)
	v_dot4_i32_i8 v51, v49, v159, v51
	v_dot4_i32_i8 v53, v50, v163, v51
	v_add_u32_e32 v51, 0x2098, v149
	ds_read2_b32 v[51:52], v51 offset1:1
	s_waitcnt lgkmcnt(0)
	v_dot4_i32_i8 v53, v51, v160, v53
	v_dot4_i32_i8 v168, v52, v164, v53
	v_add_u32_e32 v53, 0x4100, v149
	ds_read_b32 v155, v152
	ds_read2_b32 v[53:54], v53 offset1:1
	v_cvt_f32_i32_e32 v168, v168
	v_add_u32_e32 v152, 4, v152
	s_waitcnt lgkmcnt(0)
	v_dot4_i32_i8 v55, v53, v157, 0
	v_dot4_i32_i8 v57, v54, v161, v55
	v_add_u32_e32 v55, 0x4108, v149
	ds_read2_b32 v[55:56], v55 offset1:1
	s_waitcnt lgkmcnt(0)
	v_dot4_i32_i8 v57, v55, v158, v57
	v_dot4_i32_i8 v59, v56, v162, v57
	v_add_u32_e32 v57, 0x4110, v149
	ds_read2_b32 v[57:58], v57 offset1:1
	;; [unrolled: 5-line block ×3, first 2 shown]
	s_waitcnt lgkmcnt(0)
	v_dot4_i32_i8 v61, v59, v160, v61
	v_dot4_i32_i8 v169, v60, v164, v61
	v_add_u32_e32 v61, 0x6180, v149
	ds_read_b32 v156, v147
	ds_read2_b32 v[61:62], v61 offset1:1
	v_cvt_f32_i32_e32 v169, v169
	v_add_u32_e32 v147, 4, v147
	s_waitcnt lgkmcnt(0)
	v_dot4_i32_i8 v63, v61, v157, 0
	v_dot4_i32_i8 v65, v62, v161, v63
	v_add_u32_e32 v63, 0x6188, v149
	ds_read2_b32 v[63:64], v63 offset1:1
	s_waitcnt lgkmcnt(0)
	v_dot4_i32_i8 v65, v63, v158, v65
	v_dot4_i32_i8 v67, v64, v162, v65
	v_add_u32_e32 v65, 0x6190, v149
	ds_read2_b32 v[65:66], v65 offset1:1
	;; [unrolled: 5-line block ×3, first 2 shown]
	v_add_u32_e32 v149, 32, v149
	s_waitcnt lgkmcnt(0)
	v_dot4_i32_i8 v157, v67, v160, v157
	v_dot4_i32_i8 v170, v68, v164, v157
	ds_read_b128 v[157:160], v148 offset:1024
	ds_read_b128 v[161:164], v148 offset:1040
	s_waitcnt lgkmcnt(1)
	v_dot4_i32_i8 v167, v45, v157, 0
	s_waitcnt lgkmcnt(0)
	v_dot4_i32_i8 v167, v46, v161, v167
	v_dot4_i32_i8 v167, v47, v158, v167
	;; [unrolled: 1-line block ×7, first 2 shown]
	v_cvt_f32_i32_e32 v167, v167
	v_dot4_i32_i8 v171, v37, v157, 0
	v_dot4_i32_i8 v171, v38, v161, v171
	;; [unrolled: 1-line block ×3, first 2 shown]
	v_fma_f32 v32, v172, v167, v32
	v_dot4_i32_i8 v167, v53, v157, 0
	v_dot4_i32_i8 v157, v61, v157, 0
	;; [unrolled: 1-line block ×17, first 2 shown]
	v_cvt_f32_i32_e32 v171, v171
	v_dot4_i32_i8 v167, v58, v163, v167
	v_dot4_i32_i8 v157, v68, v164, v157
	;; [unrolled: 1-line block ×3, first 2 shown]
	v_cvt_f32_i32_e32 v160, v170
	v_cvt_f32_i32_e32 v157, v157
	v_dot4_i32_i8 v167, v60, v164, v167
	v_fma_f32 v3, v173, v171, v3
	v_mul_f32_e32 v171, v154, v165
	v_cvt_f32_i32_e32 v167, v167
	v_mul_f32_e32 v158, v156, v165
	v_mul_f32_e32 v159, v156, v166
	v_fmac_f32_e32 v31, v171, v168
	v_mul_f32_e32 v168, v155, v165
	v_mul_f32_e32 v171, v155, v166
	v_fma_f32 v36, v159, v157, v36
	v_fmac_f32_e32 v35, v158, v160
	ds_read_b128 v[157:160], v148 offset:2048
	ds_read_b128 v[161:164], v148 offset:2064
	ds_read2_b32 v[165:166], v146 offset0:64 offset1:96
	v_fma_f32 v34, v171, v167, v34
	v_fmac_f32_e32 v33, v168, v169
	s_waitcnt lgkmcnt(2)
	v_dot4_i32_i8 v167, v37, v157, 0
	s_waitcnt lgkmcnt(1)
	v_dot4_i32_i8 v167, v38, v161, v167
	v_dot4_i32_i8 v168, v45, v157, 0
	;; [unrolled: 1-line block ×31, first 2 shown]
	ds_read_b128 v[157:160], v148 offset:3072
	ds_read_b128 v[161:164], v148 offset:3088
	v_cvt_f32_i32_e32 v167, v167
	s_waitcnt lgkmcnt(2)
	v_mul_f32_e32 v172, v153, v165
	v_cvt_f32_i32_e32 v168, v168
	s_waitcnt lgkmcnt(1)
	v_dot4_i32_i8 v171, v37, v157, 0
	v_fmac_f32_e32 v21, v172, v167
	v_dot4_i32_i8 v167, v45, v157, 0
	s_waitcnt lgkmcnt(0)
	v_dot4_i32_i8 v167, v46, v161, v167
	v_dot4_i32_i8 v167, v47, v158, v167
	;; [unrolled: 1-line block ×7, first 2 shown]
	v_cvt_f32_i32_e32 v167, v167
	v_mul_f32_e32 v172, v154, v166
	v_dot4_i32_i8 v171, v38, v161, v171
	v_dot4_i32_i8 v171, v39, v158, v171
	v_fma_f32 v26, v172, v167, v26
	v_dot4_i32_i8 v167, v53, v157, 0
	v_dot4_i32_i8 v157, v61, v157, 0
	v_dot4_i32_i8 v157, v62, v161, v157
	v_dot4_i32_i8 v171, v40, v162, v171
	v_dot4_i32_i8 v157, v63, v158, v157
	v_dot4_i32_i8 v171, v41, v159, v171
	v_dot4_i32_i8 v167, v54, v161, v167
	v_dot4_i32_i8 v157, v64, v162, v157
	v_dot4_i32_i8 v171, v42, v163, v171
	v_dot4_i32_i8 v167, v55, v158, v167
	v_dot4_i32_i8 v157, v65, v159, v157
	v_dot4_i32_i8 v171, v43, v160, v171
	v_dot4_i32_i8 v167, v56, v162, v167
	v_dot4_i32_i8 v157, v66, v163, v157
	v_dot4_i32_i8 v171, v44, v164, v171
	v_dot4_i32_i8 v167, v57, v159, v167
	v_dot4_i32_i8 v157, v67, v160, v157
	v_cvt_f32_i32_e32 v171, v171
	v_dot4_i32_i8 v167, v58, v163, v167
	v_dot4_i32_i8 v157, v68, v164, v157
	;; [unrolled: 1-line block ×3, first 2 shown]
	v_cvt_f32_i32_e32 v160, v170
	v_cvt_f32_i32_e32 v157, v157
	v_mul_f32_e32 v173, v153, v166
	v_dot4_i32_i8 v167, v60, v164, v167
	v_fma_f32 v22, v173, v171, v22
	v_mul_f32_e32 v171, v154, v165
	v_cvt_f32_i32_e32 v167, v167
	v_mul_f32_e32 v158, v156, v165
	v_mul_f32_e32 v159, v156, v166
	v_fmac_f32_e32 v25, v171, v168
	v_mul_f32_e32 v168, v155, v165
	v_mul_f32_e32 v171, v155, v166
	v_cvt_f32_i32_e32 v169, v169
	v_fma_f32 v30, v159, v157, v30
	v_fmac_f32_e32 v29, v158, v160
	ds_read_b128 v[157:160], v148 offset:4096
	ds_read_b128 v[161:164], v148 offset:4112
	ds_read2_b32 v[165:166], v146 offset0:128 offset1:160
	v_fma_f32 v28, v171, v167, v28
	v_fmac_f32_e32 v27, v168, v169
	s_waitcnt lgkmcnt(2)
	v_dot4_i32_i8 v167, v37, v157, 0
	s_waitcnt lgkmcnt(1)
	v_dot4_i32_i8 v167, v38, v161, v167
	v_dot4_i32_i8 v168, v45, v157, 0
	;; [unrolled: 1-line block ×31, first 2 shown]
	ds_read_b128 v[157:160], v148 offset:5120
	ds_read_b128 v[161:164], v148 offset:5136
	v_cvt_f32_i32_e32 v167, v167
	s_waitcnt lgkmcnt(2)
	v_mul_f32_e32 v172, v153, v165
	v_cvt_f32_i32_e32 v168, v168
	s_waitcnt lgkmcnt(1)
	v_dot4_i32_i8 v171, v37, v157, 0
	v_fmac_f32_e32 v13, v172, v167
	v_dot4_i32_i8 v167, v45, v157, 0
	s_waitcnt lgkmcnt(0)
	v_dot4_i32_i8 v167, v46, v161, v167
	v_dot4_i32_i8 v167, v47, v158, v167
	v_dot4_i32_i8 v167, v48, v162, v167
	v_dot4_i32_i8 v167, v49, v159, v167
	v_dot4_i32_i8 v167, v50, v163, v167
	v_dot4_i32_i8 v167, v51, v160, v167
	v_dot4_i32_i8 v167, v52, v164, v167
	v_cvt_f32_i32_e32 v167, v167
	v_mul_f32_e32 v172, v154, v166
	v_dot4_i32_i8 v171, v38, v161, v171
	v_dot4_i32_i8 v171, v39, v158, v171
	v_fma_f32 v18, v172, v167, v18
	v_dot4_i32_i8 v167, v53, v157, 0
	v_dot4_i32_i8 v157, v61, v157, 0
	;; [unrolled: 1-line block ×17, first 2 shown]
	v_cvt_f32_i32_e32 v171, v171
	v_dot4_i32_i8 v167, v58, v163, v167
	v_dot4_i32_i8 v157, v68, v164, v157
	;; [unrolled: 1-line block ×3, first 2 shown]
	v_cvt_f32_i32_e32 v160, v170
	v_cvt_f32_i32_e32 v157, v157
	v_mul_f32_e32 v173, v153, v166
	v_dot4_i32_i8 v167, v60, v164, v167
	v_fma_f32 v14, v173, v171, v14
	v_mul_f32_e32 v171, v154, v165
	v_cvt_f32_i32_e32 v169, v169
	v_cvt_f32_i32_e32 v167, v167
	v_mul_f32_e32 v158, v156, v165
	v_mul_f32_e32 v159, v156, v166
	v_fmac_f32_e32 v17, v171, v168
	v_mul_f32_e32 v168, v155, v165
	v_mul_f32_e32 v171, v155, v166
	v_fma_f32 v24, v159, v157, v24
	v_fmac_f32_e32 v23, v158, v160
	ds_read_b128 v[157:160], v148 offset:6144
	ds_read_b128 v[161:164], v148 offset:6160
	ds_read2_b32 v[165:166], v146 offset0:192 offset1:224
	v_fma_f32 v20, v171, v167, v20
	v_fmac_f32_e32 v19, v168, v169
	s_waitcnt lgkmcnt(2)
	v_dot4_i32_i8 v167, v37, v157, 0
	v_dot4_i32_i8 v168, v45, v157, 0
	;; [unrolled: 1-line block ×4, first 2 shown]
	s_waitcnt lgkmcnt(1)
	v_dot4_i32_i8 v167, v38, v161, v167
	v_dot4_i32_i8 v168, v46, v161, v168
	;; [unrolled: 1-line block ×28, first 2 shown]
	ds_read_b128 v[157:160], v148 offset:7168
	ds_read_b128 v[161:164], v148 offset:7184
	v_add_u32_e32 v148, 32, v148
	v_add_u32_e32 v146, 4, v146
	s_waitcnt lgkmcnt(1)
	v_dot4_i32_i8 v37, v37, v157, 0
	s_waitcnt lgkmcnt(0)
	v_dot4_i32_i8 v37, v38, v161, v37
	v_dot4_i32_i8 v37, v39, v158, v37
	v_dot4_i32_i8 v37, v40, v162, v37
	v_dot4_i32_i8 v37, v41, v159, v37
	v_dot4_i32_i8 v37, v42, v163, v37
	v_dot4_i32_i8 v37, v43, v160, v37
	v_dot4_i32_i8 v37, v44, v164, v37
	v_cvt_f32_i32_e32 v37, v37
	v_mul_f32_e32 v39, v153, v166
	v_cvt_f32_i32_e32 v40, v167
	v_mul_f32_e32 v38, v153, v165
	v_fma_f32 v8, v39, v37, v8
	v_dot4_i32_i8 v37, v45, v157, 0
	v_dot4_i32_i8 v37, v46, v161, v37
	;; [unrolled: 1-line block ×8, first 2 shown]
	v_cvt_f32_i32_e32 v37, v37
	v_mul_f32_e32 v39, v154, v166
	v_fmac_f32_e32 v7, v38, v40
	v_cvt_f32_i32_e32 v40, v168
	v_fma_f32 v10, v39, v37, v10
	v_dot4_i32_i8 v37, v53, v157, 0
	v_dot4_i32_i8 v37, v54, v161, v37
	;; [unrolled: 1-line block ×8, first 2 shown]
	v_cvt_f32_i32_e32 v37, v37
	v_mul_f32_e32 v39, v155, v166
	v_mul_f32_e32 v38, v154, v165
	v_fmac_f32_e32 v9, v38, v40
	v_fma_f32 v12, v39, v37, v12
	v_dot4_i32_i8 v37, v61, v157, 0
	v_dot4_i32_i8 v37, v62, v161, v37
	;; [unrolled: 1-line block ×4, first 2 shown]
	v_cvt_f32_i32_e32 v40, v169
	v_dot4_i32_i8 v37, v65, v159, v37
	v_dot4_i32_i8 v37, v66, v163, v37
	v_dot4_i32_i8 v37, v67, v160, v37
	v_mul_f32_e32 v38, v155, v165
	v_dot4_i32_i8 v37, v68, v164, v37
	v_fmac_f32_e32 v11, v38, v40
	v_cvt_f32_i32_e32 v40, v170
	v_cvt_f32_i32_e32 v37, v37
	v_mul_f32_e32 v38, v156, v165
	v_mul_f32_e32 v39, v156, v166
	v_fmac_f32_e32 v15, v38, v40
	v_fma_f32 v16, v39, v37, v16
	s_cbranch_scc1 .LBB141_11
; %bb.12:                               ;   in Loop: Header=BB141_6 Depth=1
	s_barrier
	s_branch .LBB141_5
.LBB141_13:
	v_cvt_f16_f32_e32 v43, v2
	v_cvt_f16_f32_e32 v42, v31
	;; [unrolled: 1-line block ×32, first 2 shown]
	v_mov_b32_e32 v8, v69
.LBB141_14:
	v_cmp_gt_u32_e32 vcc, s8, v8
	s_and_saveexec_b64 s[0:1], vcc
	s_cbranch_execz .LBB141_65
; %bb.15:
	v_mul_lo_u32 v12, v8, s10
	v_add_u32_e32 v0, s6, v0
	v_cmp_gt_u32_e32 vcc, s10, v0
	s_and_saveexec_b64 s[2:3], vcc
	s_cbranch_execz .LBB141_17
; %bb.16:
	v_add_u32_e32 v10, v0, v12
	v_mov_b32_e32 v11, 0
	v_lshlrev_b64 v[10:11], 1, v[10:11]
	s_waitcnt lgkmcnt(0)
	v_mov_b32_e32 v8, s13
	v_add_co_u32_e64 v10, s[0:1], s12, v10
	v_addc_co_u32_e64 v11, s[0:1], v8, v11, s[0:1]
	global_store_short v[10:11], v43, off
.LBB141_17:
	s_or_b64 exec, exec, s[2:3]
	v_add_u32_e32 v8, 32, v0
	v_cmp_gt_u32_e64 s[0:1], s10, v8
	s_and_saveexec_b64 s[4:5], s[0:1]
	s_cbranch_execz .LBB141_19
; %bb.18:
	v_add_u32_e32 v10, v8, v12
	v_mov_b32_e32 v11, 0
	v_lshlrev_b64 v[10:11], 1, v[10:11]
	s_waitcnt lgkmcnt(0)
	v_mov_b32_e32 v15, s13
	v_add_co_u32_e64 v10, s[2:3], s12, v10
	v_addc_co_u32_e64 v11, s[2:3], v15, v11, s[2:3]
	global_store_short v[10:11], v42, off
.LBB141_19:
	s_or_b64 exec, exec, s[4:5]
	v_add_u32_e32 v10, 64, v0
	v_cmp_gt_u32_e64 s[2:3], s10, v10
	s_and_saveexec_b64 s[6:7], s[2:3]
	;; [unrolled: 15-line block ×3, first 2 shown]
	s_cbranch_execz .LBB141_23
; %bb.22:
	v_add_u32_e32 v15, v11, v12
	v_mov_b32_e32 v16, 0
	v_lshlrev_b64 v[15:16], 1, v[15:16]
	s_waitcnt lgkmcnt(0)
	v_mov_b32_e32 v12, s13
	v_add_co_u32_e64 v15, s[6:7], s12, v15
	v_addc_co_u32_e64 v16, s[6:7], v12, v16, s[6:7]
	global_store_short v[15:16], v40, off
.LBB141_23:
	s_or_b64 exec, exec, s[14:15]
	v_add3_u32 v12, v1, s11, 8
	v_cmp_gt_u32_e64 s[6:7], s8, v12
	s_and_b64 exec, exec, s[6:7]
	s_cbranch_execz .LBB141_65
; %bb.24:
	v_mul_lo_u32 v12, v12, s10
	s_and_saveexec_b64 s[14:15], vcc
	s_cbranch_execnz .LBB141_66
; %bb.25:
	s_or_b64 exec, exec, s[14:15]
	s_and_saveexec_b64 s[14:15], s[0:1]
	s_cbranch_execnz .LBB141_67
.LBB141_26:
	s_or_b64 exec, exec, s[14:15]
	s_and_saveexec_b64 s[14:15], s[2:3]
	s_cbranch_execnz .LBB141_68
.LBB141_27:
	s_or_b64 exec, exec, s[14:15]
	s_and_saveexec_b64 s[14:15], s[4:5]
	s_cbranch_execz .LBB141_29
.LBB141_28:
	v_add_u32_e32 v15, v12, v11
	v_mov_b32_e32 v16, 0
	v_lshlrev_b64 v[15:16], 1, v[15:16]
	s_waitcnt lgkmcnt(0)
	v_mov_b32_e32 v12, s13
	v_add_co_u32_e64 v15, s[6:7], s12, v15
	v_addc_co_u32_e64 v16, s[6:7], v12, v16, s[6:7]
	global_store_short v[15:16], v36, off
.LBB141_29:
	s_or_b64 exec, exec, s[14:15]
	v_add3_u32 v12, v1, s11, 16
	v_cmp_gt_u32_e64 s[6:7], s8, v12
	s_and_b64 exec, exec, s[6:7]
	s_cbranch_execz .LBB141_65
; %bb.30:
	v_mul_lo_u32 v12, v12, s10
	s_and_saveexec_b64 s[14:15], vcc
	s_cbranch_execnz .LBB141_69
; %bb.31:
	s_or_b64 exec, exec, s[14:15]
	s_and_saveexec_b64 s[14:15], s[0:1]
	s_cbranch_execnz .LBB141_70
.LBB141_32:
	s_or_b64 exec, exec, s[14:15]
	s_and_saveexec_b64 s[14:15], s[2:3]
	s_cbranch_execnz .LBB141_71
.LBB141_33:
	s_or_b64 exec, exec, s[14:15]
	s_and_saveexec_b64 s[14:15], s[4:5]
	s_cbranch_execz .LBB141_35
.LBB141_34:
	v_add_u32_e32 v15, v12, v11
	v_mov_b32_e32 v16, 0
	v_lshlrev_b64 v[15:16], 1, v[15:16]
	s_waitcnt lgkmcnt(0)
	v_mov_b32_e32 v12, s13
	v_add_co_u32_e64 v15, s[6:7], s12, v15
	v_addc_co_u32_e64 v16, s[6:7], v12, v16, s[6:7]
	global_store_short v[15:16], v32, off
.LBB141_35:
	s_or_b64 exec, exec, s[14:15]
	v_add3_u32 v12, v1, s11, 24
	v_cmp_gt_u32_e64 s[6:7], s8, v12
	s_and_b64 exec, exec, s[6:7]
	s_cbranch_execz .LBB141_65
; %bb.36:
	v_mul_lo_u32 v12, v12, s10
	s_and_saveexec_b64 s[14:15], vcc
	s_cbranch_execnz .LBB141_72
; %bb.37:
	s_or_b64 exec, exec, s[14:15]
	s_and_saveexec_b64 s[14:15], s[0:1]
	s_cbranch_execnz .LBB141_73
.LBB141_38:
	s_or_b64 exec, exec, s[14:15]
	s_and_saveexec_b64 s[14:15], s[2:3]
	s_cbranch_execnz .LBB141_74
.LBB141_39:
	s_or_b64 exec, exec, s[14:15]
	s_and_saveexec_b64 s[14:15], s[4:5]
	s_cbranch_execz .LBB141_41
.LBB141_40:
	v_add_u32_e32 v15, v12, v11
	v_mov_b32_e32 v16, 0
	v_lshlrev_b64 v[15:16], 1, v[15:16]
	s_waitcnt lgkmcnt(0)
	v_mov_b32_e32 v12, s13
	v_add_co_u32_e64 v15, s[6:7], s12, v15
	v_addc_co_u32_e64 v16, s[6:7], v12, v16, s[6:7]
	global_store_short v[15:16], v27, off
.LBB141_41:
	s_or_b64 exec, exec, s[14:15]
	v_add3_u32 v12, v1, s11, 32
	v_cmp_gt_u32_e64 s[6:7], s8, v12
	s_and_b64 exec, exec, s[6:7]
	s_cbranch_execz .LBB141_65
; %bb.42:
	v_mul_lo_u32 v12, v12, s10
	s_and_saveexec_b64 s[14:15], vcc
	s_cbranch_execnz .LBB141_75
; %bb.43:
	s_or_b64 exec, exec, s[14:15]
	s_and_saveexec_b64 s[14:15], s[0:1]
	s_cbranch_execnz .LBB141_76
.LBB141_44:
	s_or_b64 exec, exec, s[14:15]
	s_and_saveexec_b64 s[14:15], s[2:3]
	s_cbranch_execnz .LBB141_77
.LBB141_45:
	s_or_b64 exec, exec, s[14:15]
	s_and_saveexec_b64 s[14:15], s[4:5]
	s_cbranch_execz .LBB141_47
.LBB141_46:
	v_add_u32_e32 v15, v12, v11
	v_mov_b32_e32 v16, 0
	v_lshlrev_b64 v[15:16], 1, v[15:16]
	s_waitcnt lgkmcnt(0)
	v_mov_b32_e32 v12, s13
	v_add_co_u32_e64 v15, s[6:7], s12, v15
	v_addc_co_u32_e64 v16, s[6:7], v12, v16, s[6:7]
	global_store_short v[15:16], v21, off
.LBB141_47:
	s_or_b64 exec, exec, s[14:15]
	v_add3_u32 v12, v1, s11, 40
	v_cmp_gt_u32_e64 s[6:7], s8, v12
	s_and_b64 exec, exec, s[6:7]
	s_cbranch_execz .LBB141_65
; %bb.48:
	v_mul_lo_u32 v12, v12, s10
	s_and_saveexec_b64 s[14:15], vcc
	s_cbranch_execnz .LBB141_78
; %bb.49:
	s_or_b64 exec, exec, s[14:15]
	s_and_saveexec_b64 s[14:15], s[0:1]
	s_cbranch_execnz .LBB141_79
.LBB141_50:
	s_or_b64 exec, exec, s[14:15]
	s_and_saveexec_b64 s[14:15], s[2:3]
	s_cbranch_execnz .LBB141_80
.LBB141_51:
	s_or_b64 exec, exec, s[14:15]
	s_and_saveexec_b64 s[14:15], s[4:5]
	s_cbranch_execz .LBB141_53
.LBB141_52:
	v_add_u32_e32 v15, v12, v11
	v_mov_b32_e32 v16, 0
	v_lshlrev_b64 v[15:16], 1, v[15:16]
	s_waitcnt lgkmcnt(0)
	v_mov_b32_e32 v12, s13
	v_add_co_u32_e64 v15, s[6:7], s12, v15
	v_addc_co_u32_e64 v16, s[6:7], v12, v16, s[6:7]
	global_store_short v[15:16], v14, off
.LBB141_53:
	s_or_b64 exec, exec, s[14:15]
	v_add3_u32 v12, v1, s11, 48
	v_cmp_gt_u32_e64 s[6:7], s8, v12
	s_and_b64 exec, exec, s[6:7]
	s_cbranch_execz .LBB141_65
; %bb.54:
	v_mul_lo_u32 v12, v12, s10
	s_and_saveexec_b64 s[14:15], vcc
	s_cbranch_execnz .LBB141_81
; %bb.55:
	s_or_b64 exec, exec, s[14:15]
	s_and_saveexec_b64 s[14:15], s[0:1]
	s_cbranch_execnz .LBB141_82
.LBB141_56:
	s_or_b64 exec, exec, s[14:15]
	s_and_saveexec_b64 s[14:15], s[2:3]
	s_cbranch_execnz .LBB141_83
.LBB141_57:
	s_or_b64 exec, exec, s[14:15]
	s_and_saveexec_b64 s[14:15], s[4:5]
	s_cbranch_execz .LBB141_59
.LBB141_58:
	v_add_u32_e32 v12, v12, v11
	v_mov_b32_e32 v13, 0
	v_lshlrev_b64 v[12:13], 1, v[12:13]
	s_waitcnt lgkmcnt(0)
	v_mov_b32_e32 v7, s13
	v_add_co_u32_e64 v12, s[6:7], s12, v12
	v_addc_co_u32_e64 v13, s[6:7], v7, v13, s[6:7]
	global_store_short v[12:13], v6, off
.LBB141_59:
	s_or_b64 exec, exec, s[14:15]
	v_add3_u32 v1, v1, s11, 56
	v_cmp_gt_u32_e64 s[6:7], s8, v1
	s_and_b64 exec, exec, s[6:7]
	s_cbranch_execz .LBB141_65
; %bb.60:
	v_mul_lo_u32 v1, v1, s10
	s_and_saveexec_b64 s[6:7], vcc
	s_cbranch_execnz .LBB141_84
; %bb.61:
	s_or_b64 exec, exec, s[6:7]
	s_and_saveexec_b64 s[6:7], s[0:1]
	s_cbranch_execnz .LBB141_85
.LBB141_62:
	s_or_b64 exec, exec, s[6:7]
	s_and_saveexec_b64 s[0:1], s[2:3]
	s_cbranch_execnz .LBB141_86
.LBB141_63:
	s_or_b64 exec, exec, s[0:1]
	s_and_b64 exec, exec, s[4:5]
	s_cbranch_execz .LBB141_65
.LBB141_64:
	v_add_u32_e32 v0, v1, v11
	v_mov_b32_e32 v1, 0
	v_lshlrev_b64 v[0:1], 1, v[0:1]
	s_waitcnt lgkmcnt(0)
	v_mov_b32_e32 v3, s13
	v_add_co_u32_e32 v0, vcc, s12, v0
	v_addc_co_u32_e32 v1, vcc, v3, v1, vcc
	global_store_short v[0:1], v2, off
.LBB141_65:
	s_endpgm
.LBB141_66:
	v_add_u32_e32 v15, v12, v0
	v_mov_b32_e32 v16, 0
	v_lshlrev_b64 v[15:16], 1, v[15:16]
	s_waitcnt lgkmcnt(0)
	v_mov_b32_e32 v20, s13
	v_add_co_u32_e64 v15, s[6:7], s12, v15
	v_addc_co_u32_e64 v16, s[6:7], v20, v16, s[6:7]
	global_store_short v[15:16], v39, off
	s_or_b64 exec, exec, s[14:15]
	s_and_saveexec_b64 s[14:15], s[0:1]
	s_cbranch_execz .LBB141_26
.LBB141_67:
	v_add_u32_e32 v15, v12, v8
	v_mov_b32_e32 v16, 0
	v_lshlrev_b64 v[15:16], 1, v[15:16]
	s_waitcnt lgkmcnt(0)
	v_mov_b32_e32 v20, s13
	v_add_co_u32_e64 v15, s[6:7], s12, v15
	v_addc_co_u32_e64 v16, s[6:7], v20, v16, s[6:7]
	global_store_short v[15:16], v38, off
	s_or_b64 exec, exec, s[14:15]
	s_and_saveexec_b64 s[14:15], s[2:3]
	s_cbranch_execz .LBB141_27
.LBB141_68:
	v_add_u32_e32 v15, v12, v10
	v_mov_b32_e32 v16, 0
	v_lshlrev_b64 v[15:16], 1, v[15:16]
	s_waitcnt lgkmcnt(0)
	v_mov_b32_e32 v20, s13
	v_add_co_u32_e64 v15, s[6:7], s12, v15
	v_addc_co_u32_e64 v16, s[6:7], v20, v16, s[6:7]
	global_store_short v[15:16], v37, off
	s_or_b64 exec, exec, s[14:15]
	s_and_saveexec_b64 s[14:15], s[4:5]
	s_cbranch_execnz .LBB141_28
	s_branch .LBB141_29
.LBB141_69:
	v_add_u32_e32 v15, v12, v0
	v_mov_b32_e32 v16, 0
	v_lshlrev_b64 v[15:16], 1, v[15:16]
	s_waitcnt lgkmcnt(0)
	v_mov_b32_e32 v20, s13
	v_add_co_u32_e64 v15, s[6:7], s12, v15
	v_addc_co_u32_e64 v16, s[6:7], v20, v16, s[6:7]
	global_store_short v[15:16], v35, off
	s_or_b64 exec, exec, s[14:15]
	s_and_saveexec_b64 s[14:15], s[0:1]
	s_cbranch_execz .LBB141_32
.LBB141_70:
	v_add_u32_e32 v15, v12, v8
	v_mov_b32_e32 v16, 0
	v_lshlrev_b64 v[15:16], 1, v[15:16]
	s_waitcnt lgkmcnt(0)
	v_mov_b32_e32 v20, s13
	v_add_co_u32_e64 v15, s[6:7], s12, v15
	v_addc_co_u32_e64 v16, s[6:7], v20, v16, s[6:7]
	global_store_short v[15:16], v34, off
	s_or_b64 exec, exec, s[14:15]
	s_and_saveexec_b64 s[14:15], s[2:3]
	s_cbranch_execz .LBB141_33
.LBB141_71:
	v_add_u32_e32 v15, v12, v10
	v_mov_b32_e32 v16, 0
	v_lshlrev_b64 v[15:16], 1, v[15:16]
	s_waitcnt lgkmcnt(0)
	v_mov_b32_e32 v20, s13
	v_add_co_u32_e64 v15, s[6:7], s12, v15
	v_addc_co_u32_e64 v16, s[6:7], v20, v16, s[6:7]
	global_store_short v[15:16], v33, off
	s_or_b64 exec, exec, s[14:15]
	s_and_saveexec_b64 s[14:15], s[4:5]
	s_cbranch_execnz .LBB141_34
	s_branch .LBB141_35
.LBB141_72:
	v_add_u32_e32 v15, v12, v0
	v_mov_b32_e32 v16, 0
	v_lshlrev_b64 v[15:16], 1, v[15:16]
	s_waitcnt lgkmcnt(0)
	v_mov_b32_e32 v20, s13
	v_add_co_u32_e64 v15, s[6:7], s12, v15
	v_addc_co_u32_e64 v16, s[6:7], v20, v16, s[6:7]
	global_store_short v[15:16], v31, off
	s_or_b64 exec, exec, s[14:15]
	s_and_saveexec_b64 s[14:15], s[0:1]
	s_cbranch_execz .LBB141_38
.LBB141_73:
	v_add_u32_e32 v15, v12, v8
	v_mov_b32_e32 v16, 0
	v_lshlrev_b64 v[15:16], 1, v[15:16]
	s_waitcnt lgkmcnt(0)
	v_mov_b32_e32 v20, s13
	v_add_co_u32_e64 v15, s[6:7], s12, v15
	v_addc_co_u32_e64 v16, s[6:7], v20, v16, s[6:7]
	global_store_short v[15:16], v29, off
	s_or_b64 exec, exec, s[14:15]
	s_and_saveexec_b64 s[14:15], s[2:3]
	s_cbranch_execz .LBB141_39
.LBB141_74:
	v_add_u32_e32 v15, v12, v10
	v_mov_b32_e32 v16, 0
	v_lshlrev_b64 v[15:16], 1, v[15:16]
	s_waitcnt lgkmcnt(0)
	v_mov_b32_e32 v20, s13
	v_add_co_u32_e64 v15, s[6:7], s12, v15
	v_addc_co_u32_e64 v16, s[6:7], v20, v16, s[6:7]
	global_store_short v[15:16], v28, off
	s_or_b64 exec, exec, s[14:15]
	s_and_saveexec_b64 s[14:15], s[4:5]
	s_cbranch_execnz .LBB141_40
	s_branch .LBB141_41
.LBB141_75:
	v_add_u32_e32 v15, v12, v0
	v_mov_b32_e32 v16, 0
	v_lshlrev_b64 v[15:16], 1, v[15:16]
	s_waitcnt lgkmcnt(0)
	v_mov_b32_e32 v20, s13
	v_add_co_u32_e64 v15, s[6:7], s12, v15
	v_addc_co_u32_e64 v16, s[6:7], v20, v16, s[6:7]
	global_store_short v[15:16], v26, off
	s_or_b64 exec, exec, s[14:15]
	s_and_saveexec_b64 s[14:15], s[0:1]
	s_cbranch_execz .LBB141_44
.LBB141_76:
	v_add_u32_e32 v15, v12, v8
	v_mov_b32_e32 v16, 0
	v_lshlrev_b64 v[15:16], 1, v[15:16]
	s_waitcnt lgkmcnt(0)
	v_mov_b32_e32 v20, s13
	v_add_co_u32_e64 v15, s[6:7], s12, v15
	v_addc_co_u32_e64 v16, s[6:7], v20, v16, s[6:7]
	global_store_short v[15:16], v25, off
	s_or_b64 exec, exec, s[14:15]
	s_and_saveexec_b64 s[14:15], s[2:3]
	s_cbranch_execz .LBB141_45
.LBB141_77:
	v_add_u32_e32 v15, v12, v10
	v_mov_b32_e32 v16, 0
	v_lshlrev_b64 v[15:16], 1, v[15:16]
	s_waitcnt lgkmcnt(0)
	v_mov_b32_e32 v20, s13
	v_add_co_u32_e64 v15, s[6:7], s12, v15
	v_addc_co_u32_e64 v16, s[6:7], v20, v16, s[6:7]
	global_store_short v[15:16], v22, off
	s_or_b64 exec, exec, s[14:15]
	s_and_saveexec_b64 s[14:15], s[4:5]
	s_cbranch_execnz .LBB141_46
	s_branch .LBB141_47
.LBB141_78:
	v_add_u32_e32 v15, v12, v0
	v_mov_b32_e32 v16, 0
	v_lshlrev_b64 v[15:16], 1, v[15:16]
	s_waitcnt lgkmcnt(0)
	v_mov_b32_e32 v20, s13
	v_add_co_u32_e64 v15, s[6:7], s12, v15
	v_addc_co_u32_e64 v16, s[6:7], v20, v16, s[6:7]
	global_store_short v[15:16], v19, off
	s_or_b64 exec, exec, s[14:15]
	s_and_saveexec_b64 s[14:15], s[0:1]
	s_cbranch_execz .LBB141_50
.LBB141_79:
	v_add_u32_e32 v15, v12, v8
	v_mov_b32_e32 v16, 0
	v_lshlrev_b64 v[15:16], 1, v[15:16]
	s_waitcnt lgkmcnt(0)
	v_mov_b32_e32 v19, s13
	v_add_co_u32_e64 v15, s[6:7], s12, v15
	v_addc_co_u32_e64 v16, s[6:7], v19, v16, s[6:7]
	global_store_short v[15:16], v18, off
	s_or_b64 exec, exec, s[14:15]
	s_and_saveexec_b64 s[14:15], s[2:3]
	s_cbranch_execz .LBB141_51
.LBB141_80:
	v_add_u32_e32 v15, v12, v10
	v_mov_b32_e32 v16, 0
	v_lshlrev_b64 v[15:16], 1, v[15:16]
	s_waitcnt lgkmcnt(0)
	v_mov_b32_e32 v18, s13
	v_add_co_u32_e64 v15, s[6:7], s12, v15
	v_addc_co_u32_e64 v16, s[6:7], v18, v16, s[6:7]
	global_store_short v[15:16], v17, off
	s_or_b64 exec, exec, s[14:15]
	s_and_saveexec_b64 s[14:15], s[4:5]
	s_cbranch_execnz .LBB141_52
	s_branch .LBB141_53
.LBB141_81:
	v_add_u32_e32 v14, v12, v0
	v_mov_b32_e32 v15, 0
	v_lshlrev_b64 v[14:15], 1, v[14:15]
	s_waitcnt lgkmcnt(0)
	v_mov_b32_e32 v16, s13
	v_add_co_u32_e64 v14, s[6:7], s12, v14
	v_addc_co_u32_e64 v15, s[6:7], v16, v15, s[6:7]
	global_store_short v[14:15], v13, off
	s_or_b64 exec, exec, s[14:15]
	s_and_saveexec_b64 s[14:15], s[0:1]
	s_cbranch_execz .LBB141_56
.LBB141_82:
	v_add_u32_e32 v13, v12, v8
	v_mov_b32_e32 v14, 0
	v_lshlrev_b64 v[13:14], 1, v[13:14]
	s_waitcnt lgkmcnt(0)
	v_mov_b32_e32 v15, s13
	v_add_co_u32_e64 v13, s[6:7], s12, v13
	v_addc_co_u32_e64 v14, s[6:7], v15, v14, s[6:7]
	global_store_short v[13:14], v9, off
	s_or_b64 exec, exec, s[14:15]
	s_and_saveexec_b64 s[14:15], s[2:3]
	s_cbranch_execz .LBB141_57
.LBB141_83:
	v_add_u32_e32 v13, v12, v10
	v_mov_b32_e32 v14, 0
	v_lshlrev_b64 v[13:14], 1, v[13:14]
	s_waitcnt lgkmcnt(0)
	v_mov_b32_e32 v9, s13
	v_add_co_u32_e64 v13, s[6:7], s12, v13
	v_addc_co_u32_e64 v14, s[6:7], v9, v14, s[6:7]
	global_store_short v[13:14], v7, off
	s_or_b64 exec, exec, s[14:15]
	s_and_saveexec_b64 s[14:15], s[4:5]
	s_cbranch_execnz .LBB141_58
	s_branch .LBB141_59
.LBB141_84:
	v_add_u32_e32 v6, v1, v0
	v_mov_b32_e32 v7, 0
	v_lshlrev_b64 v[6:7], 1, v[6:7]
	s_waitcnt lgkmcnt(0)
	v_mov_b32_e32 v0, s13
	v_add_co_u32_e32 v6, vcc, s12, v6
	v_addc_co_u32_e32 v7, vcc, v0, v7, vcc
	global_store_short v[6:7], v5, off
	s_or_b64 exec, exec, s[6:7]
	s_and_saveexec_b64 s[6:7], s[0:1]
	s_cbranch_execz .LBB141_62
.LBB141_85:
	v_add_u32_e32 v5, v1, v8
	v_mov_b32_e32 v6, 0
	v_lshlrev_b64 v[5:6], 1, v[5:6]
	s_waitcnt lgkmcnt(0)
	v_mov_b32_e32 v0, s13
	v_add_co_u32_e32 v5, vcc, s12, v5
	v_addc_co_u32_e32 v6, vcc, v0, v6, vcc
	global_store_short v[5:6], v4, off
	s_or_b64 exec, exec, s[6:7]
	s_and_saveexec_b64 s[0:1], s[2:3]
	s_cbranch_execz .LBB141_63
.LBB141_86:
	v_add_u32_e32 v4, v1, v10
	v_mov_b32_e32 v5, 0
	v_lshlrev_b64 v[4:5], 1, v[4:5]
	s_waitcnt lgkmcnt(0)
	v_mov_b32_e32 v0, s13
	v_add_co_u32_e32 v4, vcc, s12, v4
	v_addc_co_u32_e32 v5, vcc, v0, v5, vcc
	global_store_short v[4:5], v3, off
	s_or_b64 exec, exec, s[0:1]
	s_and_b64 exec, exec, s[4:5]
	s_cbranch_execnz .LBB141_64
	s_branch .LBB141_65
	.section	.rodata,"a",@progbits
	.p2align	6, 0x0
	.amdhsa_kernel _ZL12mul_mat_q5_0IN3c104HalfELb0EEvPKvS3_PT_iiiii
		.amdhsa_group_segment_fixed_size 46720
		.amdhsa_private_segment_fixed_size 0
		.amdhsa_kernarg_size 44
		.amdhsa_user_sgpr_count 6
		.amdhsa_user_sgpr_private_segment_buffer 1
		.amdhsa_user_sgpr_dispatch_ptr 0
		.amdhsa_user_sgpr_queue_ptr 0
		.amdhsa_user_sgpr_kernarg_segment_ptr 1
		.amdhsa_user_sgpr_dispatch_id 0
		.amdhsa_user_sgpr_flat_scratch_init 0
		.amdhsa_user_sgpr_private_segment_size 0
		.amdhsa_uses_dynamic_stack 0
		.amdhsa_system_sgpr_private_segment_wavefront_offset 0
		.amdhsa_system_sgpr_workgroup_id_x 1
		.amdhsa_system_sgpr_workgroup_id_y 1
		.amdhsa_system_sgpr_workgroup_id_z 0
		.amdhsa_system_sgpr_workgroup_info 0
		.amdhsa_system_vgpr_workitem_id 1
		.amdhsa_next_free_vgpr 176
		.amdhsa_next_free_sgpr 98
		.amdhsa_reserve_vcc 1
		.amdhsa_reserve_flat_scratch 0
		.amdhsa_float_round_mode_32 0
		.amdhsa_float_round_mode_16_64 0
		.amdhsa_float_denorm_mode_32 3
		.amdhsa_float_denorm_mode_16_64 3
		.amdhsa_dx10_clamp 1
		.amdhsa_ieee_mode 1
		.amdhsa_fp16_overflow 0
		.amdhsa_exception_fp_ieee_invalid_op 0
		.amdhsa_exception_fp_denorm_src 0
		.amdhsa_exception_fp_ieee_div_zero 0
		.amdhsa_exception_fp_ieee_overflow 0
		.amdhsa_exception_fp_ieee_underflow 0
		.amdhsa_exception_fp_ieee_inexact 0
		.amdhsa_exception_int_div_zero 0
	.end_amdhsa_kernel
	.section	.text._ZL12mul_mat_q5_0IN3c104HalfELb0EEvPKvS3_PT_iiiii,"axG",@progbits,_ZL12mul_mat_q5_0IN3c104HalfELb0EEvPKvS3_PT_iiiii,comdat
.Lfunc_end141:
	.size	_ZL12mul_mat_q5_0IN3c104HalfELb0EEvPKvS3_PT_iiiii, .Lfunc_end141-_ZL12mul_mat_q5_0IN3c104HalfELb0EEvPKvS3_PT_iiiii
                                        ; -- End function
	.set _ZL12mul_mat_q5_0IN3c104HalfELb0EEvPKvS3_PT_iiiii.num_vgpr, 176
	.set _ZL12mul_mat_q5_0IN3c104HalfELb0EEvPKvS3_PT_iiiii.num_agpr, 0
	.set _ZL12mul_mat_q5_0IN3c104HalfELb0EEvPKvS3_PT_iiiii.numbered_sgpr, 20
	.set _ZL12mul_mat_q5_0IN3c104HalfELb0EEvPKvS3_PT_iiiii.num_named_barrier, 0
	.set _ZL12mul_mat_q5_0IN3c104HalfELb0EEvPKvS3_PT_iiiii.private_seg_size, 0
	.set _ZL12mul_mat_q5_0IN3c104HalfELb0EEvPKvS3_PT_iiiii.uses_vcc, 1
	.set _ZL12mul_mat_q5_0IN3c104HalfELb0EEvPKvS3_PT_iiiii.uses_flat_scratch, 0
	.set _ZL12mul_mat_q5_0IN3c104HalfELb0EEvPKvS3_PT_iiiii.has_dyn_sized_stack, 0
	.set _ZL12mul_mat_q5_0IN3c104HalfELb0EEvPKvS3_PT_iiiii.has_recursion, 0
	.set _ZL12mul_mat_q5_0IN3c104HalfELb0EEvPKvS3_PT_iiiii.has_indirect_call, 0
	.section	.AMDGPU.csdata,"",@progbits
; Kernel info:
; codeLenInByte = 16792
; TotalNumSgprs: 24
; NumVgprs: 176
; ScratchSize: 0
; MemoryBound: 0
; FloatMode: 240
; IeeeMode: 1
; LDSByteSize: 46720 bytes/workgroup (compile time only)
; SGPRBlocks: 12
; VGPRBlocks: 43
; NumSGPRsForWavesPerEU: 102
; NumVGPRsForWavesPerEU: 176
; Occupancy: 1
; WaveLimiterHint : 0
; COMPUTE_PGM_RSRC2:SCRATCH_EN: 0
; COMPUTE_PGM_RSRC2:USER_SGPR: 6
; COMPUTE_PGM_RSRC2:TRAP_HANDLER: 0
; COMPUTE_PGM_RSRC2:TGID_X_EN: 1
; COMPUTE_PGM_RSRC2:TGID_Y_EN: 1
; COMPUTE_PGM_RSRC2:TGID_Z_EN: 0
; COMPUTE_PGM_RSRC2:TIDIG_COMP_CNT: 1
	.section	.text._ZL12mul_mat_q5_0IN3c104HalfELb1EEvPKvS3_PT_iiiii,"axG",@progbits,_ZL12mul_mat_q5_0IN3c104HalfELb1EEvPKvS3_PT_iiiii,comdat
	.globl	_ZL12mul_mat_q5_0IN3c104HalfELb1EEvPKvS3_PT_iiiii ; -- Begin function _ZL12mul_mat_q5_0IN3c104HalfELb1EEvPKvS3_PT_iiiii
	.p2align	8
	.type	_ZL12mul_mat_q5_0IN3c104HalfELb1EEvPKvS3_PT_iiiii,@function
_ZL12mul_mat_q5_0IN3c104HalfELb1EEvPKvS3_PT_iiiii: ; @_ZL12mul_mat_q5_0IN3c104HalfELb1EEvPKvS3_PT_iiiii
; %bb.0:
	s_load_dwordx4 s[8:11], s[4:5], 0x18
	s_load_dword s14, s[4:5], 0x28
	s_lshl_b32 s15, s7, 6
	v_add_u32_e32 v85, s15, v1
	s_waitcnt lgkmcnt(0)
	s_cmp_gt_i32 s8, 31
	s_cbranch_scc1 .LBB142_2
; %bb.1:
	v_add_u32_e32 v23, s15, v1
	s_mov_b64 s[0:1], 0
	s_branch .LBB142_3
.LBB142_2:
	s_mov_b64 s[0:1], -1
                                        ; implicit-def: $vgpr23
.LBB142_3:
	s_load_dwordx2 s[12:13], s[4:5], 0x10
	s_lshl_b32 s6, s6, 7
	v_mov_b32_e32 v2, 0
	s_andn2_b64 vcc, exec, s[0:1]
	v_mov_b32_e32 v6, 0
	v_mov_b32_e32 v10, 0
	;; [unrolled: 1-line block ×31, first 2 shown]
	s_cbranch_vccnz .LBB142_14
; %bb.4:
	s_load_dwordx4 s[0:3], s[4:5], 0x0
	s_ashr_i32 s4, s8, 31
	s_lshr_b32 s4, s4, 27
	s_ashr_i32 s5, s11, 31
	s_add_i32 s4, s8, s4
	s_lshr_b32 s5, s5, 27
	s_ashr_i32 s4, s4, 5
	s_add_i32 s5, s11, s5
	s_ashr_i32 s11, s5, 5
	s_mul_i32 s5, s4, s6
	s_mul_hi_i32 s7, s5, 22
	s_mul_i32 s5, s5, 22
	s_waitcnt lgkmcnt(0)
	s_add_u32 s5, s0, s5
	s_addc_u32 s7, s1, s7
	s_not_b32 s0, s6
	s_add_i32 s1, s9, s0
	v_min_i32_e32 v4, s1, v1
	v_lshlrev_b32_e32 v20, 3, v0
	s_movk_i32 s0, 0x104
	v_mul_lo_u32 v88, v4, s4
	v_mad_u64_u32 v[4:5], s[8:9], v4, s0, v[20:21]
	v_add_u32_e32 v30, 8, v1
	v_min_i32_e32 v5, s1, v30
	v_mul_lo_u32 v89, v5, s4
	v_mad_u64_u32 v[5:6], s[8:9], v5, s0, v[20:21]
	v_add_u32_e32 v31, 16, v1
	v_min_i32_e32 v6, s1, v31
	;; [unrolled: 4-line block ×15, first 2 shown]
	v_mul_lo_u32 v103, v19, s4
	v_mad_u64_u32 v[19:20], s[8:9], v19, s0, v[20:21]
	v_lshrrev_b32_e32 v105, 3, v0
	v_lshl_add_u32 v20, v1, 2, v105
	v_min_i32_e32 v21, s1, v20
	v_ashrrev_i32_e32 v22, 31, v21
	v_lshrrev_b32_e32 v22, 30, v22
	v_and_b32_e32 v104, 7, v0
	v_mul_lo_u32 v106, v21, s4
	v_add_u32_e32 v22, v21, v22
	v_lshlrev_b32_e32 v40, 5, v21
	v_add_u32_e32 v21, 32, v20
	v_and_b32_e32 v22, -4, v22
	v_lshlrev_b32_e32 v23, 2, v104
	s_mov_b32 s8, 0xa200
	v_min_i32_e32 v21, s1, v21
	v_add3_u32 v39, v22, v23, s8
	v_ashrrev_i32_e32 v22, 31, v21
	v_lshrrev_b32_e32 v22, 30, v22
	v_mul_lo_u32 v107, v21, s4
	v_add_u32_e32 v22, v21, v22
	v_lshlrev_b32_e32 v42, 5, v21
	v_add_u32_e32 v21, 64, v20
	v_and_b32_e32 v22, -4, v22
	v_min_i32_e32 v21, s1, v21
	v_add3_u32 v41, v22, v23, s8
	v_ashrrev_i32_e32 v22, 31, v21
	v_add_u32_e32 v20, 0x60, v20
	v_lshrrev_b32_e32 v22, 30, v22
	v_min_i32_e32 v20, s1, v20
	v_mul_lo_u32 v108, v21, s4
	v_add_u32_e32 v22, v21, v22
	v_lshlrev_b32_e32 v44, 5, v21
	v_ashrrev_i32_e32 v21, 31, v20
	v_lshrrev_b32_e32 v21, 30, v21
	v_add_u32_e32 v21, v20, v21
	v_and_b32_e32 v22, -4, v22
	v_mul_lo_u32 v109, v20, s4
	v_and_b32_e32 v21, -4, v21
	v_lshlrev_b32_e32 v46, 5, v20
	s_add_i32 s1, s10, -1
	v_lshlrev_b32_e32 v20, 2, v0
	v_add3_u32 v43, v22, v23, s8
	v_add3_u32 v45, v21, v23, s8
	v_cvt_f64_i32_e32 v[22:23], s1
	v_and_b32_e32 v47, 28, v20
	v_cvt_f64_u32_e32 v[20:21], v85
	v_lshrrev_b32_e32 v86, 2, v0
	v_and_b32_e32 v24, 31, v0
	v_mov_b32_e32 v25, 0x8200
	v_lshl_or_b32 v110, v24, 2, v25
	v_lshl_add_u32 v24, v1, 3, v86
	v_and_b32_e32 v32, 63, v24
	v_min_f64 v[24:25], v[20:21], v[22:23]
	v_add_u32_e32 v20, 8, v85
	v_cvt_f64_u32_e32 v[20:21], v20
	v_or_b32_e32 v28, s15, v32
	v_min_i32_e32 v33, s1, v28
	v_add_u32_e32 v26, 16, v85
	v_min_f64 v[28:29], v[20:21], v[22:23]
	v_cvt_f64_u32_e32 v[26:27], v26
	v_and_b32_e32 v3, 3, v0
	v_lshlrev_b32_e32 v87, 2, v3
	v_mad_u64_u32 v[20:21], s[8:9], v33, s11, v[3:4]
	v_lshl_or_b32 v3, v32, 4, v87
	v_min_f64 v[26:27], v[26:27], v[22:23]
	v_add_u32_e32 v111, 0xb280, v3
	v_cvt_i32_f64_e32 v3, v[28:29]
	v_cvt_i32_f64_e32 v21, v[24:25]
	v_lshlrev_b32_e32 v48, 7, v30
	v_lshlrev_b32_e32 v49, 7, v31
	v_mul_lo_u32 v114, s11, v3
	v_add_u32_e32 v3, 24, v85
	v_cvt_f64_u32_e32 v[24:25], v3
	v_add_u32_e32 v3, 32, v85
	v_mul_lo_u32 v112, s11, v21
	v_cvt_i32_f64_e32 v21, v[26:27]
	v_cvt_f64_u32_e32 v[26:27], v3
	v_add_u32_e32 v3, 40, v85
	v_cvt_f64_u32_e32 v[28:29], v3
	v_min_f64 v[24:25], v[24:25], v[22:23]
	v_add_u32_e32 v3, 48, v85
	v_cvt_f64_u32_e32 v[30:31], v3
	v_add_u32_e32 v3, 56, v85
	v_min_f64 v[28:29], v[28:29], v[22:23]
	v_cvt_f64_u32_e32 v[32:33], v3
	v_mul_lo_u32 v115, s11, v21
	v_min_f64 v[26:27], v[26:27], v[22:23]
	v_cvt_i32_f64_e32 v3, v[24:25]
	v_min_f64 v[24:25], v[30:31], v[22:23]
	v_min_f64 v[21:22], v[32:33], v[22:23]
	v_lshlrev_b32_e32 v30, 5, v0
	v_mul_lo_u32 v116, s11, v3
	v_cvt_i32_f64_e32 v3, v[28:29]
	v_add_u32_e32 v28, 64, v0
	v_cvt_i32_f64_e32 v26, v[26:27]
	v_add_u32_e32 v29, 0x60, v0
	v_mul_lo_u32 v118, s11, v3
	v_cvt_i32_f64_e32 v3, v[21:22]
	v_cvt_i32_f64_e32 v24, v[24:25]
	v_mov_b32_e32 v2, 0
	v_mul_lo_u32 v117, s11, v26
	v_mul_lo_u32 v120, s11, v3
	v_add_u32_e32 v3, 32, v0
	v_lshrrev_b32_e32 v122, 3, v3
	v_and_b32_e32 v3, 0x1fc, v3
	v_add_u32_e32 v3, v30, v3
	v_mul_lo_u32 v119, s11, v24
	v_and_b32_e32 v29, 0x1fc, v29
	v_and_b32_e32 v28, 0x1fc, v28
	v_add_u32_e32 v125, 0xa600, v3
	v_and_b32_e32 v31, 0xfc, v0
	v_add_u32_e32 v131, 0xa610, v3
	v_mov_b32_e32 v3, 0x80
	v_lshlrev_b32_e32 v23, 7, v34
	v_lshlrev_b32_e32 v26, 7, v35
	;; [unrolled: 1-line block ×5, first 2 shown]
	v_add_u32_e32 v29, v30, v29
	v_add_u32_e32 v28, v30, v28
	;; [unrolled: 1-line block ×3, first 2 shown]
	v_mov_b32_e32 v31, 0xb280
	v_mad_u32_u24 v133, v0, s0, v3
	v_mov_b32_e32 v3, v2
	v_lshlrev_b32_e32 v113, 7, v1
	v_mov_b32_e32 v22, s3
	v_add_co_u32_e32 v21, vcc, s2, v47
	v_add_u32_e32 v123, 0xae00, v29
	v_add_u32_e32 v124, 0xaa00, v28
	;; [unrolled: 1-line block ×3, first 2 shown]
	v_lshl_add_u32 v127, v1, 4, v31
	v_add_u32_e32 v129, 0xae10, v29
	v_add_u32_e32 v130, 0xaa10, v28
	v_add_u32_e32 v132, 0xa210, v30
	v_add_u32_e32 v134, v39, v40
	v_add_u32_e32 v135, v41, v42
	v_add_u32_e32 v136, v43, v44
	v_add_u32_e32 v137, v45, v46
	v_add_u32_e32 v139, v110, v48
	v_add_u32_e32 v140, v110, v49
	v_add_u32_e32 v141, v110, v23
	v_add_u32_e32 v142, v110, v26
	v_add_u32_e32 v143, v110, v25
	v_add_u32_e32 v144, v110, v24
	v_add_u32_e32 v145, v110, v27
	v_mov_b32_e32 v38, v3
	v_mov_b32_e32 v30, v3
	;; [unrolled: 1-line block ×15, first 2 shown]
	s_add_i32 s8, s4, 3
	v_mul_u32_u24_e32 v121, 0x104, v0
	v_addc_co_u32_e32 v22, vcc, 0, v22, vcc
	v_add_u32_e32 v128, 0x8200, v113
	s_mov_b32 s9, 0
	s_movk_i32 s11, 0x1f00
	s_mov_b32 s16, 0xc0c0105
	v_mov_b32_e32 v138, 8
	v_mov_b32_e32 v37, v2
	;; [unrolled: 1-line block ×16, first 2 shown]
	s_branch .LBB142_6
.LBB142_5:                              ;   in Loop: Header=BB142_6 Depth=1
	s_add_i32 s9, s9, 8
	s_add_i32 s8, s8, -8
	s_cmp_ge_i32 s9, s4
	s_cbranch_scc1 .LBB142_13
.LBB142_6:                              ; =>This Loop Header: Depth=1
                                        ;     Child Loop BB142_8 Depth 2
                                        ;     Child Loop BB142_11 Depth 2
	s_mul_i32 s0, s9, 22
	s_mul_hi_u32 s1, s9, 22
	s_add_u32 s0, s5, s0
	s_addc_u32 s1, s7, s1
	v_mad_u64_u32 v[53:54], s[18:19], v86, 22, s[0:1]
	s_cmp_gt_u32 s8, 3
	v_mad_i64_i32 v[55:56], s[18:19], v88, 22, v[53:54]
	v_mad_i64_i32 v[61:62], s[18:19], v91, 22, v[53:54]
	v_add_co_u32_e32 v57, vcc, v55, v87
	v_addc_co_u32_e32 v58, vcc, 0, v56, vcc
	v_mad_i64_i32 v[59:60], s[18:19], v90, 22, v[53:54]
	v_mad_i64_i32 v[63:64], s[18:19], v89, 22, v[53:54]
	global_load_dword v65, v[57:58], off offset:6
	global_load_dword v71, v[61:62], off offset:2
                                        ; kill: killed $vgpr57 killed $vgpr58
	global_load_dword v66, v[59:60], off offset:2
	global_load_dword v67, v[63:64], off offset:2
	;; [unrolled: 1-line block ×3, first 2 shown]
	v_add_co_u32_e32 v55, vcc, v63, v87
	v_addc_co_u32_e32 v56, vcc, 0, v64, vcc
	global_load_dword v63, v[55:56], off offset:6
	v_add_co_u32_e32 v55, vcc, v59, v87
	v_addc_co_u32_e32 v56, vcc, 0, v60, vcc
	v_add_co_u32_e32 v57, vcc, v61, v87
	v_addc_co_u32_e32 v58, vcc, 0, v62, vcc
	global_load_dword v72, v[55:56], off offset:6
	global_load_dword v73, v[57:58], off offset:6
	s_waitcnt vmcnt(7)
	v_and_b32_e32 v56, 0xf0f0f0f, v65
	v_lshrrev_b32_e32 v57, 4, v65
	v_and_b32_e32 v57, 0xf0f0f0f, v57
	s_waitcnt vmcnt(4)
	v_ashrrev_i32_e32 v58, v87, v67
	s_waitcnt vmcnt(3)
	v_ashrrev_i32_e32 v55, v87, v68
	v_lshlrev_b32_e32 v60, 4, v55
	v_lshlrev_b32_e32 v61, 11, v55
	;; [unrolled: 1-line block ×4, first 2 shown]
	v_lshrrev_b32_e32 v65, 12, v55
	v_lshrrev_b32_e32 v67, 5, v55
	v_lshlrev_b32_e32 v68, 2, v55
	v_lshlrev_b32_e32 v55, 9, v55
	v_and_b32_e32 v60, 16, v60
	v_and_b32_e32 v61, 0x1000, v61
	;; [unrolled: 1-line block ×8, first 2 shown]
	v_or3_b32 v60, v60, v56, v61
	v_or3_b32 v56, v56, v62, v64
	;; [unrolled: 1-line block ×4, first 2 shown]
	v_and_b32_e32 v62, 0x1f00, v60
	v_lshlrev_b16_e32 v60, 8, v60
	v_and_b32_sdwa v64, v56, s11 dst_sel:DWORD dst_unused:UNUSED_PAD src0_sel:WORD_1 src1_sel:DWORD
	v_lshlrev_b16_sdwa v56, v138, v56 dst_sel:DWORD dst_unused:UNUSED_PAD src0_sel:DWORD src1_sel:WORD_1
	v_and_b32_e32 v67, 0x1f00, v61
	v_lshlrev_b16_e32 v61, 8, v61
	v_and_b32_sdwa v65, v55, s11 dst_sel:DWORD dst_unused:UNUSED_PAD src0_sel:WORD_1 src1_sel:DWORD
	v_lshlrev_b16_sdwa v55, v138, v55 dst_sel:DWORD dst_unused:UNUSED_PAD src0_sel:DWORD src1_sel:WORD_1
	v_add_u16_e32 v62, 0xf000, v62
	v_add_u16_e32 v60, 0xf000, v60
	;; [unrolled: 1-line block ×5, first 2 shown]
	v_lshlrev_b32_e32 v69, 4, v58
	v_lshlrev_b32_e32 v70, 11, v58
	v_add_u16_e32 v65, 0xf000, v65
	v_add_u16_e32 v55, 0xf000, v55
	v_perm_b32 v60, v60, v62, s16
	v_perm_b32 v56, v56, v64, s16
	v_or_b32_sdwa v61, v67, v61 dst_sel:DWORD dst_unused:UNUSED_PAD src0_sel:DWORD src1_sel:BYTE_1
	s_waitcnt vmcnt(2)
	v_and_b32_e32 v59, 0xf0f0f0f, v63
	v_lshlrev_b32_e32 v74, 18, v58
	v_lshlrev_b32_e32 v75, 25, v58
	v_and_b32_e32 v69, 16, v69
	v_and_b32_e32 v70, 0x1000, v70
	v_perm_b32 v55, v55, v65, s16
	v_lshl_or_b32 v56, v56, 16, v60
	v_add_u16_e32 v60, 0xf000, v61
	v_and_b32_e32 v74, 0x100000, v74
	v_and_b32_e32 v75, 0x10000000, v75
	v_or3_b32 v57, v69, v59, v70
	v_lshl_or_b32 v55, v55, 16, v60
	v_or3_b32 v59, v59, v74, v75
	ds_write2_b32 v4, v56, v55 offset1:1
	v_lshlrev_b16_e32 v56, 8, v57
	v_and_b32_sdwa v68, v59, s11 dst_sel:DWORD dst_unused:UNUSED_PAD src0_sel:WORD_1 src1_sel:DWORD
	v_lshlrev_b16_sdwa v59, v138, v59 dst_sel:DWORD dst_unused:UNUSED_PAD src0_sel:DWORD src1_sel:WORD_1
	v_and_b32_e32 v55, 0x1f00, v57
	v_add_u16_e32 v56, 0xf000, v56
	v_add_u16_e32 v68, 0xf000, v68
	;; [unrolled: 1-line block ×3, first 2 shown]
	v_or_b32_sdwa v55, v55, v56 dst_sel:DWORD dst_unused:UNUSED_PAD src0_sel:DWORD src1_sel:BYTE_1
	v_perm_b32 v59, v59, v68, s16
	v_add_u16_e32 v55, 0xf000, v55
	v_lshl_or_b32 v55, v59, 16, v55
	v_lshrrev_b32_e32 v56, 4, v63
	v_lshrrev_b32_e32 v57, 12, v58
	v_lshrrev_b32_e32 v59, 5, v58
	v_and_b32_e32 v56, 0xf0f0f0f, v56
	v_and_b32_e32 v57, 16, v57
	;; [unrolled: 1-line block ×3, first 2 shown]
	v_or3_b32 v57, v57, v56, v59
	v_lshlrev_b32_e32 v59, 2, v58
	v_lshlrev_b32_e32 v58, 9, v58
	v_and_b32_e32 v59, 0x100000, v59
	v_and_b32_e32 v58, 0x10000000, v58
	v_or3_b32 v56, v56, v59, v58
	v_and_b32_e32 v58, 0x1f00, v57
	v_lshlrev_b16_e32 v57, 8, v57
	v_add_u16_e32 v58, 0xf000, v58
	v_add_u16_e32 v57, 0xf000, v57
	v_perm_b32 v57, v57, v58, s16
	v_and_b32_sdwa v58, v56, s11 dst_sel:DWORD dst_unused:UNUSED_PAD src0_sel:WORD_1 src1_sel:DWORD
	v_lshlrev_b16_sdwa v56, v138, v56 dst_sel:DWORD dst_unused:UNUSED_PAD src0_sel:DWORD src1_sel:WORD_1
	v_add_u16_e32 v58, 0xf000, v58
	v_add_u16_e32 v56, 0xf000, v56
	v_perm_b32 v56, v56, v58, s16
	v_lshl_or_b32 v56, v56, 16, v57
	v_ashrrev_i32_e32 v74, v87, v66
	ds_write2_b32 v5, v55, v56 offset1:1
	v_lshlrev_b32_e32 v56, 4, v74
	v_lshlrev_b32_e32 v57, 11, v74
	s_waitcnt vmcnt(1)
	v_and_b32_e32 v55, 0xf0f0f0f, v72
	v_and_b32_e32 v56, 16, v56
	v_and_b32_e32 v57, 0x1000, v57
	v_or3_b32 v75, v56, v55, v57
	v_lshlrev_b32_e32 v56, 18, v74
	v_lshlrev_b32_e32 v57, 25, v74
	v_and_b32_e32 v56, 0x100000, v56
	v_and_b32_e32 v57, 0x10000000, v57
	v_or3_b32 v55, v55, v56, v57
	v_and_b32_sdwa v56, v55, s11 dst_sel:DWORD dst_unused:UNUSED_PAD src0_sel:WORD_1 src1_sel:DWORD
	v_add_u16_e32 v76, 0xf000, v56
	v_lshlrev_b16_sdwa v77, v138, v55 dst_sel:DWORD dst_unused:UNUSED_PAD src0_sel:DWORD src1_sel:WORD_1
	v_mad_i64_i32 v[55:56], s[18:19], v92, 22, v[53:54]
	v_mad_i64_i32 v[57:58], s[18:19], v93, 22, v[53:54]
	v_add_co_u32_e32 v59, vcc, v55, v87
	v_mad_i64_i32 v[63:64], s[18:19], v94, 22, v[53:54]
	v_addc_co_u32_e32 v60, vcc, 0, v56, vcc
	v_add_co_u32_e32 v61, vcc, v57, v87
	v_mad_i64_i32 v[65:66], s[18:19], v95, 22, v[53:54]
	v_addc_co_u32_e32 v62, vcc, 0, v58, vcc
	v_add_co_u32_e32 v67, vcc, v63, v87
	v_addc_co_u32_e32 v68, vcc, 0, v64, vcc
	v_add_co_u32_e32 v69, vcc, v65, v87
	v_addc_co_u32_e32 v70, vcc, 0, v66, vcc
	global_load_dword v59, v[59:60], off offset:6
	s_nop 0
	global_load_dword v60, v[61:62], off offset:6
	global_load_dword v78, v[67:68], off offset:6
	;; [unrolled: 1-line block ×4, first 2 shown]
	s_nop 0
	global_load_dword v61, v[63:64], off offset:2
	s_nop 0
	global_load_dword v57, v[57:58], off offset:2
	;; [unrolled: 2-line block ×3, first 2 shown]
	v_lshlrev_b16_e32 v62, 8, v75
	v_and_b32_e32 v58, 0x1f00, v75
	v_add_u16_e32 v62, 0xf000, v62
	v_add_u16_e32 v56, 0xf000, v77
	v_or_b32_sdwa v58, v58, v62 dst_sel:DWORD dst_unused:UNUSED_PAD src0_sel:DWORD src1_sel:BYTE_1
	v_perm_b32 v56, v56, v76, s16
	v_add_u16_e32 v58, 0xf000, v58
	v_lshl_or_b32 v56, v56, 16, v58
	v_lshrrev_b32_e32 v58, 4, v72
	v_lshrrev_b32_e32 v62, 12, v74
	v_lshrrev_b32_e32 v63, 5, v74
	v_and_b32_e32 v58, 0xf0f0f0f, v58
	v_and_b32_e32 v62, 16, v62
	;; [unrolled: 1-line block ×3, first 2 shown]
	v_or3_b32 v62, v62, v58, v63
	v_lshlrev_b32_e32 v63, 2, v74
	v_lshlrev_b32_e32 v64, 9, v74
	v_and_b32_e32 v63, 0x100000, v63
	v_and_b32_e32 v64, 0x10000000, v64
	v_or3_b32 v58, v58, v63, v64
	v_and_b32_e32 v63, 0x1f00, v62
	v_lshlrev_b16_e32 v62, 8, v62
	v_add_u16_e32 v63, 0xf000, v63
	v_add_u16_e32 v62, 0xf000, v62
	v_perm_b32 v62, v62, v63, s16
	v_and_b32_sdwa v63, v58, s11 dst_sel:DWORD dst_unused:UNUSED_PAD src0_sel:WORD_1 src1_sel:DWORD
	v_lshlrev_b16_sdwa v58, v138, v58 dst_sel:DWORD dst_unused:UNUSED_PAD src0_sel:DWORD src1_sel:WORD_1
	v_add_u16_e32 v63, 0xf000, v63
	v_add_u16_e32 v58, 0xf000, v58
	v_perm_b32 v58, v58, v63, s16
	v_lshl_or_b32 v58, v58, 16, v62
	ds_write2_b32 v6, v56, v58 offset1:1
	v_ashrrev_i32_e32 v56, v87, v71
	v_lshlrev_b32_e32 v62, 4, v56
	v_lshlrev_b32_e32 v63, 11, v56
	s_waitcnt vmcnt(8)
	v_and_b32_e32 v58, 0xf0f0f0f, v73
	v_and_b32_e32 v62, 16, v62
	;; [unrolled: 1-line block ×3, first 2 shown]
	v_or3_b32 v62, v62, v58, v63
	v_lshlrev_b32_e32 v63, 18, v56
	v_lshlrev_b32_e32 v64, 25, v56
	v_and_b32_e32 v63, 0x100000, v63
	v_and_b32_e32 v64, 0x10000000, v64
	v_or3_b32 v58, v58, v63, v64
	v_and_b32_sdwa v63, v58, s11 dst_sel:DWORD dst_unused:UNUSED_PAD src0_sel:WORD_1 src1_sel:DWORD
	v_lshlrev_b16_sdwa v58, v138, v58 dst_sel:DWORD dst_unused:UNUSED_PAD src0_sel:DWORD src1_sel:WORD_1
	v_add_u16_e32 v63, 0xf000, v63
	v_add_u16_e32 v58, 0xf000, v58
	v_perm_b32 v58, v58, v63, s16
	v_and_b32_e32 v63, 0x1f00, v62
	v_lshlrev_b16_e32 v62, 8, v62
	v_add_u16_e32 v62, 0xf000, v62
	v_or_b32_sdwa v62, v63, v62 dst_sel:DWORD dst_unused:UNUSED_PAD src0_sel:DWORD src1_sel:BYTE_1
	v_add_u16_e32 v62, 0xf000, v62
	v_lshl_or_b32 v58, v58, 16, v62
	v_lshrrev_b32_e32 v62, 4, v73
	v_lshrrev_b32_e32 v63, 12, v56
	;; [unrolled: 1-line block ×3, first 2 shown]
	v_and_b32_e32 v62, 0xf0f0f0f, v62
	v_and_b32_e32 v63, 16, v63
	;; [unrolled: 1-line block ×3, first 2 shown]
	v_or3_b32 v63, v63, v62, v64
	v_lshlrev_b32_e32 v64, 2, v56
	v_lshlrev_b32_e32 v56, 9, v56
	v_and_b32_e32 v64, 0x100000, v64
	v_and_b32_e32 v56, 0x10000000, v56
	v_or3_b32 v56, v62, v64, v56
	v_and_b32_e32 v62, 0x1f00, v63
	v_lshlrev_b16_e32 v63, 8, v63
	v_add_u16_e32 v62, 0xf000, v62
	v_add_u16_e32 v63, 0xf000, v63
	v_perm_b32 v62, v63, v62, s16
	v_and_b32_sdwa v63, v56, s11 dst_sel:DWORD dst_unused:UNUSED_PAD src0_sel:WORD_1 src1_sel:DWORD
	v_lshlrev_b16_sdwa v56, v138, v56 dst_sel:DWORD dst_unused:UNUSED_PAD src0_sel:DWORD src1_sel:WORD_1
	v_add_u16_e32 v63, 0xf000, v63
	v_add_u16_e32 v56, 0xf000, v56
	v_perm_b32 v56, v56, v63, s16
	v_lshl_or_b32 v56, v56, 16, v62
	ds_write2_b32 v7, v58, v56 offset1:1
	s_waitcnt vmcnt(0)
	v_ashrrev_i32_e32 v55, v87, v55
	v_lshlrev_b32_e32 v58, 4, v55
	v_lshlrev_b32_e32 v62, 11, v55
	v_and_b32_e32 v56, 0xf0f0f0f, v59
	v_and_b32_e32 v58, 16, v58
	;; [unrolled: 1-line block ×3, first 2 shown]
	v_or3_b32 v58, v58, v56, v62
	v_lshlrev_b32_e32 v62, 18, v55
	v_lshlrev_b32_e32 v63, 25, v55
	v_and_b32_e32 v62, 0x100000, v62
	v_and_b32_e32 v63, 0x10000000, v63
	v_or3_b32 v56, v56, v62, v63
	v_and_b32_sdwa v62, v56, s11 dst_sel:DWORD dst_unused:UNUSED_PAD src0_sel:WORD_1 src1_sel:DWORD
	v_lshlrev_b16_sdwa v56, v138, v56 dst_sel:DWORD dst_unused:UNUSED_PAD src0_sel:DWORD src1_sel:WORD_1
	v_add_u16_e32 v62, 0xf000, v62
	v_add_u16_e32 v56, 0xf000, v56
	v_perm_b32 v56, v56, v62, s16
	v_and_b32_e32 v62, 0x1f00, v58
	v_lshlrev_b16_e32 v58, 8, v58
	v_add_u16_e32 v58, 0xf000, v58
	v_or_b32_sdwa v58, v62, v58 dst_sel:DWORD dst_unused:UNUSED_PAD src0_sel:DWORD src1_sel:BYTE_1
	v_add_u16_e32 v58, 0xf000, v58
	v_lshl_or_b32 v56, v56, 16, v58
	v_lshrrev_b32_e32 v58, 4, v59
	v_lshrrev_b32_e32 v59, 12, v55
	;; [unrolled: 1-line block ×3, first 2 shown]
	v_and_b32_e32 v58, 0xf0f0f0f, v58
	v_and_b32_e32 v59, 16, v59
	;; [unrolled: 1-line block ×3, first 2 shown]
	v_or3_b32 v59, v59, v58, v62
	v_lshlrev_b32_e32 v62, 2, v55
	v_lshlrev_b32_e32 v55, 9, v55
	v_and_b32_e32 v62, 0x100000, v62
	v_and_b32_e32 v55, 0x10000000, v55
	v_or3_b32 v55, v58, v62, v55
	v_and_b32_e32 v58, 0x1f00, v59
	v_lshlrev_b16_e32 v59, 8, v59
	v_add_u16_e32 v58, 0xf000, v58
	v_add_u16_e32 v59, 0xf000, v59
	v_perm_b32 v58, v59, v58, s16
	v_and_b32_sdwa v59, v55, s11 dst_sel:DWORD dst_unused:UNUSED_PAD src0_sel:WORD_1 src1_sel:DWORD
	v_lshlrev_b16_sdwa v55, v138, v55 dst_sel:DWORD dst_unused:UNUSED_PAD src0_sel:DWORD src1_sel:WORD_1
	v_add_u16_e32 v59, 0xf000, v59
	v_add_u16_e32 v55, 0xf000, v55
	v_perm_b32 v55, v55, v59, s16
	v_lshl_or_b32 v55, v55, 16, v58
	ds_write2_b32 v8, v56, v55 offset1:1
	v_ashrrev_i32_e32 v55, v87, v57
	v_lshlrev_b32_e32 v57, 4, v55
	v_lshlrev_b32_e32 v58, 11, v55
	v_and_b32_e32 v56, 0xf0f0f0f, v60
	v_and_b32_e32 v57, 16, v57
	;; [unrolled: 1-line block ×3, first 2 shown]
	v_or3_b32 v57, v57, v56, v58
	v_lshlrev_b32_e32 v58, 18, v55
	v_lshlrev_b32_e32 v59, 25, v55
	v_and_b32_e32 v58, 0x100000, v58
	v_and_b32_e32 v59, 0x10000000, v59
	v_or3_b32 v56, v56, v58, v59
	v_and_b32_e32 v58, 0x1f00, v57
	v_lshlrev_b16_e32 v57, 8, v57
	v_add_u16_e32 v58, 0xf000, v58
	v_add_u16_e32 v57, 0xf000, v57
	v_perm_b32 v57, v57, v58, s16
	v_and_b32_sdwa v58, v56, s11 dst_sel:DWORD dst_unused:UNUSED_PAD src0_sel:WORD_1 src1_sel:DWORD
	v_lshlrev_b16_sdwa v56, v138, v56 dst_sel:DWORD dst_unused:UNUSED_PAD src0_sel:DWORD src1_sel:WORD_1
	v_add_u16_e32 v58, 0xf000, v58
	v_add_u16_e32 v56, 0xf000, v56
	v_perm_b32 v56, v56, v58, s16
	v_lshl_or_b32 v56, v56, 16, v57
	v_lshrrev_b32_e32 v57, 4, v60
	v_lshrrev_b32_e32 v58, 12, v55
	;; [unrolled: 1-line block ×3, first 2 shown]
	v_and_b32_e32 v57, 0xf0f0f0f, v57
	v_and_b32_e32 v58, 16, v58
	;; [unrolled: 1-line block ×3, first 2 shown]
	v_or3_b32 v58, v58, v57, v59
	v_lshlrev_b32_e32 v59, 2, v55
	v_lshlrev_b32_e32 v55, 9, v55
	v_and_b32_e32 v59, 0x100000, v59
	v_and_b32_e32 v55, 0x10000000, v55
	v_or3_b32 v55, v57, v59, v55
	v_and_b32_sdwa v57, v55, s11 dst_sel:DWORD dst_unused:UNUSED_PAD src0_sel:WORD_1 src1_sel:DWORD
	v_lshlrev_b16_sdwa v55, v138, v55 dst_sel:DWORD dst_unused:UNUSED_PAD src0_sel:DWORD src1_sel:WORD_1
	v_add_u16_e32 v57, 0xf000, v57
	v_add_u16_e32 v55, 0xf000, v55
	v_perm_b32 v55, v55, v57, s16
	v_and_b32_e32 v57, 0x1f00, v58
	v_lshlrev_b16_e32 v58, 8, v58
	v_add_u16_e32 v58, 0xf000, v58
	v_or_b32_sdwa v57, v57, v58 dst_sel:DWORD dst_unused:UNUSED_PAD src0_sel:DWORD src1_sel:BYTE_1
	v_add_u16_e32 v57, 0xf000, v57
	v_lshl_or_b32 v55, v55, 16, v57
	v_ashrrev_i32_e32 v71, v87, v61
	ds_write2_b32 v9, v56, v55 offset1:1
	v_lshlrev_b32_e32 v56, 4, v71
	v_lshlrev_b32_e32 v57, 11, v71
	v_and_b32_e32 v55, 0xf0f0f0f, v78
	v_and_b32_e32 v56, 16, v56
	;; [unrolled: 1-line block ×3, first 2 shown]
	v_or3_b32 v56, v56, v55, v57
	v_lshlrev_b32_e32 v57, 18, v71
	v_lshlrev_b32_e32 v58, 25, v71
	v_and_b32_e32 v57, 0x100000, v57
	v_and_b32_e32 v58, 0x10000000, v58
	v_or3_b32 v72, v55, v57, v58
	v_and_b32_e32 v55, 0x1f00, v56
	v_add_u16_e32 v73, 0xf000, v55
	v_lshlrev_b16_e32 v74, 8, v56
	v_mad_i64_i32 v[55:56], s[18:19], v96, 22, v[53:54]
	v_mad_i64_i32 v[57:58], s[18:19], v97, 22, v[53:54]
	v_add_co_u32_e32 v59, vcc, v55, v87
	v_mad_i64_i32 v[63:64], s[18:19], v98, 22, v[53:54]
	v_addc_co_u32_e32 v60, vcc, 0, v56, vcc
	v_add_co_u32_e32 v61, vcc, v57, v87
	v_mad_i64_i32 v[65:66], s[18:19], v99, 22, v[53:54]
	v_addc_co_u32_e32 v62, vcc, 0, v58, vcc
	v_add_co_u32_e32 v67, vcc, v63, v87
	v_addc_co_u32_e32 v68, vcc, 0, v64, vcc
	v_add_co_u32_e32 v69, vcc, v65, v87
	v_addc_co_u32_e32 v70, vcc, 0, v66, vcc
	global_load_dword v59, v[59:60], off offset:6
	s_nop 0
	global_load_dword v60, v[61:62], off offset:6
	global_load_dword v75, v[67:68], off offset:6
	s_nop 0
	global_load_dword v69, v[69:70], off offset:6
	s_nop 0
	global_load_dword v70, v[65:66], off offset:2
	global_load_dword v61, v[63:64], off offset:2
	s_nop 0
	global_load_dword v57, v[57:58], off offset:2
	s_nop 0
	global_load_dword v55, v[55:56], off offset:2
	v_and_b32_sdwa v58, v72, s11 dst_sel:DWORD dst_unused:UNUSED_PAD src0_sel:WORD_1 src1_sel:DWORD
	v_lshlrev_b16_sdwa v62, v138, v72 dst_sel:DWORD dst_unused:UNUSED_PAD src0_sel:DWORD src1_sel:WORD_1
	v_add_u16_e32 v56, 0xf000, v74
	v_add_u16_e32 v58, 0xf000, v58
	v_add_u16_e32 v62, 0xf000, v62
	v_perm_b32 v56, v56, v73, s16
	v_perm_b32 v58, v62, v58, s16
	v_lshl_or_b32 v56, v58, 16, v56
	v_lshrrev_b32_e32 v58, 4, v78
	v_lshrrev_b32_e32 v62, 12, v71
	;; [unrolled: 1-line block ×3, first 2 shown]
	v_and_b32_e32 v58, 0xf0f0f0f, v58
	v_and_b32_e32 v62, 16, v62
	;; [unrolled: 1-line block ×3, first 2 shown]
	v_or3_b32 v62, v62, v58, v63
	v_lshlrev_b32_e32 v63, 2, v71
	v_lshlrev_b32_e32 v64, 9, v71
	v_and_b32_e32 v63, 0x100000, v63
	v_and_b32_e32 v64, 0x10000000, v64
	v_or3_b32 v58, v58, v63, v64
	v_and_b32_sdwa v63, v58, s11 dst_sel:DWORD dst_unused:UNUSED_PAD src0_sel:WORD_1 src1_sel:DWORD
	v_lshlrev_b16_sdwa v58, v138, v58 dst_sel:DWORD dst_unused:UNUSED_PAD src0_sel:DWORD src1_sel:WORD_1
	v_add_u16_e32 v63, 0xf000, v63
	v_add_u16_e32 v58, 0xf000, v58
	v_perm_b32 v58, v58, v63, s16
	v_and_b32_e32 v63, 0x1f00, v62
	v_lshlrev_b16_e32 v62, 8, v62
	v_add_u16_e32 v62, 0xf000, v62
	v_or_b32_sdwa v62, v63, v62 dst_sel:DWORD dst_unused:UNUSED_PAD src0_sel:DWORD src1_sel:BYTE_1
	v_add_u16_e32 v62, 0xf000, v62
	v_lshl_or_b32 v58, v58, 16, v62
	ds_write2_b32 v10, v56, v58 offset1:1
	v_ashrrev_i32_e32 v56, v87, v80
	v_lshlrev_b32_e32 v62, 4, v56
	v_lshlrev_b32_e32 v63, 11, v56
	v_and_b32_e32 v58, 0xf0f0f0f, v79
	v_and_b32_e32 v62, 16, v62
	;; [unrolled: 1-line block ×3, first 2 shown]
	v_or3_b32 v62, v62, v58, v63
	v_lshlrev_b32_e32 v63, 18, v56
	v_lshlrev_b32_e32 v64, 25, v56
	v_and_b32_e32 v63, 0x100000, v63
	v_and_b32_e32 v64, 0x10000000, v64
	v_or3_b32 v58, v58, v63, v64
	v_and_b32_e32 v63, 0x1f00, v62
	v_lshlrev_b16_e32 v62, 8, v62
	v_add_u16_e32 v63, 0xf000, v63
	v_add_u16_e32 v62, 0xf000, v62
	v_perm_b32 v62, v62, v63, s16
	v_and_b32_sdwa v63, v58, s11 dst_sel:DWORD dst_unused:UNUSED_PAD src0_sel:WORD_1 src1_sel:DWORD
	v_lshlrev_b16_sdwa v58, v138, v58 dst_sel:DWORD dst_unused:UNUSED_PAD src0_sel:DWORD src1_sel:WORD_1
	v_add_u16_e32 v63, 0xf000, v63
	v_add_u16_e32 v58, 0xf000, v58
	v_perm_b32 v58, v58, v63, s16
	v_lshl_or_b32 v58, v58, 16, v62
	v_lshrrev_b32_e32 v62, 4, v79
	v_lshrrev_b32_e32 v63, 12, v56
	;; [unrolled: 1-line block ×3, first 2 shown]
	v_and_b32_e32 v62, 0xf0f0f0f, v62
	v_and_b32_e32 v63, 16, v63
	v_and_b32_e32 v64, 0x1000, v64
	v_or3_b32 v63, v63, v62, v64
	v_lshlrev_b32_e32 v64, 2, v56
	v_lshlrev_b32_e32 v56, 9, v56
	v_and_b32_e32 v64, 0x100000, v64
	v_and_b32_e32 v56, 0x10000000, v56
	v_or3_b32 v56, v62, v64, v56
	v_and_b32_sdwa v62, v56, s11 dst_sel:DWORD dst_unused:UNUSED_PAD src0_sel:WORD_1 src1_sel:DWORD
	v_lshlrev_b16_sdwa v56, v138, v56 dst_sel:DWORD dst_unused:UNUSED_PAD src0_sel:DWORD src1_sel:WORD_1
	v_add_u16_e32 v62, 0xf000, v62
	v_add_u16_e32 v56, 0xf000, v56
	v_perm_b32 v56, v56, v62, s16
	v_and_b32_e32 v62, 0x1f00, v63
	v_lshlrev_b16_e32 v63, 8, v63
	v_add_u16_e32 v63, 0xf000, v63
	v_or_b32_sdwa v62, v62, v63 dst_sel:DWORD dst_unused:UNUSED_PAD src0_sel:DWORD src1_sel:BYTE_1
	v_add_u16_e32 v62, 0xf000, v62
	v_lshl_or_b32 v56, v56, 16, v62
	ds_write2_b32 v11, v58, v56 offset1:1
	s_waitcnt vmcnt(0)
	v_ashrrev_i32_e32 v55, v87, v55
	v_lshlrev_b32_e32 v58, 4, v55
	v_lshlrev_b32_e32 v62, 11, v55
	v_and_b32_e32 v56, 0xf0f0f0f, v59
	v_and_b32_e32 v58, 16, v58
	;; [unrolled: 1-line block ×3, first 2 shown]
	v_or3_b32 v58, v58, v56, v62
	v_lshlrev_b32_e32 v62, 18, v55
	v_lshlrev_b32_e32 v63, 25, v55
	v_and_b32_e32 v62, 0x100000, v62
	v_and_b32_e32 v63, 0x10000000, v63
	v_or3_b32 v56, v56, v62, v63
	v_and_b32_e32 v62, 0x1f00, v58
	v_lshlrev_b16_e32 v58, 8, v58
	v_add_u16_e32 v62, 0xf000, v62
	v_add_u16_e32 v58, 0xf000, v58
	v_perm_b32 v58, v58, v62, s16
	v_and_b32_sdwa v62, v56, s11 dst_sel:DWORD dst_unused:UNUSED_PAD src0_sel:WORD_1 src1_sel:DWORD
	v_lshlrev_b16_sdwa v56, v138, v56 dst_sel:DWORD dst_unused:UNUSED_PAD src0_sel:DWORD src1_sel:WORD_1
	v_add_u16_e32 v62, 0xf000, v62
	v_add_u16_e32 v56, 0xf000, v56
	v_perm_b32 v56, v56, v62, s16
	v_lshl_or_b32 v56, v56, 16, v58
	v_lshrrev_b32_e32 v58, 4, v59
	v_lshrrev_b32_e32 v59, 12, v55
	;; [unrolled: 1-line block ×3, first 2 shown]
	v_and_b32_e32 v58, 0xf0f0f0f, v58
	v_and_b32_e32 v59, 16, v59
	;; [unrolled: 1-line block ×3, first 2 shown]
	v_or3_b32 v59, v59, v58, v62
	v_lshlrev_b32_e32 v62, 2, v55
	v_lshlrev_b32_e32 v55, 9, v55
	v_and_b32_e32 v62, 0x100000, v62
	v_and_b32_e32 v55, 0x10000000, v55
	v_or3_b32 v55, v58, v62, v55
	v_and_b32_sdwa v58, v55, s11 dst_sel:DWORD dst_unused:UNUSED_PAD src0_sel:WORD_1 src1_sel:DWORD
	v_lshlrev_b16_sdwa v55, v138, v55 dst_sel:DWORD dst_unused:UNUSED_PAD src0_sel:DWORD src1_sel:WORD_1
	v_add_u16_e32 v58, 0xf000, v58
	v_add_u16_e32 v55, 0xf000, v55
	v_perm_b32 v55, v55, v58, s16
	v_and_b32_e32 v58, 0x1f00, v59
	v_lshlrev_b16_e32 v59, 8, v59
	v_add_u16_e32 v59, 0xf000, v59
	v_or_b32_sdwa v58, v58, v59 dst_sel:DWORD dst_unused:UNUSED_PAD src0_sel:DWORD src1_sel:BYTE_1
	v_add_u16_e32 v58, 0xf000, v58
	v_lshl_or_b32 v55, v55, 16, v58
	ds_write2_b32 v12, v56, v55 offset1:1
	v_ashrrev_i32_e32 v55, v87, v57
	v_lshlrev_b32_e32 v57, 4, v55
	v_lshlrev_b32_e32 v58, 11, v55
	v_and_b32_e32 v56, 0xf0f0f0f, v60
	v_and_b32_e32 v57, 16, v57
	;; [unrolled: 1-line block ×3, first 2 shown]
	v_or3_b32 v57, v57, v56, v58
	v_lshlrev_b32_e32 v58, 18, v55
	v_lshlrev_b32_e32 v59, 25, v55
	v_and_b32_e32 v58, 0x100000, v58
	v_and_b32_e32 v59, 0x10000000, v59
	v_or3_b32 v56, v56, v58, v59
	v_and_b32_e32 v58, 0x1f00, v57
	v_lshlrev_b16_e32 v57, 8, v57
	v_add_u16_e32 v58, 0xf000, v58
	v_add_u16_e32 v57, 0xf000, v57
	v_perm_b32 v57, v57, v58, s16
	v_and_b32_sdwa v58, v56, s11 dst_sel:DWORD dst_unused:UNUSED_PAD src0_sel:WORD_1 src1_sel:DWORD
	v_lshlrev_b16_sdwa v56, v138, v56 dst_sel:DWORD dst_unused:UNUSED_PAD src0_sel:DWORD src1_sel:WORD_1
	v_add_u16_e32 v58, 0xf000, v58
	v_add_u16_e32 v56, 0xf000, v56
	v_perm_b32 v56, v56, v58, s16
	v_lshl_or_b32 v56, v56, 16, v57
	v_lshrrev_b32_e32 v57, 4, v60
	v_lshrrev_b32_e32 v58, 12, v55
	;; [unrolled: 1-line block ×3, first 2 shown]
	v_and_b32_e32 v57, 0xf0f0f0f, v57
	v_and_b32_e32 v58, 16, v58
	;; [unrolled: 1-line block ×3, first 2 shown]
	v_or3_b32 v58, v58, v57, v59
	v_lshlrev_b32_e32 v59, 2, v55
	v_lshlrev_b32_e32 v55, 9, v55
	v_and_b32_e32 v59, 0x100000, v59
	v_and_b32_e32 v55, 0x10000000, v55
	v_or3_b32 v55, v57, v59, v55
	v_and_b32_sdwa v57, v55, s11 dst_sel:DWORD dst_unused:UNUSED_PAD src0_sel:WORD_1 src1_sel:DWORD
	v_lshlrev_b16_sdwa v55, v138, v55 dst_sel:DWORD dst_unused:UNUSED_PAD src0_sel:DWORD src1_sel:WORD_1
	v_add_u16_e32 v57, 0xf000, v57
	v_add_u16_e32 v55, 0xf000, v55
	v_perm_b32 v55, v55, v57, s16
	v_and_b32_e32 v57, 0x1f00, v58
	v_lshlrev_b16_e32 v58, 8, v58
	v_add_u16_e32 v58, 0xf000, v58
	v_or_b32_sdwa v57, v57, v58 dst_sel:DWORD dst_unused:UNUSED_PAD src0_sel:DWORD src1_sel:BYTE_1
	v_add_u16_e32 v57, 0xf000, v57
	v_lshl_or_b32 v55, v55, 16, v57
	v_ashrrev_i32_e32 v71, v87, v61
	ds_write2_b32 v13, v56, v55 offset1:1
	v_lshlrev_b32_e32 v56, 4, v71
	v_lshlrev_b32_e32 v57, 11, v71
	v_and_b32_e32 v55, 0xf0f0f0f, v75
	v_and_b32_e32 v56, 16, v56
	v_and_b32_e32 v57, 0x1000, v57
	v_or3_b32 v56, v56, v55, v57
	v_lshlrev_b32_e32 v57, 18, v71
	v_lshlrev_b32_e32 v58, 25, v71
	v_and_b32_e32 v57, 0x100000, v57
	v_and_b32_e32 v58, 0x10000000, v58
	v_or3_b32 v72, v55, v57, v58
	v_and_b32_e32 v55, 0x1f00, v56
	v_add_u16_e32 v73, 0xf000, v55
	v_lshlrev_b16_e32 v74, 8, v56
	v_mad_i64_i32 v[55:56], s[18:19], v100, 22, v[53:54]
	v_mad_i64_i32 v[57:58], s[18:19], v101, 22, v[53:54]
	v_add_co_u32_e32 v59, vcc, v55, v87
	v_mad_i64_i32 v[63:64], s[18:19], v102, 22, v[53:54]
	v_addc_co_u32_e32 v60, vcc, 0, v56, vcc
	v_add_co_u32_e32 v61, vcc, v57, v87
	v_mad_i64_i32 v[53:54], s[18:19], v103, 22, v[53:54]
	v_addc_co_u32_e32 v62, vcc, 0, v58, vcc
	v_add_co_u32_e32 v65, vcc, v63, v87
	v_addc_co_u32_e32 v66, vcc, 0, v64, vcc
	v_add_co_u32_e32 v67, vcc, v53, v87
	v_addc_co_u32_e32 v68, vcc, 0, v54, vcc
	global_load_dword v59, v[59:60], off offset:6
	s_nop 0
	global_load_dword v60, v[61:62], off offset:6
	s_nop 0
	global_load_dword v61, v[65:66], off offset:6
	global_load_dword v62, v[67:68], off offset:6
	s_nop 0
	global_load_dword v65, v[53:54], off offset:2
	s_nop 0
	global_load_dword v53, v[63:64], off offset:2
	global_load_dword v54, v[57:58], off offset:2
	s_nop 0
	global_load_dword v55, v[55:56], off offset:2
	v_and_b32_sdwa v57, v72, s11 dst_sel:DWORD dst_unused:UNUSED_PAD src0_sel:WORD_1 src1_sel:DWORD
	v_lshlrev_b16_sdwa v58, v138, v72 dst_sel:DWORD dst_unused:UNUSED_PAD src0_sel:DWORD src1_sel:WORD_1
	v_add_u16_e32 v56, 0xf000, v74
	v_add_u16_e32 v57, 0xf000, v57
	;; [unrolled: 1-line block ×3, first 2 shown]
	v_perm_b32 v56, v56, v73, s16
	v_perm_b32 v57, v58, v57, s16
	v_lshl_or_b32 v56, v57, 16, v56
	v_lshrrev_b32_e32 v57, 4, v75
	v_lshrrev_b32_e32 v58, 12, v71
	v_lshrrev_b32_e32 v63, 5, v71
	v_and_b32_e32 v57, 0xf0f0f0f, v57
	v_and_b32_e32 v58, 16, v58
	;; [unrolled: 1-line block ×3, first 2 shown]
	v_or3_b32 v58, v58, v57, v63
	v_lshlrev_b32_e32 v63, 2, v71
	v_lshlrev_b32_e32 v64, 9, v71
	v_and_b32_e32 v63, 0x100000, v63
	v_and_b32_e32 v64, 0x10000000, v64
	v_or3_b32 v57, v57, v63, v64
	v_and_b32_sdwa v63, v57, s11 dst_sel:DWORD dst_unused:UNUSED_PAD src0_sel:WORD_1 src1_sel:DWORD
	v_lshlrev_b16_sdwa v57, v138, v57 dst_sel:DWORD dst_unused:UNUSED_PAD src0_sel:DWORD src1_sel:WORD_1
	v_add_u16_e32 v63, 0xf000, v63
	v_add_u16_e32 v57, 0xf000, v57
	v_perm_b32 v57, v57, v63, s16
	v_and_b32_e32 v63, 0x1f00, v58
	v_lshlrev_b16_e32 v58, 8, v58
	v_add_u16_e32 v58, 0xf000, v58
	v_or_b32_sdwa v58, v63, v58 dst_sel:DWORD dst_unused:UNUSED_PAD src0_sel:DWORD src1_sel:BYTE_1
	v_add_u16_e32 v58, 0xf000, v58
	v_lshl_or_b32 v57, v57, 16, v58
	ds_write2_b32 v14, v56, v57 offset1:1
	v_ashrrev_i32_e32 v56, v87, v70
	v_lshlrev_b32_e32 v58, 4, v56
	v_lshlrev_b32_e32 v63, 11, v56
	v_and_b32_e32 v57, 0xf0f0f0f, v69
	v_and_b32_e32 v58, 16, v58
	;; [unrolled: 1-line block ×3, first 2 shown]
	v_or3_b32 v58, v58, v57, v63
	v_lshlrev_b32_e32 v63, 18, v56
	v_lshlrev_b32_e32 v64, 25, v56
	v_and_b32_e32 v63, 0x100000, v63
	v_and_b32_e32 v64, 0x10000000, v64
	v_or3_b32 v57, v57, v63, v64
	v_and_b32_e32 v63, 0x1f00, v58
	v_lshlrev_b16_e32 v58, 8, v58
	v_add_u16_e32 v63, 0xf000, v63
	v_add_u16_e32 v58, 0xf000, v58
	v_perm_b32 v58, v58, v63, s16
	v_and_b32_sdwa v63, v57, s11 dst_sel:DWORD dst_unused:UNUSED_PAD src0_sel:WORD_1 src1_sel:DWORD
	v_lshlrev_b16_sdwa v57, v138, v57 dst_sel:DWORD dst_unused:UNUSED_PAD src0_sel:DWORD src1_sel:WORD_1
	v_add_u16_e32 v63, 0xf000, v63
	v_add_u16_e32 v57, 0xf000, v57
	v_perm_b32 v57, v57, v63, s16
	v_lshl_or_b32 v57, v57, 16, v58
	v_lshrrev_b32_e32 v58, 4, v69
	v_lshrrev_b32_e32 v63, 12, v56
	;; [unrolled: 1-line block ×3, first 2 shown]
	v_and_b32_e32 v58, 0xf0f0f0f, v58
	v_and_b32_e32 v63, 16, v63
	v_and_b32_e32 v64, 0x1000, v64
	v_or3_b32 v63, v63, v58, v64
	v_lshlrev_b32_e32 v64, 2, v56
	v_lshlrev_b32_e32 v56, 9, v56
	v_and_b32_e32 v64, 0x100000, v64
	v_and_b32_e32 v56, 0x10000000, v56
	v_or3_b32 v56, v58, v64, v56
	v_and_b32_sdwa v58, v56, s11 dst_sel:DWORD dst_unused:UNUSED_PAD src0_sel:WORD_1 src1_sel:DWORD
	v_lshlrev_b16_sdwa v56, v138, v56 dst_sel:DWORD dst_unused:UNUSED_PAD src0_sel:DWORD src1_sel:WORD_1
	v_add_u16_e32 v58, 0xf000, v58
	v_add_u16_e32 v56, 0xf000, v56
	v_perm_b32 v56, v56, v58, s16
	v_and_b32_e32 v58, 0x1f00, v63
	v_lshlrev_b16_e32 v63, 8, v63
	v_add_u16_e32 v63, 0xf000, v63
	v_or_b32_sdwa v58, v58, v63 dst_sel:DWORD dst_unused:UNUSED_PAD src0_sel:DWORD src1_sel:BYTE_1
	v_add_u16_e32 v58, 0xf000, v58
	v_lshl_or_b32 v56, v56, 16, v58
	ds_write2_b32 v15, v57, v56 offset1:1
	s_waitcnt vmcnt(0)
	v_ashrrev_i32_e32 v55, v87, v55
	v_lshlrev_b32_e32 v57, 4, v55
	v_lshlrev_b32_e32 v58, 11, v55
	v_and_b32_e32 v56, 0xf0f0f0f, v59
	v_and_b32_e32 v57, 16, v57
	;; [unrolled: 1-line block ×3, first 2 shown]
	v_or3_b32 v57, v57, v56, v58
	v_lshlrev_b32_e32 v58, 18, v55
	v_lshlrev_b32_e32 v63, 25, v55
	v_and_b32_e32 v58, 0x100000, v58
	v_and_b32_e32 v63, 0x10000000, v63
	v_or3_b32 v56, v56, v58, v63
	v_and_b32_e32 v58, 0x1f00, v57
	v_lshlrev_b16_e32 v57, 8, v57
	v_add_u16_e32 v58, 0xf000, v58
	v_add_u16_e32 v57, 0xf000, v57
	v_perm_b32 v57, v57, v58, s16
	v_and_b32_sdwa v58, v56, s11 dst_sel:DWORD dst_unused:UNUSED_PAD src0_sel:WORD_1 src1_sel:DWORD
	v_lshlrev_b16_sdwa v56, v138, v56 dst_sel:DWORD dst_unused:UNUSED_PAD src0_sel:DWORD src1_sel:WORD_1
	v_add_u16_e32 v58, 0xf000, v58
	v_add_u16_e32 v56, 0xf000, v56
	v_perm_b32 v56, v56, v58, s16
	v_lshl_or_b32 v56, v56, 16, v57
	v_lshrrev_b32_e32 v57, 4, v59
	v_lshrrev_b32_e32 v58, 12, v55
	;; [unrolled: 1-line block ×3, first 2 shown]
	v_and_b32_e32 v57, 0xf0f0f0f, v57
	v_and_b32_e32 v58, 16, v58
	;; [unrolled: 1-line block ×3, first 2 shown]
	v_or3_b32 v58, v58, v57, v59
	v_lshlrev_b32_e32 v59, 2, v55
	v_lshlrev_b32_e32 v55, 9, v55
	v_and_b32_e32 v59, 0x100000, v59
	v_and_b32_e32 v55, 0x10000000, v55
	v_or3_b32 v55, v57, v59, v55
	v_and_b32_sdwa v57, v55, s11 dst_sel:DWORD dst_unused:UNUSED_PAD src0_sel:WORD_1 src1_sel:DWORD
	v_lshlrev_b16_sdwa v55, v138, v55 dst_sel:DWORD dst_unused:UNUSED_PAD src0_sel:DWORD src1_sel:WORD_1
	v_add_u16_e32 v57, 0xf000, v57
	v_add_u16_e32 v55, 0xf000, v55
	v_perm_b32 v55, v55, v57, s16
	v_and_b32_e32 v57, 0x1f00, v58
	v_lshlrev_b16_e32 v58, 8, v58
	v_add_u16_e32 v58, 0xf000, v58
	v_or_b32_sdwa v57, v57, v58 dst_sel:DWORD dst_unused:UNUSED_PAD src0_sel:DWORD src1_sel:BYTE_1
	v_add_u16_e32 v57, 0xf000, v57
	v_lshl_or_b32 v55, v55, 16, v57
	v_ashrrev_i32_e32 v54, v87, v54
	ds_write2_b32 v16, v56, v55 offset1:1
	v_lshlrev_b32_e32 v56, 4, v54
	v_lshlrev_b32_e32 v57, 11, v54
	v_and_b32_e32 v55, 0xf0f0f0f, v60
	v_and_b32_e32 v56, 16, v56
	;; [unrolled: 1-line block ×3, first 2 shown]
	v_or3_b32 v56, v56, v55, v57
	v_lshlrev_b32_e32 v57, 18, v54
	v_lshlrev_b32_e32 v58, 25, v54
	v_and_b32_e32 v57, 0x100000, v57
	v_and_b32_e32 v58, 0x10000000, v58
	v_or3_b32 v55, v55, v57, v58
	v_and_b32_e32 v57, 0x1f00, v56
	v_lshlrev_b16_e32 v56, 8, v56
	v_add_u16_e32 v57, 0xf000, v57
	v_add_u16_e32 v56, 0xf000, v56
	v_perm_b32 v56, v56, v57, s16
	v_and_b32_sdwa v57, v55, s11 dst_sel:DWORD dst_unused:UNUSED_PAD src0_sel:WORD_1 src1_sel:DWORD
	v_lshlrev_b16_sdwa v55, v138, v55 dst_sel:DWORD dst_unused:UNUSED_PAD src0_sel:DWORD src1_sel:WORD_1
	v_add_u16_e32 v57, 0xf000, v57
	v_add_u16_e32 v55, 0xf000, v55
	v_perm_b32 v55, v55, v57, s16
	v_lshl_or_b32 v55, v55, 16, v56
	v_lshrrev_b32_e32 v56, 4, v60
	v_lshrrev_b32_e32 v57, 12, v54
	v_lshrrev_b32_e32 v58, 5, v54
	v_and_b32_e32 v56, 0xf0f0f0f, v56
	v_and_b32_e32 v57, 16, v57
	v_and_b32_e32 v58, 0x1000, v58
	v_or3_b32 v57, v57, v56, v58
	v_lshlrev_b32_e32 v58, 2, v54
	v_lshlrev_b32_e32 v54, 9, v54
	v_and_b32_e32 v58, 0x100000, v58
	v_and_b32_e32 v54, 0x10000000, v54
	v_or3_b32 v54, v56, v58, v54
	v_and_b32_sdwa v56, v54, s11 dst_sel:DWORD dst_unused:UNUSED_PAD src0_sel:WORD_1 src1_sel:DWORD
	v_lshlrev_b16_sdwa v54, v138, v54 dst_sel:DWORD dst_unused:UNUSED_PAD src0_sel:DWORD src1_sel:WORD_1
	v_add_u16_e32 v56, 0xf000, v56
	v_add_u16_e32 v54, 0xf000, v54
	v_perm_b32 v54, v54, v56, s16
	v_and_b32_e32 v56, 0x1f00, v57
	v_lshlrev_b16_e32 v57, 8, v57
	v_add_u16_e32 v57, 0xf000, v57
	v_or_b32_sdwa v56, v56, v57 dst_sel:DWORD dst_unused:UNUSED_PAD src0_sel:DWORD src1_sel:BYTE_1
	v_add_u16_e32 v56, 0xf000, v56
	v_lshl_or_b32 v54, v54, 16, v56
	v_ashrrev_i32_e32 v59, v87, v53
	ds_write2_b32 v17, v55, v54 offset1:1
	v_lshlrev_b32_e32 v54, 4, v59
	v_lshlrev_b32_e32 v55, 11, v59
	v_and_b32_e32 v53, 0xf0f0f0f, v61
	v_and_b32_e32 v54, 16, v54
	v_and_b32_e32 v55, 0x1000, v55
	v_or3_b32 v55, v54, v53, v55
	v_lshlrev_b32_e32 v54, 18, v59
	v_lshlrev_b32_e32 v56, 25, v59
	v_and_b32_e32 v54, 0x100000, v54
	v_and_b32_e32 v56, 0x10000000, v56
	v_or3_b32 v60, v53, v54, v56
	v_mad_u64_u32 v[53:54], s[0:1], v104, 22, s[0:1]
	v_and_b32_e32 v56, 0x1f00, v55
	v_add_u16_e32 v57, 0xf000, v56
	v_lshlrev_b16_e32 v58, 8, v55
	v_mad_i64_i32 v[55:56], s[0:1], v106, 22, v[53:54]
	v_add_u16_e32 v58, 0xf000, v58
	v_perm_b32 v63, v58, v57, s16
	global_load_ushort v66, v[55:56], off
	v_mad_i64_i32 v[55:56], s[0:1], v107, 22, v[53:54]
	v_mad_i64_i32 v[57:58], s[0:1], v108, 22, v[53:54]
	;; [unrolled: 1-line block ×3, first 2 shown]
	global_load_ushort v55, v[55:56], off
	s_nop 0
	global_load_ushort v56, v[57:58], off
	v_and_b32_sdwa v64, v60, s11 dst_sel:DWORD dst_unused:UNUSED_PAD src0_sel:WORD_1 src1_sel:DWORD
	global_load_ushort v53, v[53:54], off
	v_lshlrev_b16_sdwa v54, v138, v60 dst_sel:DWORD dst_unused:UNUSED_PAD src0_sel:DWORD src1_sel:WORD_1
	v_add_u16_e32 v57, 0xf000, v64
	v_add_u16_e32 v54, 0xf000, v54
	v_perm_b32 v54, v54, v57, s16
	v_lshrrev_b32_e32 v57, 4, v61
	v_lshrrev_b32_e32 v58, 12, v59
	;; [unrolled: 1-line block ×3, first 2 shown]
	v_and_b32_e32 v57, 0xf0f0f0f, v57
	v_and_b32_e32 v58, 16, v58
	;; [unrolled: 1-line block ×3, first 2 shown]
	v_or3_b32 v58, v58, v57, v60
	v_lshlrev_b32_e32 v60, 2, v59
	v_lshlrev_b32_e32 v59, 9, v59
	v_and_b32_e32 v60, 0x100000, v60
	v_and_b32_e32 v59, 0x10000000, v59
	v_or3_b32 v57, v57, v60, v59
	v_and_b32_sdwa v59, v57, s11 dst_sel:DWORD dst_unused:UNUSED_PAD src0_sel:WORD_1 src1_sel:DWORD
	v_lshlrev_b16_sdwa v57, v138, v57 dst_sel:DWORD dst_unused:UNUSED_PAD src0_sel:DWORD src1_sel:WORD_1
	v_add_u16_e32 v59, 0xf000, v59
	v_add_u16_e32 v57, 0xf000, v57
	v_perm_b32 v57, v57, v59, s16
	v_and_b32_e32 v59, 0x1f00, v58
	v_lshlrev_b16_e32 v58, 8, v58
	v_add_u16_e32 v58, 0xf000, v58
	v_or_b32_sdwa v58, v59, v58 dst_sel:DWORD dst_unused:UNUSED_PAD src0_sel:DWORD src1_sel:BYTE_1
	v_add_u16_e32 v58, 0xf000, v58
	v_lshl_or_b32 v54, v54, 16, v63
	v_lshl_or_b32 v57, v57, 16, v58
	ds_write2_b32 v18, v54, v57 offset1:1
	v_ashrrev_i32_e32 v54, v87, v65
	v_lshlrev_b32_e32 v58, 4, v54
	v_lshlrev_b32_e32 v59, 11, v54
	v_and_b32_e32 v57, 0xf0f0f0f, v62
	v_and_b32_e32 v58, 16, v58
	;; [unrolled: 1-line block ×3, first 2 shown]
	v_or3_b32 v58, v58, v57, v59
	v_lshlrev_b32_e32 v59, 18, v54
	v_lshlrev_b32_e32 v60, 25, v54
	v_and_b32_e32 v59, 0x100000, v59
	v_and_b32_e32 v60, 0x10000000, v60
	v_or3_b32 v57, v57, v59, v60
	v_and_b32_e32 v59, 0x1f00, v58
	v_lshlrev_b16_e32 v58, 8, v58
	v_add_u16_e32 v59, 0xf000, v59
	v_add_u16_e32 v58, 0xf000, v58
	v_perm_b32 v58, v58, v59, s16
	v_and_b32_sdwa v59, v57, s11 dst_sel:DWORD dst_unused:UNUSED_PAD src0_sel:WORD_1 src1_sel:DWORD
	v_lshlrev_b16_sdwa v57, v138, v57 dst_sel:DWORD dst_unused:UNUSED_PAD src0_sel:DWORD src1_sel:WORD_1
	v_add_u16_e32 v59, 0xf000, v59
	v_add_u16_e32 v57, 0xf000, v57
	v_perm_b32 v57, v57, v59, s16
	v_lshl_or_b32 v57, v57, 16, v58
	v_lshrrev_b32_e32 v58, 4, v62
	v_lshrrev_b32_e32 v59, 12, v54
	;; [unrolled: 1-line block ×3, first 2 shown]
	v_and_b32_e32 v58, 0xf0f0f0f, v58
	v_and_b32_e32 v59, 16, v59
	v_and_b32_e32 v60, 0x1000, v60
	v_or3_b32 v59, v59, v58, v60
	v_lshlrev_b32_e32 v60, 2, v54
	v_lshlrev_b32_e32 v54, 9, v54
	v_and_b32_e32 v60, 0x100000, v60
	v_and_b32_e32 v54, 0x10000000, v54
	v_or3_b32 v54, v58, v60, v54
	v_and_b32_sdwa v58, v54, s11 dst_sel:DWORD dst_unused:UNUSED_PAD src0_sel:WORD_1 src1_sel:DWORD
	v_lshlrev_b16_sdwa v54, v138, v54 dst_sel:DWORD dst_unused:UNUSED_PAD src0_sel:DWORD src1_sel:WORD_1
	v_add_u16_e32 v58, 0xf000, v58
	v_add_u16_e32 v54, 0xf000, v54
	v_perm_b32 v54, v54, v58, s16
	v_and_b32_e32 v58, 0x1f00, v59
	v_lshlrev_b16_e32 v59, 8, v59
	v_add_u16_e32 v59, 0xf000, v59
	v_or_b32_sdwa v58, v58, v59 dst_sel:DWORD dst_unused:UNUSED_PAD src0_sel:DWORD src1_sel:BYTE_1
	v_add_u16_e32 v58, 0xf000, v58
	v_lshl_or_b32 v54, v54, 16, v58
	s_waitcnt vmcnt(3)
	v_cvt_f32_f16_e32 v58, v66
	ds_write2_b32 v19, v57, v54 offset1:1
	s_waitcnt vmcnt(2)
	v_cvt_f32_f16_e32 v54, v55
	s_waitcnt vmcnt(1)
	v_cvt_f32_f16_e32 v55, v56
	;; [unrolled: 2-line block ×3, first 2 shown]
	ds_write_b32 v134, v58
	ds_write_b32 v135, v54
	;; [unrolled: 1-line block ×4, first 2 shown]
	s_cbranch_scc0 .LBB142_5
; %bb.7:                                ;   in Loop: Header=BB142_6 Depth=1
	v_add_u32_e32 v146, s9, v20
	v_add_u32_e32 v69, s9, v105
	;; [unrolled: 1-line block ×3, first 2 shown]
	v_mad_u64_u32 v[67:68], s[0:1], v146, 36, s[2:3]
	v_mad_i64_i32 v[53:54], s[0:1], v53, 36, v[21:22]
	v_add_u32_e32 v55, v69, v114
	v_mad_i64_i32 v[55:56], s[0:1], v55, 36, v[21:22]
	v_add_u32_e32 v57, v69, v115
	v_add_u32_e32 v59, v69, v116
	v_mad_i64_i32 v[57:58], s[0:1], v57, 36, v[21:22]
	v_mad_i64_i32 v[59:60], s[0:1], v59, 36, v[21:22]
	v_add_u32_e32 v61, v69, v117
	v_add_u32_e32 v63, v69, v118
	;; [unrolled: 1-line block ×4, first 2 shown]
	v_mad_i64_i32 v[61:62], s[0:1], v61, 36, v[21:22]
	v_mad_i64_i32 v[63:64], s[0:1], v63, 36, v[21:22]
	;; [unrolled: 1-line block ×4, first 2 shown]
	global_load_dword v67, v[67:68], off
	s_nop 0
	global_load_dword v53, v[53:54], off offset:4
	s_nop 0
	global_load_dword v54, v[55:56], off offset:4
	;; [unrolled: 2-line block ×3, first 2 shown]
	global_load_dword v56, v[59:60], off offset:4
	s_nop 0
	global_load_dword v57, v[61:62], off offset:4
	global_load_dword v58, v[63:64], off offset:4
	;; [unrolled: 1-line block ×4, first 2 shown]
	v_add_u32_e32 v147, v110, v113
	s_mov_b32 s0, -4
	v_mov_b32_e32 v148, v128
	v_mov_b32_e32 v149, v121
	;; [unrolled: 1-line block ×7, first 2 shown]
	s_waitcnt vmcnt(8)
	v_cvt_f32_f16_e32 v61, v67
	s_waitcnt vmcnt(7)
	ds_write_b32 v147, v53
	s_waitcnt vmcnt(6)
	ds_write_b32 v139, v54
	;; [unrolled: 2-line block ×8, first 2 shown]
	ds_write_b32 v111, v61
	s_waitcnt lgkmcnt(0)
	s_barrier
.LBB142_8:                              ;   Parent Loop BB142_6 Depth=1
                                        ; =>  This Inner Loop Header: Depth=2
	ds_read_b128 v[159:162], v148
	ds_read_b128 v[163:166], v148 offset:16
	ds_read2_b32 v[167:168], v150 offset1:32
	ds_read_b32 v155, v151
	ds_read2_b32 v[53:54], v149 offset1:1
	s_add_i32 s0, s0, 4
	v_add_u32_e32 v151, 4, v151
	s_cmp_lt_u32 s0, 12
	s_waitcnt lgkmcnt(1)
	v_mul_f32_e32 v174, v155, v167
	s_waitcnt lgkmcnt(0)
	v_dot4_i32_i8 v55, v53, v159, 0
	v_dot4_i32_i8 v57, v54, v163, v55
	ds_read2_b32 v[55:56], v149 offset0:2 offset1:3
	v_mul_f32_e32 v175, v155, v168
	s_waitcnt lgkmcnt(0)
	v_dot4_i32_i8 v57, v55, v160, v57
	v_dot4_i32_i8 v59, v56, v164, v57
	ds_read2_b32 v[57:58], v149 offset0:4 offset1:5
	s_waitcnt lgkmcnt(0)
	v_dot4_i32_i8 v59, v57, v161, v59
	v_dot4_i32_i8 v61, v58, v165, v59
	ds_read2_b32 v[59:60], v149 offset0:6 offset1:7
	s_waitcnt lgkmcnt(0)
	v_dot4_i32_i8 v61, v59, v162, v61
	v_dot4_i32_i8 v169, v60, v166, v61
	v_add_u32_e32 v61, 0x2080, v149
	ds_read_b32 v156, v152
	ds_read2_b32 v[61:62], v61 offset1:1
	v_cvt_f32_i32_e32 v169, v169
	v_add_u32_e32 v152, 4, v152
	s_waitcnt lgkmcnt(0)
	v_dot4_i32_i8 v63, v61, v159, 0
	v_dot4_i32_i8 v65, v62, v163, v63
	v_add_u32_e32 v63, 0x2088, v149
	ds_read2_b32 v[63:64], v63 offset1:1
	v_fmac_f32_e32 v2, v174, v169
	v_mul_f32_e32 v174, v156, v168
	s_waitcnt lgkmcnt(0)
	v_dot4_i32_i8 v65, v63, v160, v65
	v_dot4_i32_i8 v67, v64, v164, v65
	v_add_u32_e32 v65, 0x2090, v149
	ds_read2_b32 v[65:66], v65 offset1:1
	s_waitcnt lgkmcnt(0)
	v_dot4_i32_i8 v67, v65, v161, v67
	v_dot4_i32_i8 v69, v66, v165, v67
	v_add_u32_e32 v67, 0x2098, v149
	ds_read2_b32 v[67:68], v67 offset1:1
	s_waitcnt lgkmcnt(0)
	v_dot4_i32_i8 v69, v67, v162, v69
	v_dot4_i32_i8 v170, v68, v166, v69
	v_add_u32_e32 v69, 0x4100, v149
	ds_read_b32 v157, v153
	ds_read2_b32 v[69:70], v69 offset1:1
	v_cvt_f32_i32_e32 v170, v170
	v_add_u32_e32 v153, 4, v153
	s_waitcnt lgkmcnt(0)
	v_dot4_i32_i8 v71, v69, v159, 0
	v_dot4_i32_i8 v73, v70, v163, v71
	v_add_u32_e32 v71, 0x4108, v149
	ds_read2_b32 v[71:72], v71 offset1:1
	s_waitcnt lgkmcnt(0)
	v_dot4_i32_i8 v73, v71, v160, v73
	v_dot4_i32_i8 v75, v72, v164, v73
	v_add_u32_e32 v73, 0x4110, v149
	ds_read2_b32 v[73:74], v73 offset1:1
	;; [unrolled: 5-line block ×3, first 2 shown]
	s_waitcnt lgkmcnt(0)
	v_dot4_i32_i8 v77, v75, v162, v77
	v_dot4_i32_i8 v171, v76, v166, v77
	v_add_u32_e32 v77, 0x6180, v149
	ds_read_b32 v158, v154
	ds_read2_b32 v[77:78], v77 offset1:1
	v_cvt_f32_i32_e32 v171, v171
	v_add_u32_e32 v154, 4, v154
	s_waitcnt lgkmcnt(0)
	v_dot4_i32_i8 v79, v77, v159, 0
	v_dot4_i32_i8 v81, v78, v163, v79
	v_add_u32_e32 v79, 0x6188, v149
	ds_read2_b32 v[79:80], v79 offset1:1
	s_waitcnt lgkmcnt(0)
	v_dot4_i32_i8 v81, v79, v160, v81
	v_dot4_i32_i8 v83, v80, v164, v81
	v_add_u32_e32 v81, 0x6190, v149
	ds_read2_b32 v[81:82], v81 offset1:1
	s_waitcnt lgkmcnt(0)
	v_dot4_i32_i8 v83, v81, v161, v83
	v_dot4_i32_i8 v159, v82, v165, v83
	v_add_u32_e32 v83, 0x6198, v149
	ds_read2_b32 v[83:84], v83 offset1:1
	v_add_u32_e32 v149, 32, v149
	s_waitcnt lgkmcnt(0)
	v_dot4_i32_i8 v159, v83, v162, v159
	v_dot4_i32_i8 v172, v84, v166, v159
	ds_read_b128 v[159:162], v148 offset:1024
	ds_read_b128 v[163:166], v148 offset:1040
	s_waitcnt lgkmcnt(1)
	v_dot4_i32_i8 v169, v61, v159, 0
	s_waitcnt lgkmcnt(0)
	v_dot4_i32_i8 v169, v62, v163, v169
	v_dot4_i32_i8 v169, v63, v160, v169
	v_dot4_i32_i8 v169, v64, v164, v169
	v_dot4_i32_i8 v169, v65, v161, v169
	v_dot4_i32_i8 v169, v66, v165, v169
	v_dot4_i32_i8 v169, v67, v162, v169
	v_dot4_i32_i8 v169, v68, v166, v169
	v_cvt_f32_i32_e32 v169, v169
	v_dot4_i32_i8 v173, v53, v159, 0
	v_dot4_i32_i8 v173, v54, v163, v173
	v_dot4_i32_i8 v173, v55, v160, v173
	v_fma_f32 v48, v174, v169, v48
	v_dot4_i32_i8 v169, v69, v159, 0
	v_dot4_i32_i8 v159, v77, v159, 0
	;; [unrolled: 1-line block ×17, first 2 shown]
	v_cvt_f32_i32_e32 v173, v173
	v_dot4_i32_i8 v169, v74, v165, v169
	v_dot4_i32_i8 v159, v84, v166, v159
	;; [unrolled: 1-line block ×3, first 2 shown]
	v_cvt_f32_i32_e32 v162, v172
	v_cvt_f32_i32_e32 v159, v159
	v_dot4_i32_i8 v169, v76, v166, v169
	v_fma_f32 v3, v175, v173, v3
	v_mul_f32_e32 v173, v156, v167
	v_cvt_f32_i32_e32 v169, v169
	v_mul_f32_e32 v160, v158, v167
	v_mul_f32_e32 v161, v158, v168
	v_fmac_f32_e32 v47, v173, v170
	v_mul_f32_e32 v170, v157, v167
	v_mul_f32_e32 v173, v157, v168
	v_fma_f32 v52, v161, v159, v52
	v_fmac_f32_e32 v51, v160, v162
	ds_read_b128 v[159:162], v148 offset:2048
	ds_read_b128 v[163:166], v148 offset:2064
	ds_read2_b32 v[167:168], v150 offset0:64 offset1:96
	v_fma_f32 v50, v173, v169, v50
	v_fmac_f32_e32 v49, v170, v171
	s_waitcnt lgkmcnt(2)
	v_dot4_i32_i8 v169, v53, v159, 0
	s_waitcnt lgkmcnt(1)
	v_dot4_i32_i8 v169, v54, v163, v169
	v_dot4_i32_i8 v170, v61, v159, 0
	;; [unrolled: 1-line block ×31, first 2 shown]
	ds_read_b128 v[159:162], v148 offset:3072
	ds_read_b128 v[163:166], v148 offset:3088
	v_cvt_f32_i32_e32 v169, v169
	s_waitcnt lgkmcnt(2)
	v_mul_f32_e32 v174, v155, v167
	v_cvt_f32_i32_e32 v170, v170
	s_waitcnt lgkmcnt(1)
	v_dot4_i32_i8 v173, v53, v159, 0
	v_fmac_f32_e32 v37, v174, v169
	v_dot4_i32_i8 v169, v61, v159, 0
	s_waitcnt lgkmcnt(0)
	v_dot4_i32_i8 v169, v62, v163, v169
	v_dot4_i32_i8 v169, v63, v160, v169
	;; [unrolled: 1-line block ×7, first 2 shown]
	v_cvt_f32_i32_e32 v169, v169
	v_mul_f32_e32 v174, v156, v168
	v_dot4_i32_i8 v173, v54, v163, v173
	v_dot4_i32_i8 v173, v55, v160, v173
	v_fma_f32 v42, v174, v169, v42
	v_dot4_i32_i8 v169, v69, v159, 0
	v_dot4_i32_i8 v159, v77, v159, 0
	;; [unrolled: 1-line block ×17, first 2 shown]
	v_cvt_f32_i32_e32 v173, v173
	v_dot4_i32_i8 v169, v74, v165, v169
	v_dot4_i32_i8 v159, v84, v166, v159
	v_dot4_i32_i8 v169, v75, v162, v169
	v_cvt_f32_i32_e32 v162, v172
	v_cvt_f32_i32_e32 v159, v159
	v_mul_f32_e32 v175, v155, v168
	v_dot4_i32_i8 v169, v76, v166, v169
	v_fma_f32 v38, v175, v173, v38
	v_mul_f32_e32 v173, v156, v167
	v_cvt_f32_i32_e32 v169, v169
	v_mul_f32_e32 v160, v158, v167
	v_mul_f32_e32 v161, v158, v168
	v_fmac_f32_e32 v41, v173, v170
	v_mul_f32_e32 v170, v157, v167
	v_mul_f32_e32 v173, v157, v168
	v_cvt_f32_i32_e32 v171, v171
	v_fma_f32 v46, v161, v159, v46
	v_fmac_f32_e32 v45, v160, v162
	ds_read_b128 v[159:162], v148 offset:4096
	ds_read_b128 v[163:166], v148 offset:4112
	ds_read2_b32 v[167:168], v150 offset0:128 offset1:160
	v_fma_f32 v44, v173, v169, v44
	v_fmac_f32_e32 v43, v170, v171
	s_waitcnt lgkmcnt(2)
	v_dot4_i32_i8 v169, v53, v159, 0
	s_waitcnt lgkmcnt(1)
	v_dot4_i32_i8 v169, v54, v163, v169
	v_dot4_i32_i8 v170, v61, v159, 0
	;; [unrolled: 1-line block ×31, first 2 shown]
	ds_read_b128 v[159:162], v148 offset:5120
	ds_read_b128 v[163:166], v148 offset:5136
	v_cvt_f32_i32_e32 v169, v169
	s_waitcnt lgkmcnt(2)
	v_mul_f32_e32 v174, v155, v167
	v_cvt_f32_i32_e32 v170, v170
	s_waitcnt lgkmcnt(1)
	v_dot4_i32_i8 v173, v53, v159, 0
	v_fmac_f32_e32 v29, v174, v169
	v_dot4_i32_i8 v169, v61, v159, 0
	s_waitcnt lgkmcnt(0)
	v_dot4_i32_i8 v169, v62, v163, v169
	v_dot4_i32_i8 v169, v63, v160, v169
	;; [unrolled: 1-line block ×7, first 2 shown]
	v_cvt_f32_i32_e32 v169, v169
	v_mul_f32_e32 v174, v156, v168
	v_dot4_i32_i8 v173, v54, v163, v173
	v_dot4_i32_i8 v173, v55, v160, v173
	v_fma_f32 v34, v174, v169, v34
	v_dot4_i32_i8 v169, v69, v159, 0
	v_dot4_i32_i8 v159, v77, v159, 0
	;; [unrolled: 1-line block ×17, first 2 shown]
	v_cvt_f32_i32_e32 v173, v173
	v_dot4_i32_i8 v169, v74, v165, v169
	v_dot4_i32_i8 v159, v84, v166, v159
	;; [unrolled: 1-line block ×3, first 2 shown]
	v_cvt_f32_i32_e32 v162, v172
	v_cvt_f32_i32_e32 v159, v159
	v_mul_f32_e32 v175, v155, v168
	v_dot4_i32_i8 v169, v76, v166, v169
	v_fma_f32 v30, v175, v173, v30
	v_mul_f32_e32 v173, v156, v167
	v_cvt_f32_i32_e32 v171, v171
	v_cvt_f32_i32_e32 v169, v169
	v_mul_f32_e32 v160, v158, v167
	v_mul_f32_e32 v161, v158, v168
	v_fmac_f32_e32 v33, v173, v170
	v_mul_f32_e32 v170, v157, v167
	v_mul_f32_e32 v173, v157, v168
	v_fma_f32 v40, v161, v159, v40
	v_fmac_f32_e32 v39, v160, v162
	ds_read_b128 v[159:162], v148 offset:6144
	ds_read_b128 v[163:166], v148 offset:6160
	ds_read2_b32 v[167:168], v150 offset0:192 offset1:224
	v_fma_f32 v36, v173, v169, v36
	v_fmac_f32_e32 v35, v170, v171
	s_waitcnt lgkmcnt(2)
	v_dot4_i32_i8 v169, v53, v159, 0
	v_dot4_i32_i8 v170, v61, v159, 0
	;; [unrolled: 1-line block ×4, first 2 shown]
	s_waitcnt lgkmcnt(1)
	v_dot4_i32_i8 v169, v54, v163, v169
	v_dot4_i32_i8 v170, v62, v163, v170
	;; [unrolled: 1-line block ×28, first 2 shown]
	ds_read_b128 v[159:162], v148 offset:7168
	ds_read_b128 v[163:166], v148 offset:7184
	v_add_u32_e32 v150, 4, v150
	v_add_u32_e32 v148, 32, v148
	s_waitcnt lgkmcnt(1)
	v_dot4_i32_i8 v53, v53, v159, 0
	s_waitcnt lgkmcnt(0)
	v_dot4_i32_i8 v53, v54, v163, v53
	v_dot4_i32_i8 v53, v55, v160, v53
	;; [unrolled: 1-line block ×7, first 2 shown]
	v_cvt_f32_i32_e32 v53, v53
	v_mul_f32_e32 v55, v155, v168
	v_cvt_f32_i32_e32 v56, v169
	v_mul_f32_e32 v54, v155, v167
	v_fma_f32 v24, v55, v53, v24
	v_dot4_i32_i8 v53, v61, v159, 0
	v_dot4_i32_i8 v53, v62, v163, v53
	;; [unrolled: 1-line block ×8, first 2 shown]
	v_cvt_f32_i32_e32 v53, v53
	v_mul_f32_e32 v55, v156, v168
	v_fmac_f32_e32 v23, v54, v56
	v_cvt_f32_i32_e32 v56, v170
	v_fma_f32 v26, v55, v53, v26
	v_dot4_i32_i8 v53, v69, v159, 0
	v_dot4_i32_i8 v53, v70, v163, v53
	;; [unrolled: 1-line block ×8, first 2 shown]
	v_cvt_f32_i32_e32 v53, v53
	v_mul_f32_e32 v55, v157, v168
	v_mul_f32_e32 v54, v156, v167
	v_fmac_f32_e32 v25, v54, v56
	v_fma_f32 v28, v55, v53, v28
	v_dot4_i32_i8 v53, v77, v159, 0
	v_dot4_i32_i8 v53, v78, v163, v53
	;; [unrolled: 1-line block ×4, first 2 shown]
	v_cvt_f32_i32_e32 v56, v171
	v_dot4_i32_i8 v53, v81, v161, v53
	v_dot4_i32_i8 v53, v82, v165, v53
	;; [unrolled: 1-line block ×3, first 2 shown]
	v_mul_f32_e32 v54, v157, v167
	v_dot4_i32_i8 v53, v84, v166, v53
	v_fmac_f32_e32 v27, v54, v56
	v_cvt_f32_i32_e32 v56, v172
	v_cvt_f32_i32_e32 v53, v53
	v_mul_f32_e32 v54, v158, v167
	v_mul_f32_e32 v55, v158, v168
	v_fmac_f32_e32 v31, v54, v56
	v_fma_f32 v32, v55, v53, v32
	s_cbranch_scc1 .LBB142_8
; %bb.9:                                ;   in Loop: Header=BB142_6 Depth=1
	s_and_b32 s0, s8, -4
	s_cmp_eq_u32 s0, 4
	s_barrier
	s_cbranch_scc1 .LBB142_5
; %bb.10:                               ;   in Loop: Header=BB142_6 Depth=1
	v_add_u32_e32 v69, s9, v122
	v_add_u32_e32 v67, 4, v146
	;; [unrolled: 1-line block ×3, first 2 shown]
	v_mad_u64_u32 v[67:68], s[0:1], v67, 36, s[2:3]
	v_mad_i64_i32 v[53:54], s[0:1], v53, 36, v[21:22]
	v_add_u32_e32 v55, v69, v114
	v_mad_i64_i32 v[55:56], s[0:1], v55, 36, v[21:22]
	v_add_u32_e32 v57, v69, v115
	v_add_u32_e32 v59, v69, v116
	v_mad_i64_i32 v[57:58], s[0:1], v57, 36, v[21:22]
	v_mad_i64_i32 v[59:60], s[0:1], v59, 36, v[21:22]
	v_add_u32_e32 v61, v69, v117
	v_add_u32_e32 v63, v69, v118
	;; [unrolled: 1-line block ×4, first 2 shown]
	v_mad_i64_i32 v[61:62], s[0:1], v61, 36, v[21:22]
	v_mad_i64_i32 v[63:64], s[0:1], v63, 36, v[21:22]
	v_mad_i64_i32 v[65:66], s[0:1], v65, 36, v[21:22]
	v_mad_i64_i32 v[69:70], s[0:1], v69, 36, v[21:22]
	global_load_dword v67, v[67:68], off
	s_nop 0
	global_load_dword v53, v[53:54], off offset:4
	s_nop 0
	global_load_dword v54, v[55:56], off offset:4
	s_nop 0
	global_load_dword v55, v[57:58], off offset:4
	global_load_dword v56, v[59:60], off offset:4
	s_nop 0
	global_load_dword v57, v[61:62], off offset:4
	global_load_dword v58, v[63:64], off offset:4
	;; [unrolled: 1-line block ×4, first 2 shown]
	s_mov_b32 s0, 12
	v_mov_b32_e32 v146, v127
	v_mov_b32_e32 v148, v128
	;; [unrolled: 1-line block ×6, first 2 shown]
	s_waitcnt vmcnt(8)
	v_cvt_f32_f16_e32 v61, v67
	s_waitcnt vmcnt(7)
	ds_write_b32 v147, v53
	s_waitcnt vmcnt(6)
	ds_write_b32 v139, v54
	;; [unrolled: 2-line block ×8, first 2 shown]
	ds_write_b32 v111, v61
	v_mov_b32_e32 v147, v129
	s_waitcnt lgkmcnt(0)
	s_barrier
.LBB142_11:                             ;   Parent Loop BB142_6 Depth=1
                                        ; =>  This Inner Loop Header: Depth=2
	ds_read_b128 v[157:160], v148
	ds_read_b128 v[161:164], v148 offset:16
	ds_read2_b32 v[165:166], v146 offset1:32
	ds_read_b32 v153, v150
	ds_read2_b32 v[53:54], v149 offset1:1
	s_add_i32 s0, s0, 4
	v_add_u32_e32 v150, 4, v150
	s_cmp_lt_u32 s0, 28
	s_waitcnt lgkmcnt(1)
	v_mul_f32_e32 v172, v153, v165
	s_waitcnt lgkmcnt(0)
	v_dot4_i32_i8 v55, v53, v157, 0
	v_dot4_i32_i8 v57, v54, v161, v55
	ds_read2_b32 v[55:56], v149 offset0:2 offset1:3
	v_mul_f32_e32 v173, v153, v166
	s_waitcnt lgkmcnt(0)
	v_dot4_i32_i8 v57, v55, v158, v57
	v_dot4_i32_i8 v59, v56, v162, v57
	ds_read2_b32 v[57:58], v149 offset0:4 offset1:5
	s_waitcnt lgkmcnt(0)
	v_dot4_i32_i8 v59, v57, v159, v59
	v_dot4_i32_i8 v61, v58, v163, v59
	ds_read2_b32 v[59:60], v149 offset0:6 offset1:7
	s_waitcnt lgkmcnt(0)
	v_dot4_i32_i8 v61, v59, v160, v61
	v_dot4_i32_i8 v167, v60, v164, v61
	v_add_u32_e32 v61, 0x2080, v149
	ds_read_b32 v154, v151
	ds_read2_b32 v[61:62], v61 offset1:1
	v_cvt_f32_i32_e32 v167, v167
	v_add_u32_e32 v151, 4, v151
	s_waitcnt lgkmcnt(0)
	v_dot4_i32_i8 v63, v61, v157, 0
	v_dot4_i32_i8 v65, v62, v161, v63
	v_add_u32_e32 v63, 0x2088, v149
	ds_read2_b32 v[63:64], v63 offset1:1
	v_fmac_f32_e32 v2, v172, v167
	v_mul_f32_e32 v172, v154, v166
	s_waitcnt lgkmcnt(0)
	v_dot4_i32_i8 v65, v63, v158, v65
	v_dot4_i32_i8 v67, v64, v162, v65
	v_add_u32_e32 v65, 0x2090, v149
	ds_read2_b32 v[65:66], v65 offset1:1
	s_waitcnt lgkmcnt(0)
	v_dot4_i32_i8 v67, v65, v159, v67
	v_dot4_i32_i8 v69, v66, v163, v67
	v_add_u32_e32 v67, 0x2098, v149
	ds_read2_b32 v[67:68], v67 offset1:1
	s_waitcnt lgkmcnt(0)
	v_dot4_i32_i8 v69, v67, v160, v69
	v_dot4_i32_i8 v168, v68, v164, v69
	v_add_u32_e32 v69, 0x4100, v149
	ds_read_b32 v155, v152
	ds_read2_b32 v[69:70], v69 offset1:1
	v_cvt_f32_i32_e32 v168, v168
	v_add_u32_e32 v152, 4, v152
	s_waitcnt lgkmcnt(0)
	v_dot4_i32_i8 v71, v69, v157, 0
	v_dot4_i32_i8 v73, v70, v161, v71
	v_add_u32_e32 v71, 0x4108, v149
	ds_read2_b32 v[71:72], v71 offset1:1
	s_waitcnt lgkmcnt(0)
	v_dot4_i32_i8 v73, v71, v158, v73
	v_dot4_i32_i8 v75, v72, v162, v73
	v_add_u32_e32 v73, 0x4110, v149
	ds_read2_b32 v[73:74], v73 offset1:1
	;; [unrolled: 5-line block ×3, first 2 shown]
	s_waitcnt lgkmcnt(0)
	v_dot4_i32_i8 v77, v75, v160, v77
	v_dot4_i32_i8 v169, v76, v164, v77
	v_add_u32_e32 v77, 0x6180, v149
	ds_read_b32 v156, v147
	ds_read2_b32 v[77:78], v77 offset1:1
	v_cvt_f32_i32_e32 v169, v169
	v_add_u32_e32 v147, 4, v147
	s_waitcnt lgkmcnt(0)
	v_dot4_i32_i8 v79, v77, v157, 0
	v_dot4_i32_i8 v81, v78, v161, v79
	v_add_u32_e32 v79, 0x6188, v149
	ds_read2_b32 v[79:80], v79 offset1:1
	s_waitcnt lgkmcnt(0)
	v_dot4_i32_i8 v81, v79, v158, v81
	v_dot4_i32_i8 v83, v80, v162, v81
	v_add_u32_e32 v81, 0x6190, v149
	ds_read2_b32 v[81:82], v81 offset1:1
	s_waitcnt lgkmcnt(0)
	v_dot4_i32_i8 v83, v81, v159, v83
	v_dot4_i32_i8 v157, v82, v163, v83
	v_add_u32_e32 v83, 0x6198, v149
	ds_read2_b32 v[83:84], v83 offset1:1
	v_add_u32_e32 v149, 32, v149
	s_waitcnt lgkmcnt(0)
	v_dot4_i32_i8 v157, v83, v160, v157
	v_dot4_i32_i8 v170, v84, v164, v157
	ds_read_b128 v[157:160], v148 offset:1024
	ds_read_b128 v[161:164], v148 offset:1040
	s_waitcnt lgkmcnt(1)
	v_dot4_i32_i8 v167, v61, v157, 0
	s_waitcnt lgkmcnt(0)
	v_dot4_i32_i8 v167, v62, v161, v167
	v_dot4_i32_i8 v167, v63, v158, v167
	;; [unrolled: 1-line block ×7, first 2 shown]
	v_cvt_f32_i32_e32 v167, v167
	v_dot4_i32_i8 v171, v53, v157, 0
	v_dot4_i32_i8 v171, v54, v161, v171
	;; [unrolled: 1-line block ×3, first 2 shown]
	v_fma_f32 v48, v172, v167, v48
	v_dot4_i32_i8 v167, v69, v157, 0
	v_dot4_i32_i8 v157, v77, v157, 0
	;; [unrolled: 1-line block ×17, first 2 shown]
	v_cvt_f32_i32_e32 v171, v171
	v_dot4_i32_i8 v167, v74, v163, v167
	v_dot4_i32_i8 v157, v84, v164, v157
	;; [unrolled: 1-line block ×3, first 2 shown]
	v_cvt_f32_i32_e32 v160, v170
	v_cvt_f32_i32_e32 v157, v157
	v_dot4_i32_i8 v167, v76, v164, v167
	v_fma_f32 v3, v173, v171, v3
	v_mul_f32_e32 v171, v154, v165
	v_cvt_f32_i32_e32 v167, v167
	v_mul_f32_e32 v158, v156, v165
	v_mul_f32_e32 v159, v156, v166
	v_fmac_f32_e32 v47, v171, v168
	v_mul_f32_e32 v168, v155, v165
	v_mul_f32_e32 v171, v155, v166
	v_fma_f32 v52, v159, v157, v52
	v_fmac_f32_e32 v51, v158, v160
	ds_read_b128 v[157:160], v148 offset:2048
	ds_read_b128 v[161:164], v148 offset:2064
	ds_read2_b32 v[165:166], v146 offset0:64 offset1:96
	v_fma_f32 v50, v171, v167, v50
	v_fmac_f32_e32 v49, v168, v169
	s_waitcnt lgkmcnt(2)
	v_dot4_i32_i8 v167, v53, v157, 0
	s_waitcnt lgkmcnt(1)
	v_dot4_i32_i8 v167, v54, v161, v167
	v_dot4_i32_i8 v168, v61, v157, 0
	;; [unrolled: 1-line block ×31, first 2 shown]
	ds_read_b128 v[157:160], v148 offset:3072
	ds_read_b128 v[161:164], v148 offset:3088
	v_cvt_f32_i32_e32 v167, v167
	s_waitcnt lgkmcnt(2)
	v_mul_f32_e32 v172, v153, v165
	v_cvt_f32_i32_e32 v168, v168
	s_waitcnt lgkmcnt(1)
	v_dot4_i32_i8 v171, v53, v157, 0
	v_fmac_f32_e32 v37, v172, v167
	v_dot4_i32_i8 v167, v61, v157, 0
	s_waitcnt lgkmcnt(0)
	v_dot4_i32_i8 v167, v62, v161, v167
	v_dot4_i32_i8 v167, v63, v158, v167
	;; [unrolled: 1-line block ×7, first 2 shown]
	v_cvt_f32_i32_e32 v167, v167
	v_mul_f32_e32 v172, v154, v166
	v_dot4_i32_i8 v171, v54, v161, v171
	v_dot4_i32_i8 v171, v55, v158, v171
	v_fma_f32 v42, v172, v167, v42
	v_dot4_i32_i8 v167, v69, v157, 0
	v_dot4_i32_i8 v157, v77, v157, 0
	;; [unrolled: 1-line block ×17, first 2 shown]
	v_cvt_f32_i32_e32 v171, v171
	v_dot4_i32_i8 v167, v74, v163, v167
	v_dot4_i32_i8 v157, v84, v164, v157
	;; [unrolled: 1-line block ×3, first 2 shown]
	v_cvt_f32_i32_e32 v160, v170
	v_cvt_f32_i32_e32 v157, v157
	v_mul_f32_e32 v173, v153, v166
	v_dot4_i32_i8 v167, v76, v164, v167
	v_fma_f32 v38, v173, v171, v38
	v_mul_f32_e32 v171, v154, v165
	v_cvt_f32_i32_e32 v167, v167
	v_mul_f32_e32 v158, v156, v165
	v_mul_f32_e32 v159, v156, v166
	v_fmac_f32_e32 v41, v171, v168
	v_mul_f32_e32 v168, v155, v165
	v_mul_f32_e32 v171, v155, v166
	v_cvt_f32_i32_e32 v169, v169
	v_fma_f32 v46, v159, v157, v46
	v_fmac_f32_e32 v45, v158, v160
	ds_read_b128 v[157:160], v148 offset:4096
	ds_read_b128 v[161:164], v148 offset:4112
	ds_read2_b32 v[165:166], v146 offset0:128 offset1:160
	v_fma_f32 v44, v171, v167, v44
	v_fmac_f32_e32 v43, v168, v169
	s_waitcnt lgkmcnt(2)
	v_dot4_i32_i8 v167, v53, v157, 0
	s_waitcnt lgkmcnt(1)
	v_dot4_i32_i8 v167, v54, v161, v167
	v_dot4_i32_i8 v168, v61, v157, 0
	;; [unrolled: 1-line block ×31, first 2 shown]
	ds_read_b128 v[157:160], v148 offset:5120
	ds_read_b128 v[161:164], v148 offset:5136
	v_cvt_f32_i32_e32 v167, v167
	s_waitcnt lgkmcnt(2)
	v_mul_f32_e32 v172, v153, v165
	v_cvt_f32_i32_e32 v168, v168
	s_waitcnt lgkmcnt(1)
	v_dot4_i32_i8 v171, v53, v157, 0
	v_fmac_f32_e32 v29, v172, v167
	v_dot4_i32_i8 v167, v61, v157, 0
	s_waitcnt lgkmcnt(0)
	v_dot4_i32_i8 v167, v62, v161, v167
	v_dot4_i32_i8 v167, v63, v158, v167
	;; [unrolled: 1-line block ×7, first 2 shown]
	v_cvt_f32_i32_e32 v167, v167
	v_mul_f32_e32 v172, v154, v166
	v_dot4_i32_i8 v171, v54, v161, v171
	v_dot4_i32_i8 v171, v55, v158, v171
	v_fma_f32 v34, v172, v167, v34
	v_dot4_i32_i8 v167, v69, v157, 0
	v_dot4_i32_i8 v157, v77, v157, 0
	;; [unrolled: 1-line block ×17, first 2 shown]
	v_cvt_f32_i32_e32 v171, v171
	v_dot4_i32_i8 v167, v74, v163, v167
	v_dot4_i32_i8 v157, v84, v164, v157
	;; [unrolled: 1-line block ×3, first 2 shown]
	v_cvt_f32_i32_e32 v160, v170
	v_cvt_f32_i32_e32 v157, v157
	v_mul_f32_e32 v173, v153, v166
	v_dot4_i32_i8 v167, v76, v164, v167
	v_fma_f32 v30, v173, v171, v30
	v_mul_f32_e32 v171, v154, v165
	v_cvt_f32_i32_e32 v169, v169
	v_cvt_f32_i32_e32 v167, v167
	v_mul_f32_e32 v158, v156, v165
	v_mul_f32_e32 v159, v156, v166
	v_fmac_f32_e32 v33, v171, v168
	v_mul_f32_e32 v168, v155, v165
	v_mul_f32_e32 v171, v155, v166
	v_fma_f32 v40, v159, v157, v40
	v_fmac_f32_e32 v39, v158, v160
	ds_read_b128 v[157:160], v148 offset:6144
	ds_read_b128 v[161:164], v148 offset:6160
	ds_read2_b32 v[165:166], v146 offset0:192 offset1:224
	v_fma_f32 v36, v171, v167, v36
	v_fmac_f32_e32 v35, v168, v169
	s_waitcnt lgkmcnt(2)
	v_dot4_i32_i8 v167, v53, v157, 0
	v_dot4_i32_i8 v168, v61, v157, 0
	;; [unrolled: 1-line block ×4, first 2 shown]
	s_waitcnt lgkmcnt(1)
	v_dot4_i32_i8 v167, v54, v161, v167
	v_dot4_i32_i8 v168, v62, v161, v168
	;; [unrolled: 1-line block ×28, first 2 shown]
	ds_read_b128 v[157:160], v148 offset:7168
	ds_read_b128 v[161:164], v148 offset:7184
	v_add_u32_e32 v148, 32, v148
	v_add_u32_e32 v146, 4, v146
	s_waitcnt lgkmcnt(1)
	v_dot4_i32_i8 v53, v53, v157, 0
	s_waitcnt lgkmcnt(0)
	v_dot4_i32_i8 v53, v54, v161, v53
	v_dot4_i32_i8 v53, v55, v158, v53
	;; [unrolled: 1-line block ×7, first 2 shown]
	v_cvt_f32_i32_e32 v53, v53
	v_mul_f32_e32 v55, v153, v166
	v_cvt_f32_i32_e32 v56, v167
	v_mul_f32_e32 v54, v153, v165
	v_fma_f32 v24, v55, v53, v24
	v_dot4_i32_i8 v53, v61, v157, 0
	v_dot4_i32_i8 v53, v62, v161, v53
	;; [unrolled: 1-line block ×8, first 2 shown]
	v_cvt_f32_i32_e32 v53, v53
	v_mul_f32_e32 v55, v154, v166
	v_fmac_f32_e32 v23, v54, v56
	v_cvt_f32_i32_e32 v56, v168
	v_fma_f32 v26, v55, v53, v26
	v_dot4_i32_i8 v53, v69, v157, 0
	v_dot4_i32_i8 v53, v70, v161, v53
	;; [unrolled: 1-line block ×8, first 2 shown]
	v_cvt_f32_i32_e32 v53, v53
	v_mul_f32_e32 v55, v155, v166
	v_mul_f32_e32 v54, v154, v165
	v_fmac_f32_e32 v25, v54, v56
	v_fma_f32 v28, v55, v53, v28
	v_dot4_i32_i8 v53, v77, v157, 0
	v_dot4_i32_i8 v53, v78, v161, v53
	;; [unrolled: 1-line block ×4, first 2 shown]
	v_cvt_f32_i32_e32 v56, v169
	v_dot4_i32_i8 v53, v81, v159, v53
	v_dot4_i32_i8 v53, v82, v163, v53
	;; [unrolled: 1-line block ×3, first 2 shown]
	v_mul_f32_e32 v54, v155, v165
	v_dot4_i32_i8 v53, v84, v164, v53
	v_fmac_f32_e32 v27, v54, v56
	v_cvt_f32_i32_e32 v56, v170
	v_cvt_f32_i32_e32 v53, v53
	v_mul_f32_e32 v54, v156, v165
	v_mul_f32_e32 v55, v156, v166
	v_fmac_f32_e32 v31, v54, v56
	v_fma_f32 v32, v55, v53, v32
	s_cbranch_scc1 .LBB142_11
; %bb.12:                               ;   in Loop: Header=BB142_6 Depth=1
	s_barrier
	s_branch .LBB142_5
.LBB142_13:
	v_cvt_f16_f32_e32 v11, v2
	v_cvt_f16_f32_e32 v12, v47
	;; [unrolled: 1-line block ×32, first 2 shown]
	v_mov_b32_e32 v23, v85
.LBB142_14:
	v_cmp_gt_u32_e32 vcc, s10, v23
	s_and_saveexec_b64 s[0:1], vcc
	s_cbranch_execz .LBB142_65
; %bb.15:
	v_mul_lo_u32 v23, v23, s14
	v_add_u32_e32 v0, s6, v0
	v_cmp_gt_u32_e32 vcc, s14, v0
	s_and_saveexec_b64 s[2:3], vcc
	s_cbranch_execz .LBB142_17
; %bb.16:
	v_add_u32_e32 v24, v0, v23
	v_mov_b32_e32 v25, 0
	v_lshlrev_b64 v[24:25], 1, v[24:25]
	s_waitcnt lgkmcnt(0)
	v_mov_b32_e32 v26, s13
	v_add_co_u32_e64 v24, s[0:1], s12, v24
	v_addc_co_u32_e64 v25, s[0:1], v26, v25, s[0:1]
	global_store_short v[24:25], v11, off
.LBB142_17:
	s_or_b64 exec, exec, s[2:3]
	v_add_u32_e32 v11, 32, v0
	v_cmp_gt_u32_e64 s[0:1], s14, v11
	s_and_saveexec_b64 s[4:5], s[0:1]
	s_cbranch_execz .LBB142_19
; %bb.18:
	v_add_u32_e32 v24, v11, v23
	v_mov_b32_e32 v25, 0
	v_lshlrev_b64 v[24:25], 1, v[24:25]
	s_waitcnt lgkmcnt(0)
	v_mov_b32_e32 v26, s13
	v_add_co_u32_e64 v24, s[2:3], s12, v24
	v_addc_co_u32_e64 v25, s[2:3], v26, v25, s[2:3]
	global_store_short v[24:25], v12, off
.LBB142_19:
	s_or_b64 exec, exec, s[4:5]
	v_add_u32_e32 v12, 64, v0
	v_cmp_gt_u32_e64 s[2:3], s14, v12
	s_and_saveexec_b64 s[6:7], s[2:3]
	;; [unrolled: 15-line block ×3, first 2 shown]
	s_cbranch_execz .LBB142_23
; %bb.22:
	v_add_u32_e32 v23, v13, v23
	v_mov_b32_e32 v24, 0
	v_lshlrev_b64 v[23:24], 1, v[23:24]
	s_waitcnt lgkmcnt(0)
	v_mov_b32_e32 v25, s13
	v_add_co_u32_e64 v23, s[6:7], s12, v23
	v_addc_co_u32_e64 v24, s[6:7], v25, v24, s[6:7]
	global_store_short v[23:24], v54, off
.LBB142_23:
	s_or_b64 exec, exec, s[8:9]
	v_add3_u32 v23, v1, s15, 8
	v_cmp_gt_u32_e64 s[6:7], s10, v23
	s_and_b64 exec, exec, s[6:7]
	s_cbranch_execz .LBB142_65
; %bb.24:
	v_mul_lo_u32 v23, v23, s14
	s_and_saveexec_b64 s[8:9], vcc
	s_cbranch_execnz .LBB142_66
; %bb.25:
	s_or_b64 exec, exec, s[8:9]
	s_and_saveexec_b64 s[8:9], s[0:1]
	s_cbranch_execnz .LBB142_67
.LBB142_26:
	s_or_b64 exec, exec, s[8:9]
	s_and_saveexec_b64 s[8:9], s[2:3]
	s_cbranch_execnz .LBB142_68
.LBB142_27:
	s_or_b64 exec, exec, s[8:9]
	s_and_saveexec_b64 s[8:9], s[4:5]
	s_cbranch_execz .LBB142_29
.LBB142_28:
	v_add_u32_e32 v23, v23, v13
	v_mov_b32_e32 v24, 0
	v_lshlrev_b64 v[23:24], 1, v[23:24]
	s_waitcnt lgkmcnt(0)
	v_mov_b32_e32 v25, s13
	v_add_co_u32_e64 v23, s[6:7], s12, v23
	v_addc_co_u32_e64 v24, s[6:7], v25, v24, s[6:7]
	global_store_short v[23:24], v49, off
.LBB142_29:
	s_or_b64 exec, exec, s[8:9]
	v_add3_u32 v23, v1, s15, 16
	v_cmp_gt_u32_e64 s[6:7], s10, v23
	s_and_b64 exec, exec, s[6:7]
	s_cbranch_execz .LBB142_65
; %bb.30:
	v_mul_lo_u32 v23, v23, s14
	s_and_saveexec_b64 s[8:9], vcc
	s_cbranch_execnz .LBB142_69
; %bb.31:
	s_or_b64 exec, exec, s[8:9]
	s_and_saveexec_b64 s[8:9], s[0:1]
	s_cbranch_execnz .LBB142_70
.LBB142_32:
	s_or_b64 exec, exec, s[8:9]
	s_and_saveexec_b64 s[8:9], s[2:3]
	s_cbranch_execnz .LBB142_71
.LBB142_33:
	s_or_b64 exec, exec, s[8:9]
	s_and_saveexec_b64 s[8:9], s[4:5]
	s_cbranch_execz .LBB142_35
.LBB142_34:
	v_add_u32_e32 v23, v23, v13
	v_mov_b32_e32 v24, 0
	v_lshlrev_b64 v[23:24], 1, v[23:24]
	s_waitcnt lgkmcnt(0)
	v_mov_b32_e32 v25, s13
	v_add_co_u32_e64 v23, s[6:7], s12, v23
	v_addc_co_u32_e64 v24, s[6:7], v25, v24, s[6:7]
	global_store_short v[23:24], v41, off
.LBB142_35:
	s_or_b64 exec, exec, s[8:9]
	v_add3_u32 v23, v1, s15, 24
	v_cmp_gt_u32_e64 s[6:7], s10, v23
	s_and_b64 exec, exec, s[6:7]
	s_cbranch_execz .LBB142_65
; %bb.36:
	v_mul_lo_u32 v23, v23, s14
	s_and_saveexec_b64 s[8:9], vcc
	s_cbranch_execnz .LBB142_72
; %bb.37:
	s_or_b64 exec, exec, s[8:9]
	s_and_saveexec_b64 s[8:9], s[0:1]
	s_cbranch_execnz .LBB142_73
.LBB142_38:
	s_or_b64 exec, exec, s[8:9]
	s_and_saveexec_b64 s[8:9], s[2:3]
	s_cbranch_execnz .LBB142_74
.LBB142_39:
	s_or_b64 exec, exec, s[8:9]
	s_and_saveexec_b64 s[8:9], s[4:5]
	s_cbranch_execz .LBB142_41
.LBB142_40:
	v_add_u32_e32 v22, v23, v13
	v_mov_b32_e32 v23, 0
	v_lshlrev_b64 v[22:23], 1, v[22:23]
	s_waitcnt lgkmcnt(0)
	v_mov_b32_e32 v24, s13
	v_add_co_u32_e64 v22, s[6:7], s12, v22
	v_addc_co_u32_e64 v23, s[6:7], v24, v23, s[6:7]
	global_store_short v[22:23], v21, off
.LBB142_41:
	s_or_b64 exec, exec, s[8:9]
	v_add3_u32 v21, v1, s15, 32
	v_cmp_gt_u32_e64 s[6:7], s10, v21
	s_and_b64 exec, exec, s[6:7]
	s_cbranch_execz .LBB142_65
; %bb.42:
	v_mul_lo_u32 v21, v21, s14
	s_and_saveexec_b64 s[8:9], vcc
	s_cbranch_execnz .LBB142_75
; %bb.43:
	s_or_b64 exec, exec, s[8:9]
	s_and_saveexec_b64 s[8:9], s[0:1]
	s_cbranch_execnz .LBB142_76
.LBB142_44:
	s_or_b64 exec, exec, s[8:9]
	s_and_saveexec_b64 s[8:9], s[2:3]
	s_cbranch_execnz .LBB142_77
.LBB142_45:
	s_or_b64 exec, exec, s[8:9]
	s_and_saveexec_b64 s[8:9], s[4:5]
	s_cbranch_execz .LBB142_47
.LBB142_46:
	v_add_u32_e32 v18, v21, v13
	v_mov_b32_e32 v19, 0
	v_lshlrev_b64 v[18:19], 1, v[18:19]
	s_waitcnt lgkmcnt(0)
	v_mov_b32_e32 v20, s13
	v_add_co_u32_e64 v18, s[6:7], s12, v18
	v_addc_co_u32_e64 v19, s[6:7], v20, v19, s[6:7]
	global_store_short v[18:19], v17, off
.LBB142_47:
	s_or_b64 exec, exec, s[8:9]
	v_add3_u32 v17, v1, s15, 40
	v_cmp_gt_u32_e64 s[6:7], s10, v17
	s_and_b64 exec, exec, s[6:7]
	s_cbranch_execz .LBB142_65
; %bb.48:
	v_mul_lo_u32 v17, v17, s14
	s_and_saveexec_b64 s[8:9], vcc
	s_cbranch_execnz .LBB142_78
; %bb.49:
	s_or_b64 exec, exec, s[8:9]
	s_and_saveexec_b64 s[8:9], s[0:1]
	s_cbranch_execnz .LBB142_79
.LBB142_50:
	s_or_b64 exec, exec, s[8:9]
	s_and_saveexec_b64 s[8:9], s[2:3]
	s_cbranch_execnz .LBB142_80
.LBB142_51:
	s_or_b64 exec, exec, s[8:9]
	s_and_saveexec_b64 s[8:9], s[4:5]
	s_cbranch_execz .LBB142_53
.LBB142_52:
	v_add_u32_e32 v14, v17, v13
	v_mov_b32_e32 v15, 0
	v_lshlrev_b64 v[14:15], 1, v[14:15]
	s_waitcnt lgkmcnt(0)
	v_mov_b32_e32 v16, s13
	v_add_co_u32_e64 v14, s[6:7], s12, v14
	v_addc_co_u32_e64 v15, s[6:7], v16, v15, s[6:7]
	global_store_short v[14:15], v10, off
.LBB142_53:
	s_or_b64 exec, exec, s[8:9]
	v_add3_u32 v10, v1, s15, 48
	v_cmp_gt_u32_e64 s[6:7], s10, v10
	s_and_b64 exec, exec, s[6:7]
	s_cbranch_execz .LBB142_65
; %bb.54:
	v_mul_lo_u32 v10, v10, s14
	s_and_saveexec_b64 s[8:9], vcc
	s_cbranch_execnz .LBB142_81
; %bb.55:
	s_or_b64 exec, exec, s[8:9]
	s_and_saveexec_b64 s[8:9], s[0:1]
	s_cbranch_execnz .LBB142_82
.LBB142_56:
	s_or_b64 exec, exec, s[8:9]
	s_and_saveexec_b64 s[8:9], s[2:3]
	s_cbranch_execnz .LBB142_83
.LBB142_57:
	s_or_b64 exec, exec, s[8:9]
	s_and_saveexec_b64 s[8:9], s[4:5]
	s_cbranch_execz .LBB142_59
.LBB142_58:
	v_add_u32_e32 v7, v10, v13
	v_mov_b32_e32 v8, 0
	v_lshlrev_b64 v[7:8], 1, v[7:8]
	s_waitcnt lgkmcnt(0)
	v_mov_b32_e32 v9, s13
	v_add_co_u32_e64 v7, s[6:7], s12, v7
	v_addc_co_u32_e64 v8, s[6:7], v9, v8, s[6:7]
	global_store_short v[7:8], v6, off
.LBB142_59:
	s_or_b64 exec, exec, s[8:9]
	v_add3_u32 v1, v1, s15, 56
	v_cmp_gt_u32_e64 s[6:7], s10, v1
	s_and_b64 exec, exec, s[6:7]
	s_cbranch_execz .LBB142_65
; %bb.60:
	v_mul_lo_u32 v1, v1, s14
	s_and_saveexec_b64 s[6:7], vcc
	s_cbranch_execnz .LBB142_84
; %bb.61:
	s_or_b64 exec, exec, s[6:7]
	s_and_saveexec_b64 s[6:7], s[0:1]
	s_cbranch_execnz .LBB142_85
.LBB142_62:
	s_or_b64 exec, exec, s[6:7]
	s_and_saveexec_b64 s[0:1], s[2:3]
	s_cbranch_execnz .LBB142_86
.LBB142_63:
	s_or_b64 exec, exec, s[0:1]
	s_and_b64 exec, exec, s[4:5]
	s_cbranch_execz .LBB142_65
.LBB142_64:
	v_add_u32_e32 v0, v1, v13
	v_mov_b32_e32 v1, 0
	v_lshlrev_b64 v[0:1], 1, v[0:1]
	s_waitcnt lgkmcnt(0)
	v_mov_b32_e32 v3, s13
	v_add_co_u32_e32 v0, vcc, s12, v0
	v_addc_co_u32_e32 v1, vcc, v3, v1, vcc
	global_store_short v[0:1], v2, off
.LBB142_65:
	s_endpgm
.LBB142_66:
	v_add_u32_e32 v24, v23, v0
	v_mov_b32_e32 v25, 0
	v_lshlrev_b64 v[24:25], 1, v[24:25]
	s_waitcnt lgkmcnt(0)
	v_mov_b32_e32 v26, s13
	v_add_co_u32_e64 v24, s[6:7], s12, v24
	v_addc_co_u32_e64 v25, s[6:7], v26, v25, s[6:7]
	global_store_short v[24:25], v53, off
	s_or_b64 exec, exec, s[8:9]
	s_and_saveexec_b64 s[8:9], s[0:1]
	s_cbranch_execz .LBB142_26
.LBB142_67:
	v_add_u32_e32 v24, v23, v11
	v_mov_b32_e32 v25, 0
	v_lshlrev_b64 v[24:25], 1, v[24:25]
	s_waitcnt lgkmcnt(0)
	v_mov_b32_e32 v26, s13
	v_add_co_u32_e64 v24, s[6:7], s12, v24
	v_addc_co_u32_e64 v25, s[6:7], v26, v25, s[6:7]
	global_store_short v[24:25], v51, off
	s_or_b64 exec, exec, s[8:9]
	s_and_saveexec_b64 s[8:9], s[2:3]
	s_cbranch_execz .LBB142_27
.LBB142_68:
	v_add_u32_e32 v24, v23, v12
	v_mov_b32_e32 v25, 0
	v_lshlrev_b64 v[24:25], 1, v[24:25]
	s_waitcnt lgkmcnt(0)
	v_mov_b32_e32 v26, s13
	v_add_co_u32_e64 v24, s[6:7], s12, v24
	v_addc_co_u32_e64 v25, s[6:7], v26, v25, s[6:7]
	global_store_short v[24:25], v50, off
	s_or_b64 exec, exec, s[8:9]
	s_and_saveexec_b64 s[8:9], s[4:5]
	s_cbranch_execnz .LBB142_28
	s_branch .LBB142_29
.LBB142_69:
	v_add_u32_e32 v24, v23, v0
	v_mov_b32_e32 v25, 0
	v_lshlrev_b64 v[24:25], 1, v[24:25]
	s_waitcnt lgkmcnt(0)
	v_mov_b32_e32 v26, s13
	v_add_co_u32_e64 v24, s[6:7], s12, v24
	v_addc_co_u32_e64 v25, s[6:7], v26, v25, s[6:7]
	global_store_short v[24:25], v48, off
	s_or_b64 exec, exec, s[8:9]
	s_and_saveexec_b64 s[8:9], s[0:1]
	s_cbranch_execz .LBB142_32
.LBB142_70:
	v_add_u32_e32 v24, v23, v11
	v_mov_b32_e32 v25, 0
	v_lshlrev_b64 v[24:25], 1, v[24:25]
	s_waitcnt lgkmcnt(0)
	v_mov_b32_e32 v26, s13
	v_add_co_u32_e64 v24, s[6:7], s12, v24
	v_addc_co_u32_e64 v25, s[6:7], v26, v25, s[6:7]
	global_store_short v[24:25], v47, off
	s_or_b64 exec, exec, s[8:9]
	s_and_saveexec_b64 s[8:9], s[2:3]
	s_cbranch_execz .LBB142_33
.LBB142_71:
	v_add_u32_e32 v24, v23, v12
	v_mov_b32_e32 v25, 0
	v_lshlrev_b64 v[24:25], 1, v[24:25]
	s_waitcnt lgkmcnt(0)
	v_mov_b32_e32 v26, s13
	v_add_co_u32_e64 v24, s[6:7], s12, v24
	v_addc_co_u32_e64 v25, s[6:7], v26, v25, s[6:7]
	global_store_short v[24:25], v43, off
	s_or_b64 exec, exec, s[8:9]
	s_and_saveexec_b64 s[8:9], s[4:5]
	s_cbranch_execnz .LBB142_34
	s_branch .LBB142_35
.LBB142_72:
	v_add_u32_e32 v24, v23, v0
	v_mov_b32_e32 v25, 0
	v_lshlrev_b64 v[24:25], 1, v[24:25]
	s_waitcnt lgkmcnt(0)
	v_mov_b32_e32 v26, s13
	v_add_co_u32_e64 v24, s[6:7], s12, v24
	v_addc_co_u32_e64 v25, s[6:7], v26, v25, s[6:7]
	global_store_short v[24:25], v38, off
	s_or_b64 exec, exec, s[8:9]
	s_and_saveexec_b64 s[8:9], s[0:1]
	s_cbranch_execz .LBB142_38
.LBB142_73:
	v_add_u32_e32 v24, v23, v11
	v_mov_b32_e32 v25, 0
	v_lshlrev_b64 v[24:25], 1, v[24:25]
	s_waitcnt lgkmcnt(0)
	v_mov_b32_e32 v26, s13
	v_add_co_u32_e64 v24, s[6:7], s12, v24
	v_addc_co_u32_e64 v25, s[6:7], v26, v25, s[6:7]
	global_store_short v[24:25], v37, off
	s_or_b64 exec, exec, s[8:9]
	s_and_saveexec_b64 s[8:9], s[2:3]
	s_cbranch_execz .LBB142_39
.LBB142_74:
	v_add_u32_e32 v24, v23, v12
	v_mov_b32_e32 v25, 0
	v_lshlrev_b64 v[24:25], 1, v[24:25]
	s_waitcnt lgkmcnt(0)
	v_mov_b32_e32 v26, s13
	v_add_co_u32_e64 v24, s[6:7], s12, v24
	v_addc_co_u32_e64 v25, s[6:7], v26, v25, s[6:7]
	global_store_short v[24:25], v22, off
	s_or_b64 exec, exec, s[8:9]
	s_and_saveexec_b64 s[8:9], s[4:5]
	s_cbranch_execnz .LBB142_40
	s_branch .LBB142_41
.LBB142_75:
	v_add_u32_e32 v22, v21, v0
	v_mov_b32_e32 v23, 0
	v_lshlrev_b64 v[22:23], 1, v[22:23]
	s_waitcnt lgkmcnt(0)
	v_mov_b32_e32 v24, s13
	v_add_co_u32_e64 v22, s[6:7], s12, v22
	v_addc_co_u32_e64 v23, s[6:7], v24, v23, s[6:7]
	global_store_short v[22:23], v20, off
	s_or_b64 exec, exec, s[8:9]
	s_and_saveexec_b64 s[8:9], s[0:1]
	s_cbranch_execz .LBB142_44
.LBB142_76:
	v_add_u32_e32 v22, v21, v11
	v_mov_b32_e32 v23, 0
	v_lshlrev_b64 v[22:23], 1, v[22:23]
	s_waitcnt lgkmcnt(0)
	v_mov_b32_e32 v20, s13
	v_add_co_u32_e64 v22, s[6:7], s12, v22
	v_addc_co_u32_e64 v23, s[6:7], v20, v23, s[6:7]
	global_store_short v[22:23], v19, off
	s_or_b64 exec, exec, s[8:9]
	s_and_saveexec_b64 s[8:9], s[2:3]
	s_cbranch_execz .LBB142_45
.LBB142_77:
	v_add_u32_e32 v19, v21, v12
	v_mov_b32_e32 v20, 0
	v_lshlrev_b64 v[19:20], 1, v[19:20]
	s_waitcnt lgkmcnt(0)
	v_mov_b32_e32 v22, s13
	v_add_co_u32_e64 v19, s[6:7], s12, v19
	v_addc_co_u32_e64 v20, s[6:7], v22, v20, s[6:7]
	global_store_short v[19:20], v18, off
	s_or_b64 exec, exec, s[8:9]
	s_and_saveexec_b64 s[8:9], s[4:5]
	s_cbranch_execnz .LBB142_46
	s_branch .LBB142_47
.LBB142_78:
	v_add_u32_e32 v18, v17, v0
	v_mov_b32_e32 v19, 0
	v_lshlrev_b64 v[18:19], 1, v[18:19]
	s_waitcnt lgkmcnt(0)
	v_mov_b32_e32 v20, s13
	v_add_co_u32_e64 v18, s[6:7], s12, v18
	v_addc_co_u32_e64 v19, s[6:7], v20, v19, s[6:7]
	global_store_short v[18:19], v16, off
	s_or_b64 exec, exec, s[8:9]
	s_and_saveexec_b64 s[8:9], s[0:1]
	s_cbranch_execz .LBB142_50
.LBB142_79:
	v_add_u32_e32 v18, v17, v11
	v_mov_b32_e32 v19, 0
	v_lshlrev_b64 v[18:19], 1, v[18:19]
	s_waitcnt lgkmcnt(0)
	v_mov_b32_e32 v16, s13
	v_add_co_u32_e64 v18, s[6:7], s12, v18
	v_addc_co_u32_e64 v19, s[6:7], v16, v19, s[6:7]
	global_store_short v[18:19], v15, off
	s_or_b64 exec, exec, s[8:9]
	s_and_saveexec_b64 s[8:9], s[2:3]
	s_cbranch_execz .LBB142_51
.LBB142_80:
	v_add_u32_e32 v15, v17, v12
	v_mov_b32_e32 v16, 0
	v_lshlrev_b64 v[15:16], 1, v[15:16]
	s_waitcnt lgkmcnt(0)
	v_mov_b32_e32 v18, s13
	v_add_co_u32_e64 v15, s[6:7], s12, v15
	v_addc_co_u32_e64 v16, s[6:7], v18, v16, s[6:7]
	global_store_short v[15:16], v14, off
	s_or_b64 exec, exec, s[8:9]
	s_and_saveexec_b64 s[8:9], s[4:5]
	s_cbranch_execnz .LBB142_52
	s_branch .LBB142_53
.LBB142_81:
	v_add_u32_e32 v14, v10, v0
	v_mov_b32_e32 v15, 0
	v_lshlrev_b64 v[14:15], 1, v[14:15]
	s_waitcnt lgkmcnt(0)
	v_mov_b32_e32 v16, s13
	v_add_co_u32_e64 v14, s[6:7], s12, v14
	v_addc_co_u32_e64 v15, s[6:7], v16, v15, s[6:7]
	global_store_short v[14:15], v9, off
	s_or_b64 exec, exec, s[8:9]
	s_and_saveexec_b64 s[8:9], s[0:1]
	s_cbranch_execz .LBB142_56
.LBB142_82:
	v_add_u32_e32 v14, v10, v11
	v_mov_b32_e32 v15, 0
	v_lshlrev_b64 v[14:15], 1, v[14:15]
	s_waitcnt lgkmcnt(0)
	v_mov_b32_e32 v9, s13
	v_add_co_u32_e64 v14, s[6:7], s12, v14
	v_addc_co_u32_e64 v15, s[6:7], v9, v15, s[6:7]
	global_store_short v[14:15], v8, off
	s_or_b64 exec, exec, s[8:9]
	s_and_saveexec_b64 s[8:9], s[2:3]
	s_cbranch_execz .LBB142_57
.LBB142_83:
	v_add_u32_e32 v8, v10, v12
	v_mov_b32_e32 v9, 0
	v_lshlrev_b64 v[8:9], 1, v[8:9]
	s_waitcnt lgkmcnt(0)
	v_mov_b32_e32 v14, s13
	v_add_co_u32_e64 v8, s[6:7], s12, v8
	v_addc_co_u32_e64 v9, s[6:7], v14, v9, s[6:7]
	global_store_short v[8:9], v7, off
	s_or_b64 exec, exec, s[8:9]
	s_and_saveexec_b64 s[8:9], s[4:5]
	s_cbranch_execnz .LBB142_58
	s_branch .LBB142_59
.LBB142_84:
	v_add_u32_e32 v6, v1, v0
	v_mov_b32_e32 v7, 0
	v_lshlrev_b64 v[6:7], 1, v[6:7]
	s_waitcnt lgkmcnt(0)
	v_mov_b32_e32 v0, s13
	v_add_co_u32_e32 v6, vcc, s12, v6
	v_addc_co_u32_e32 v7, vcc, v0, v7, vcc
	global_store_short v[6:7], v5, off
	s_or_b64 exec, exec, s[6:7]
	s_and_saveexec_b64 s[6:7], s[0:1]
	s_cbranch_execz .LBB142_62
.LBB142_85:
	v_add_u32_e32 v5, v1, v11
	v_mov_b32_e32 v6, 0
	v_lshlrev_b64 v[5:6], 1, v[5:6]
	s_waitcnt lgkmcnt(0)
	v_mov_b32_e32 v0, s13
	v_add_co_u32_e32 v5, vcc, s12, v5
	v_addc_co_u32_e32 v6, vcc, v0, v6, vcc
	global_store_short v[5:6], v4, off
	s_or_b64 exec, exec, s[6:7]
	s_and_saveexec_b64 s[0:1], s[2:3]
	s_cbranch_execz .LBB142_63
.LBB142_86:
	v_add_u32_e32 v4, v1, v12
	v_mov_b32_e32 v5, 0
	v_lshlrev_b64 v[4:5], 1, v[4:5]
	s_waitcnt lgkmcnt(0)
	v_mov_b32_e32 v0, s13
	v_add_co_u32_e32 v4, vcc, s12, v4
	v_addc_co_u32_e32 v5, vcc, v0, v5, vcc
	global_store_short v[4:5], v3, off
	s_or_b64 exec, exec, s[0:1]
	s_and_b64 exec, exec, s[4:5]
	s_cbranch_execnz .LBB142_64
	s_branch .LBB142_65
	.section	.rodata,"a",@progbits
	.p2align	6, 0x0
	.amdhsa_kernel _ZL12mul_mat_q5_0IN3c104HalfELb1EEvPKvS3_PT_iiiii
		.amdhsa_group_segment_fixed_size 46720
		.amdhsa_private_segment_fixed_size 0
		.amdhsa_kernarg_size 44
		.amdhsa_user_sgpr_count 6
		.amdhsa_user_sgpr_private_segment_buffer 1
		.amdhsa_user_sgpr_dispatch_ptr 0
		.amdhsa_user_sgpr_queue_ptr 0
		.amdhsa_user_sgpr_kernarg_segment_ptr 1
		.amdhsa_user_sgpr_dispatch_id 0
		.amdhsa_user_sgpr_flat_scratch_init 0
		.amdhsa_user_sgpr_private_segment_size 0
		.amdhsa_uses_dynamic_stack 0
		.amdhsa_system_sgpr_private_segment_wavefront_offset 0
		.amdhsa_system_sgpr_workgroup_id_x 1
		.amdhsa_system_sgpr_workgroup_id_y 1
		.amdhsa_system_sgpr_workgroup_id_z 0
		.amdhsa_system_sgpr_workgroup_info 0
		.amdhsa_system_vgpr_workitem_id 1
		.amdhsa_next_free_vgpr 176
		.amdhsa_next_free_sgpr 98
		.amdhsa_reserve_vcc 1
		.amdhsa_reserve_flat_scratch 0
		.amdhsa_float_round_mode_32 0
		.amdhsa_float_round_mode_16_64 0
		.amdhsa_float_denorm_mode_32 3
		.amdhsa_float_denorm_mode_16_64 3
		.amdhsa_dx10_clamp 1
		.amdhsa_ieee_mode 1
		.amdhsa_fp16_overflow 0
		.amdhsa_exception_fp_ieee_invalid_op 0
		.amdhsa_exception_fp_denorm_src 0
		.amdhsa_exception_fp_ieee_div_zero 0
		.amdhsa_exception_fp_ieee_overflow 0
		.amdhsa_exception_fp_ieee_underflow 0
		.amdhsa_exception_fp_ieee_inexact 0
		.amdhsa_exception_int_div_zero 0
	.end_amdhsa_kernel
	.section	.text._ZL12mul_mat_q5_0IN3c104HalfELb1EEvPKvS3_PT_iiiii,"axG",@progbits,_ZL12mul_mat_q5_0IN3c104HalfELb1EEvPKvS3_PT_iiiii,comdat
.Lfunc_end142:
	.size	_ZL12mul_mat_q5_0IN3c104HalfELb1EEvPKvS3_PT_iiiii, .Lfunc_end142-_ZL12mul_mat_q5_0IN3c104HalfELb1EEvPKvS3_PT_iiiii
                                        ; -- End function
	.set _ZL12mul_mat_q5_0IN3c104HalfELb1EEvPKvS3_PT_iiiii.num_vgpr, 176
	.set _ZL12mul_mat_q5_0IN3c104HalfELb1EEvPKvS3_PT_iiiii.num_agpr, 0
	.set _ZL12mul_mat_q5_0IN3c104HalfELb1EEvPKvS3_PT_iiiii.numbered_sgpr, 20
	.set _ZL12mul_mat_q5_0IN3c104HalfELb1EEvPKvS3_PT_iiiii.num_named_barrier, 0
	.set _ZL12mul_mat_q5_0IN3c104HalfELb1EEvPKvS3_PT_iiiii.private_seg_size, 0
	.set _ZL12mul_mat_q5_0IN3c104HalfELb1EEvPKvS3_PT_iiiii.uses_vcc, 1
	.set _ZL12mul_mat_q5_0IN3c104HalfELb1EEvPKvS3_PT_iiiii.uses_flat_scratch, 0
	.set _ZL12mul_mat_q5_0IN3c104HalfELb1EEvPKvS3_PT_iiiii.has_dyn_sized_stack, 0
	.set _ZL12mul_mat_q5_0IN3c104HalfELb1EEvPKvS3_PT_iiiii.has_recursion, 0
	.set _ZL12mul_mat_q5_0IN3c104HalfELb1EEvPKvS3_PT_iiiii.has_indirect_call, 0
	.section	.AMDGPU.csdata,"",@progbits
; Kernel info:
; codeLenInByte = 17036
; TotalNumSgprs: 24
; NumVgprs: 176
; ScratchSize: 0
; MemoryBound: 0
; FloatMode: 240
; IeeeMode: 1
; LDSByteSize: 46720 bytes/workgroup (compile time only)
; SGPRBlocks: 12
; VGPRBlocks: 43
; NumSGPRsForWavesPerEU: 102
; NumVGPRsForWavesPerEU: 176
; Occupancy: 1
; WaveLimiterHint : 0
; COMPUTE_PGM_RSRC2:SCRATCH_EN: 0
; COMPUTE_PGM_RSRC2:USER_SGPR: 6
; COMPUTE_PGM_RSRC2:TRAP_HANDLER: 0
; COMPUTE_PGM_RSRC2:TGID_X_EN: 1
; COMPUTE_PGM_RSRC2:TGID_Y_EN: 1
; COMPUTE_PGM_RSRC2:TGID_Z_EN: 0
; COMPUTE_PGM_RSRC2:TIDIG_COMP_CNT: 1
	.section	.text._ZL12mul_mat_q5_1IN3c104HalfELb0EEvPKvS3_PT_iiiii,"axG",@progbits,_ZL12mul_mat_q5_1IN3c104HalfELb0EEvPKvS3_PT_iiiii,comdat
	.globl	_ZL12mul_mat_q5_1IN3c104HalfELb0EEvPKvS3_PT_iiiii ; -- Begin function _ZL12mul_mat_q5_1IN3c104HalfELb0EEvPKvS3_PT_iiiii
	.p2align	8
	.type	_ZL12mul_mat_q5_1IN3c104HalfELb0EEvPKvS3_PT_iiiii,@function
_ZL12mul_mat_q5_1IN3c104HalfELb0EEvPKvS3_PT_iiiii: ; @_ZL12mul_mat_q5_1IN3c104HalfELb0EEvPKvS3_PT_iiiii
; %bb.0:
	s_load_dword s14, s[4:5], 0x18
	s_load_dwordx4 s[8:11], s[4:5], 0x20
	s_waitcnt lgkmcnt(0)
	s_lshl_b32 s11, s7, 6
	v_add_u32_e32 v37, s11, v1
	s_cmp_gt_i32 s14, 31
	s_cbranch_scc1 .LBB143_2
; %bb.1:
	v_add_u32_e32 v34, s11, v1
	s_mov_b64 s[0:1], 0
	s_branch .LBB143_3
.LBB143_2:
	s_mov_b64 s[0:1], -1
                                        ; implicit-def: $vgpr34
.LBB143_3:
	s_load_dwordx2 s[12:13], s[4:5], 0x10
	s_lshl_b32 s6, s6, 7
	v_mov_b32_e32 v2, 0
	s_andn2_b64 vcc, exec, s[0:1]
	v_mov_b32_e32 v6, 0
	v_mov_b32_e32 v10, 0
	;; [unrolled: 1-line block ×31, first 2 shown]
	s_cbranch_vccnz .LBB143_14
; %bb.4:
	s_load_dwordx4 s[0:3], s[4:5], 0x0
	s_ashr_i32 s4, s14, 31
	s_lshr_b32 s4, s4, 27
	s_ashr_i32 s5, s9, 31
	s_add_i32 s14, s14, s4
	s_lshr_b32 s5, s5, 27
	s_ashr_i32 s4, s14, 5
	s_add_i32 s5, s9, s5
	s_ashr_i32 s16, s5, 5
	s_mul_i32 s5, s4, s6
	v_mul_lo_u32 v41, s4, v1
	s_mul_hi_i32 s7, s5, 24
	s_mul_i32 s5, s5, 24
	s_waitcnt lgkmcnt(0)
	s_add_u32 s5, s0, s5
	s_addc_u32 s7, s1, s7
	s_lshl_b32 s1, s4, 3
	v_add_u32_e32 v43, s1, v41
	v_add_u32_e32 v45, s1, v43
	;; [unrolled: 1-line block ×12, first 2 shown]
	v_lshlrev_b32_e32 v3, 3, v0
	s_movk_i32 s0, 0x104
	v_add_u32_e32 v67, s1, v65
	v_lshrrev_b32_e32 v74, 3, v0
	v_mad_u32_u24 v42, v1, s0, v3
	v_add_u32_e32 v69, s1, v67
	v_and_b32_e32 v73, 7, v0
	v_lshl_add_u32 v3, v1, 2, v74
	v_add_u32_e32 v71, s1, v69
	v_and_b32_e32 v4, 0x7fc, v3
	v_lshlrev_b32_e32 v5, 2, v73
	s_mov_b32 s1, 0xa200
	v_add3_u32 v16, v4, v5, s1
	v_add_u32_e32 v4, 32, v3
	v_mul_lo_u32 v75, s4, v3
	v_lshlrev_b32_e32 v17, 5, v3
	v_and_b32_e32 v6, 0xffc, v4
	v_lshlrev_b32_e32 v19, 5, v4
	v_add_u32_e32 v4, 64, v3
	v_add_u32_e32 v3, 0x60, v3
	v_add3_u32 v18, v6, v5, s1
	v_and_b32_e32 v6, 0xffc, v4
	v_lshlrev_b32_e32 v21, 5, v4
	v_and_b32_e32 v4, 0xffc, v3
	v_add3_u32 v20, v6, v5, s1
	v_add3_u32 v22, v4, v5, s1
	s_add_i32 s1, s8, -1
	v_lshlrev_b32_e32 v6, 2, v0
	v_lshrrev_b32_e32 v38, 2, v0
	v_lshlrev_b32_e32 v23, 5, v3
	v_cvt_f64_i32_e32 v[4:5], s1
	v_and_b32_e32 v3, 31, v0
	v_and_b32_e32 v24, 28, v6
	v_mov_b32_e32 v8, 0x8200
	v_cvt_f64_u32_e32 v[6:7], v37
	v_lshl_or_b32 v25, v3, 2, v8
	v_lshl_add_u32 v3, v1, 3, v38
	v_and_b32_e32 v12, 63, v3
	v_add_u32_e32 v3, 8, v37
	v_cvt_f64_u32_e32 v[8:9], v3
	v_add_u32_e32 v3, 16, v37
	v_min_f64 v[6:7], v[6:7], v[4:5]
	v_cvt_f64_u32_e32 v[10:11], v3
	v_min_f64 v[8:9], v[8:9], v[4:5]
	s_andn2_b32 s14, s14, 31
	v_add_u32_e32 v76, s14, v75
	v_min_f64 v[10:11], v[10:11], v[4:5]
	v_or_b32_e32 v3, s11, v12
	v_and_b32_e32 v2, 3, v0
	v_add_u32_e32 v77, s14, v76
	v_min_i32_e32 v3, s1, v3
	v_cvt_i32_f64_e32 v6, v[6:7]
	v_lshlrev_b32_e32 v40, 2, v2
	v_add_u32_e32 v78, s14, v77
	v_mad_u64_u32 v[2:3], s[14:15], v3, s16, v[2:3]
	v_lshl_or_b32 v3, v12, 4, v40
	v_add_u32_e32 v79, 0xb280, v3
	v_cvt_i32_f64_e32 v3, v[8:9]
	v_mul_lo_u32 v80, s16, v6
	v_cvt_i32_f64_e32 v6, v[10:11]
	v_lshlrev_b32_e32 v26, 7, v1
	v_mul_lo_u32 v81, s16, v3
	v_add_u32_e32 v3, 24, v37
	v_mul_lo_u32 v82, s16, v6
	v_cvt_f64_u32_e32 v[6:7], v3
	v_add_u32_e32 v3, 32, v37
	v_cvt_f64_u32_e32 v[8:9], v3
	v_add_u32_e32 v3, 40, v37
	v_min_f64 v[6:7], v[6:7], v[4:5]
	v_cvt_f64_u32_e32 v[10:11], v3
	v_add_u32_e32 v3, 48, v37
	v_cvt_f64_u32_e32 v[12:13], v3
	v_add_u32_e32 v3, 56, v37
	v_cvt_f64_u32_e32 v[14:15], v3
	v_min_f64 v[8:9], v[8:9], v[4:5]
	v_min_f64 v[10:11], v[10:11], v[4:5]
	v_cvt_i32_f64_e32 v29, v[6:7]
	v_min_f64 v[6:7], v[12:13], v[4:5]
	v_min_f64 v[3:4], v[14:15], v[4:5]
	v_add_u32_e32 v12, 0x60, v0
	v_mul_lo_u32 v83, s16, v29
	v_lshlrev_b32_e32 v13, 5, v0
	v_cvt_i32_f64_e32 v8, v[8:9]
	v_cvt_i32_f64_e32 v9, v[10:11]
	v_add_u32_e32 v10, 32, v0
	v_cvt_i32_f64_e32 v6, v[6:7]
	v_cvt_i32_f64_e32 v3, v[3:4]
	v_mul_lo_u32 v84, s16, v8
	v_mul_lo_u32 v85, s16, v9
	;; [unrolled: 1-line block ×4, first 2 shown]
	v_add_u32_e32 v11, 64, v0
	v_lshrrev_b32_e32 v89, 3, v10
	v_and_b32_e32 v10, 0x1fc, v10
	v_and_b32_e32 v12, 0x1fc, v12
	;; [unrolled: 1-line block ×3, first 2 shown]
	v_add_u32_e32 v10, v13, v10
	v_and_b32_e32 v14, 0xfc, v0
	v_add_u32_e32 v27, 0x400, v26
	v_add_u32_e32 v28, 0x800, v26
	;; [unrolled: 1-line block ×7, first 2 shown]
	v_mov_b32_e32 v4, s3
	v_add_co_u32_e32 v3, vcc, s2, v24
	v_add_u32_e32 v12, v13, v12
	v_add_u32_e32 v11, v13, v11
	;; [unrolled: 1-line block ×4, first 2 shown]
	v_mov_b32_e32 v14, 0xb280
	v_add_u32_e32 v100, 0xa610, v10
	v_mov_b32_e32 v10, 0x80
	v_mov_b32_e32 v39, 0
	v_add_u32_e32 v44, 0x820, v42
	v_add_u32_e32 v46, 0x1040, v42
	;; [unrolled: 1-line block ×15, first 2 shown]
	s_add_i32 s9, s4, 3
	v_mul_u32_u24_e32 v88, 0x104, v0
	v_addc_co_u32_e32 v4, vcc, 0, v4, vcc
	v_add_u32_e32 v90, 0xae00, v12
	v_add_u32_e32 v91, 0xaa00, v11
	;; [unrolled: 1-line block ×3, first 2 shown]
	v_lshl_add_u32 v95, v1, 4, v14
	v_add_u32_e32 v96, 0x8200, v26
	v_add_u32_e32 v98, 0xae10, v12
	;; [unrolled: 1-line block ×4, first 2 shown]
	v_mad_u32_u24 v104, v0, s0, v10
	s_mov_b32 s14, 0
	v_add_u32_e32 v107, v16, v17
	v_add_u32_e32 v108, v18, v19
	v_add_u32_e32 v110, v20, v21
	v_add_u32_e32 v112, v22, v23
	v_add_u32_e32 v114, v25, v26
	v_add_u32_e32 v116, v25, v27
	v_add_u32_e32 v118, v25, v28
	v_add_u32_e32 v120, v25, v5
	v_add_u32_e32 v122, v25, v8
	v_add_u32_e32 v124, v25, v7
	v_add_u32_e32 v126, v25, v6
	v_add_u32_e32 v128, v25, v9
	v_mov_b32_e32 v121, 0
	v_mov_b32_e32 v115, 0
	v_mov_b32_e32 v109, 0
	v_mov_b32_e32 v105, 0
	v_mov_b32_e32 v101, 0
	v_mov_b32_e32 v97, 0
	v_mov_b32_e32 v94, 0
	v_mov_b32_e32 v135, 0
	v_mov_b32_e32 v132, 0
	v_mov_b32_e32 v129, 0
	v_mov_b32_e32 v123, 0
	v_mov_b32_e32 v117, 0
	v_mov_b32_e32 v111, 0
	v_mov_b32_e32 v106, 0
	v_mov_b32_e32 v103, 0
	v_mov_b32_e32 v140, 0
	v_mov_b32_e32 v138, 0
	v_mov_b32_e32 v136, 0
	v_mov_b32_e32 v133, 0
	v_mov_b32_e32 v130, 0
	v_mov_b32_e32 v125, 0
	v_mov_b32_e32 v119, 0
	v_mov_b32_e32 v113, 0
	v_mov_b32_e32 v143, 0
	v_mov_b32_e32 v142, 0
	v_mov_b32_e32 v141, 0
	v_mov_b32_e32 v139, 0
	v_mov_b32_e32 v137, 0
	v_mov_b32_e32 v134, 0
	v_mov_b32_e32 v131, 0
	v_mov_b32_e32 v127, 0
	s_branch .LBB143_6
.LBB143_5:                              ;   in Loop: Header=BB143_6 Depth=1
	s_add_i32 s14, s14, 8
	s_add_i32 s9, s9, -8
	s_cmp_ge_i32 s14, s4
	s_cbranch_scc1 .LBB143_13
.LBB143_6:                              ; =>This Loop Header: Depth=1
                                        ;     Child Loop BB143_8 Depth 2
                                        ;     Child Loop BB143_11 Depth 2
	s_mul_i32 s0, s14, 24
	s_mul_hi_u32 s1, s14, 24
	s_add_u32 s0, s5, s0
	s_addc_u32 s1, s7, s1
	v_mad_u64_u32 v[5:6], s[16:17], v38, 24, s[0:1]
	s_cmp_gt_u32 s9, 3
	v_mad_u64_u32 v[7:8], s[16:17], v41, 24, v[5:6]
	v_mad_u64_u32 v[13:14], s[16:17], v47, 24, v[5:6]
	v_add_co_u32_e32 v9, vcc, v7, v40
	v_mad_u64_u32 v[11:12], s[16:17], v45, 24, v[5:6]
	v_addc_co_u32_e32 v10, vcc, 0, v8, vcc
	v_mad_u64_u32 v[15:16], s[16:17], v43, 24, v[5:6]
	global_load_dword v23, v[9:10], off offset:8
	global_load_dword v24, v[13:14], off offset:4
	;; [unrolled: 1-line block ×4, first 2 shown]
                                        ; kill: killed $vgpr9 killed $vgpr10
	global_load_dword v27, v[7:8], off offset:4
	v_add_co_u32_e32 v7, vcc, v15, v40
	v_addc_co_u32_e32 v8, vcc, 0, v16, vcc
	global_load_dword v28, v[7:8], off offset:8
	v_add_co_u32_e32 v7, vcc, v11, v40
	v_addc_co_u32_e32 v8, vcc, 0, v12, vcc
	v_add_co_u32_e32 v9, vcc, v13, v40
	v_addc_co_u32_e32 v10, vcc, 0, v14, vcc
	global_load_dword v29, v[7:8], off offset:8
	global_load_dword v30, v[9:10], off offset:8
	v_mad_u64_u32 v[7:8], s[16:17], v49, 24, v[5:6]
	v_mad_u64_u32 v[9:10], s[16:17], v51, 24, v[5:6]
	;; [unrolled: 1-line block ×3, first 2 shown]
	v_add_co_u32_e32 v15, vcc, v7, v40
	v_addc_co_u32_e32 v16, vcc, 0, v8, vcc
	v_mad_u64_u32 v[13:14], s[16:17], v55, 24, v[5:6]
	v_add_co_u32_e32 v17, vcc, v9, v40
	v_addc_co_u32_e32 v18, vcc, 0, v10, vcc
	v_add_co_u32_e32 v19, vcc, v11, v40
	v_addc_co_u32_e32 v20, vcc, 0, v12, vcc
	;; [unrolled: 2-line block ×3, first 2 shown]
	global_load_dword v15, v[15:16], off offset:8
	s_nop 0
	global_load_dword v31, v[17:18], off offset:8
	global_load_dword v32, v[19:20], off offset:8
	;; [unrolled: 1-line block ×6, first 2 shown]
	s_nop 0
	global_load_dword v7, v[7:8], off offset:4
	s_waitcnt vmcnt(15)
	v_lshrrev_b32_e32 v10, 4, v23
	v_and_b32_e32 v9, 0xf0f0f0f, v23
	v_and_b32_e32 v10, 0xf0f0f0f, v10
	s_waitcnt vmcnt(12)
	v_ashrrev_i32_e32 v11, v40, v26
	v_lshlrev_b32_e32 v21, 4, v11
	s_waitcnt vmcnt(11)
	v_ashrrev_i32_e32 v8, v40, v27
	v_lshlrev_b32_e32 v13, 4, v8
	v_lshlrev_b32_e32 v14, 11, v8
	v_lshrrev_b32_e32 v18, 12, v8
	v_lshrrev_b32_e32 v19, 5, v8
	v_lshlrev_b32_e32 v16, 18, v8
	v_lshlrev_b32_e32 v17, 25, v8
	;; [unrolled: 1-line block ×4, first 2 shown]
	v_and_b32_e32 v13, 16, v13
	v_and_b32_e32 v14, 0x1000, v14
	;; [unrolled: 1-line block ×8, first 2 shown]
	v_or3_b32 v9, v13, v9, v14
	v_or3_b32 v10, v18, v10, v19
	;; [unrolled: 1-line block ×4, first 2 shown]
	ds_write2_b32 v42, v9, v8 offset1:1
	v_lshlrev_b32_e32 v9, 11, v11
	s_waitcnt vmcnt(10)
	v_and_b32_e32 v12, 0xf0f0f0f, v28
	v_and_b32_e32 v8, 16, v21
	;; [unrolled: 1-line block ×3, first 2 shown]
	v_or3_b32 v8, v8, v12, v9
	v_lshlrev_b32_e32 v9, 18, v11
	v_lshlrev_b32_e32 v10, 25, v11
	v_and_b32_e32 v9, 0x100000, v9
	v_and_b32_e32 v10, 0x10000000, v10
	v_or3_b32 v8, v8, v9, v10
	v_lshrrev_b32_e32 v9, 4, v28
	v_lshrrev_b32_e32 v10, 12, v11
	;; [unrolled: 1-line block ×3, first 2 shown]
	v_and_b32_e32 v9, 0xf0f0f0f, v9
	v_and_b32_e32 v10, 16, v10
	;; [unrolled: 1-line block ×3, first 2 shown]
	v_or3_b32 v9, v10, v9, v12
	v_lshlrev_b32_e32 v10, 2, v11
	v_lshlrev_b32_e32 v11, 9, v11
	v_and_b32_e32 v10, 0x100000, v10
	v_and_b32_e32 v11, 0x10000000, v11
	v_or3_b32 v9, v9, v10, v11
	ds_write2_b32 v44, v8, v9 offset1:1
	v_ashrrev_i32_e32 v8, v40, v25
	v_lshlrev_b32_e32 v10, 4, v8
	v_lshlrev_b32_e32 v11, 11, v8
	s_waitcnt vmcnt(9)
	v_and_b32_e32 v9, 0xf0f0f0f, v29
	v_and_b32_e32 v10, 16, v10
	v_and_b32_e32 v11, 0x1000, v11
	v_or3_b32 v9, v10, v9, v11
	v_lshlrev_b32_e32 v10, 18, v8
	v_lshlrev_b32_e32 v11, 25, v8
	v_and_b32_e32 v10, 0x100000, v10
	v_and_b32_e32 v11, 0x10000000, v11
	v_or3_b32 v9, v9, v10, v11
	v_lshrrev_b32_e32 v10, 4, v29
	v_lshrrev_b32_e32 v11, 12, v8
	;; [unrolled: 1-line block ×3, first 2 shown]
	v_and_b32_e32 v10, 0xf0f0f0f, v10
	v_and_b32_e32 v11, 16, v11
	;; [unrolled: 1-line block ×3, first 2 shown]
	v_or3_b32 v10, v11, v10, v12
	v_lshlrev_b32_e32 v11, 2, v8
	v_lshlrev_b32_e32 v8, 9, v8
	v_and_b32_e32 v11, 0x100000, v11
	v_and_b32_e32 v8, 0x10000000, v8
	v_or3_b32 v8, v10, v11, v8
	ds_write2_b32 v46, v9, v8 offset1:1
	v_ashrrev_i32_e32 v8, v40, v24
	v_lshlrev_b32_e32 v10, 4, v8
	v_lshlrev_b32_e32 v11, 11, v8
	s_waitcnt vmcnt(8)
	v_and_b32_e32 v9, 0xf0f0f0f, v30
	v_and_b32_e32 v10, 16, v10
	;; [unrolled: 1-line block ×3, first 2 shown]
	v_or3_b32 v9, v10, v9, v11
	v_lshlrev_b32_e32 v10, 18, v8
	v_lshlrev_b32_e32 v11, 25, v8
	v_and_b32_e32 v10, 0x100000, v10
	v_and_b32_e32 v11, 0x10000000, v11
	v_or3_b32 v9, v9, v10, v11
	v_lshrrev_b32_e32 v10, 4, v30
	v_lshrrev_b32_e32 v11, 12, v8
	;; [unrolled: 1-line block ×3, first 2 shown]
	v_and_b32_e32 v10, 0xf0f0f0f, v10
	v_and_b32_e32 v11, 16, v11
	;; [unrolled: 1-line block ×3, first 2 shown]
	v_or3_b32 v10, v11, v10, v12
	v_lshlrev_b32_e32 v11, 2, v8
	v_lshlrev_b32_e32 v8, 9, v8
	v_and_b32_e32 v11, 0x100000, v11
	v_and_b32_e32 v8, 0x10000000, v8
	v_or3_b32 v8, v10, v11, v8
	s_waitcnt vmcnt(0)
	v_ashrrev_i32_e32 v23, v40, v7
	ds_write2_b32 v48, v9, v8 offset1:1
	v_lshlrev_b32_e32 v8, 4, v23
	v_lshlrev_b32_e32 v9, 11, v23
	v_and_b32_e32 v7, 0xf0f0f0f, v15
	v_and_b32_e32 v8, 16, v8
	;; [unrolled: 1-line block ×3, first 2 shown]
	v_or3_b32 v7, v8, v7, v9
	v_lshlrev_b32_e32 v8, 18, v23
	v_lshlrev_b32_e32 v9, 25, v23
	v_and_b32_e32 v8, 0x100000, v8
	v_and_b32_e32 v9, 0x10000000, v9
	v_or3_b32 v24, v7, v8, v9
	v_lshrrev_b32_e32 v7, 4, v15
	v_lshrrev_b32_e32 v8, 12, v23
	;; [unrolled: 1-line block ×3, first 2 shown]
	v_and_b32_e32 v7, 0xf0f0f0f, v7
	v_and_b32_e32 v8, 16, v8
	;; [unrolled: 1-line block ×3, first 2 shown]
	v_or3_b32 v25, v8, v7, v9
	v_lshlrev_b32_e32 v7, 2, v23
	v_and_b32_e32 v26, 0x100000, v7
	v_mad_u64_u32 v[7:8], s[16:17], v57, 24, v[5:6]
	v_mad_u64_u32 v[9:10], s[16:17], v59, 24, v[5:6]
	v_add_co_u32_e32 v11, vcc, v7, v40
	v_mad_u64_u32 v[15:16], s[16:17], v61, 24, v[5:6]
	v_addc_co_u32_e32 v12, vcc, 0, v8, vcc
	v_add_co_u32_e32 v13, vcc, v9, v40
	v_mad_u64_u32 v[17:18], s[16:17], v63, 24, v[5:6]
	v_addc_co_u32_e32 v14, vcc, 0, v10, vcc
	v_add_co_u32_e32 v19, vcc, v15, v40
	v_addc_co_u32_e32 v20, vcc, 0, v16, vcc
	v_add_co_u32_e32 v21, vcc, v17, v40
	v_addc_co_u32_e32 v22, vcc, 0, v18, vcc
	global_load_dword v11, v[11:12], off offset:8
	s_nop 0
	global_load_dword v27, v[13:14], off offset:8
	global_load_dword v28, v[19:20], off offset:8
	s_nop 0
	global_load_dword v21, v[21:22], off offset:8
	s_nop 0
	global_load_dword v22, v[17:18], off offset:4
	global_load_dword v29, v[15:16], off offset:4
	;; [unrolled: 1-line block ×3, first 2 shown]
	s_nop 0
	global_load_dword v7, v[7:8], off offset:4
	v_lshlrev_b32_e32 v8, 9, v23
	v_and_b32_e32 v8, 0x10000000, v8
	v_or3_b32 v8, v25, v26, v8
	ds_write2_b32 v50, v24, v8 offset1:1
	v_ashrrev_i32_e32 v8, v40, v36
	v_lshlrev_b32_e32 v10, 4, v8
	v_lshlrev_b32_e32 v12, 11, v8
	v_and_b32_e32 v9, 0xf0f0f0f, v31
	v_and_b32_e32 v10, 16, v10
	v_and_b32_e32 v12, 0x1000, v12
	v_or3_b32 v9, v10, v9, v12
	v_lshlrev_b32_e32 v10, 18, v8
	v_lshlrev_b32_e32 v12, 25, v8
	v_and_b32_e32 v10, 0x100000, v10
	v_and_b32_e32 v12, 0x10000000, v12
	v_or3_b32 v9, v9, v10, v12
	v_lshrrev_b32_e32 v10, 4, v31
	v_lshrrev_b32_e32 v12, 12, v8
	v_lshrrev_b32_e32 v13, 5, v8
	v_and_b32_e32 v10, 0xf0f0f0f, v10
	v_and_b32_e32 v12, 16, v12
	v_and_b32_e32 v13, 0x1000, v13
	v_or3_b32 v10, v12, v10, v13
	v_lshlrev_b32_e32 v12, 2, v8
	v_lshlrev_b32_e32 v8, 9, v8
	v_and_b32_e32 v12, 0x100000, v12
	v_and_b32_e32 v8, 0x10000000, v8
	v_or3_b32 v8, v10, v12, v8
	ds_write2_b32 v52, v9, v8 offset1:1
	v_ashrrev_i32_e32 v8, v40, v35
	v_lshlrev_b32_e32 v10, 4, v8
	v_lshlrev_b32_e32 v12, 11, v8
	v_and_b32_e32 v9, 0xf0f0f0f, v32
	v_and_b32_e32 v10, 16, v10
	v_and_b32_e32 v12, 0x1000, v12
	v_or3_b32 v9, v10, v9, v12
	v_lshlrev_b32_e32 v10, 18, v8
	v_lshlrev_b32_e32 v12, 25, v8
	v_and_b32_e32 v10, 0x100000, v10
	v_and_b32_e32 v12, 0x10000000, v12
	v_or3_b32 v9, v9, v10, v12
	v_lshrrev_b32_e32 v10, 4, v32
	v_lshrrev_b32_e32 v12, 12, v8
	v_lshrrev_b32_e32 v13, 5, v8
	v_and_b32_e32 v10, 0xf0f0f0f, v10
	v_and_b32_e32 v12, 16, v12
	v_and_b32_e32 v13, 0x1000, v13
	v_or3_b32 v10, v12, v10, v13
	v_lshlrev_b32_e32 v12, 2, v8
	v_lshlrev_b32_e32 v8, 9, v8
	v_and_b32_e32 v12, 0x100000, v12
	v_and_b32_e32 v8, 0x10000000, v8
	v_or3_b32 v8, v10, v12, v8
	ds_write2_b32 v54, v9, v8 offset1:1
	v_ashrrev_i32_e32 v8, v40, v34
	v_lshlrev_b32_e32 v10, 4, v8
	v_lshlrev_b32_e32 v12, 11, v8
	v_and_b32_e32 v9, 0xf0f0f0f, v33
	v_and_b32_e32 v10, 16, v10
	v_and_b32_e32 v12, 0x1000, v12
	v_or3_b32 v9, v10, v9, v12
	v_lshlrev_b32_e32 v10, 18, v8
	v_lshlrev_b32_e32 v12, 25, v8
	v_and_b32_e32 v10, 0x100000, v10
	v_and_b32_e32 v12, 0x10000000, v12
	v_or3_b32 v9, v9, v10, v12
	v_lshrrev_b32_e32 v10, 4, v33
	v_lshrrev_b32_e32 v12, 12, v8
	v_lshrrev_b32_e32 v13, 5, v8
	v_and_b32_e32 v10, 0xf0f0f0f, v10
	v_and_b32_e32 v12, 16, v12
	v_and_b32_e32 v13, 0x1000, v13
	v_or3_b32 v10, v12, v10, v13
	v_lshlrev_b32_e32 v12, 2, v8
	v_lshlrev_b32_e32 v8, 9, v8
	v_and_b32_e32 v12, 0x100000, v12
	v_and_b32_e32 v8, 0x10000000, v8
	v_or3_b32 v8, v10, v12, v8
	ds_write2_b32 v56, v9, v8 offset1:1
	s_waitcnt vmcnt(0)
	v_ashrrev_i32_e32 v23, v40, v7
	v_lshlrev_b32_e32 v8, 4, v23
	v_lshlrev_b32_e32 v9, 11, v23
	v_and_b32_e32 v7, 0xf0f0f0f, v11
	v_and_b32_e32 v8, 16, v8
	v_and_b32_e32 v9, 0x1000, v9
	v_or3_b32 v7, v8, v7, v9
	v_lshlrev_b32_e32 v8, 18, v23
	v_lshlrev_b32_e32 v9, 25, v23
	v_and_b32_e32 v8, 0x100000, v8
	v_and_b32_e32 v9, 0x10000000, v9
	v_or3_b32 v24, v7, v8, v9
	v_lshrrev_b32_e32 v7, 4, v11
	v_lshrrev_b32_e32 v8, 12, v23
	;; [unrolled: 1-line block ×3, first 2 shown]
	v_and_b32_e32 v7, 0xf0f0f0f, v7
	v_and_b32_e32 v8, 16, v8
	;; [unrolled: 1-line block ×3, first 2 shown]
	v_or3_b32 v25, v8, v7, v9
	v_lshlrev_b32_e32 v7, 2, v23
	v_and_b32_e32 v26, 0x100000, v7
	v_mad_u64_u32 v[7:8], s[16:17], v65, 24, v[5:6]
	v_mad_u64_u32 v[9:10], s[16:17], v67, 24, v[5:6]
	v_add_co_u32_e32 v11, vcc, v7, v40
	v_mad_u64_u32 v[15:16], s[16:17], v69, 24, v[5:6]
	v_addc_co_u32_e32 v12, vcc, 0, v8, vcc
	v_add_co_u32_e32 v13, vcc, v9, v40
	v_mad_u64_u32 v[5:6], s[16:17], v71, 24, v[5:6]
	v_addc_co_u32_e32 v14, vcc, 0, v10, vcc
	v_add_co_u32_e32 v17, vcc, v15, v40
	v_addc_co_u32_e32 v18, vcc, 0, v16, vcc
	v_add_co_u32_e32 v19, vcc, v5, v40
	v_addc_co_u32_e32 v20, vcc, 0, v6, vcc
	global_load_dword v11, v[11:12], off offset:8
	s_nop 0
	global_load_dword v13, v[13:14], off offset:8
	s_nop 0
	;; [unrolled: 2-line block ×3, first 2 shown]
	global_load_dword v17, v[19:20], off offset:8
	global_load_dword v18, v[5:6], off offset:4
	s_nop 0
	global_load_dword v15, v[15:16], off offset:4
	s_nop 0
	global_load_dword v16, v[9:10], off offset:4
	global_load_dword v5, v[7:8], off offset:4
	v_lshlrev_b32_e32 v6, 9, v23
	v_and_b32_e32 v6, 0x10000000, v6
	v_or3_b32 v6, v25, v26, v6
	ds_write2_b32 v58, v24, v6 offset1:1
	v_ashrrev_i32_e32 v6, v40, v30
	v_lshlrev_b32_e32 v8, 4, v6
	v_lshlrev_b32_e32 v9, 11, v6
	v_and_b32_e32 v7, 0xf0f0f0f, v27
	v_and_b32_e32 v8, 16, v8
	v_and_b32_e32 v9, 0x1000, v9
	v_or3_b32 v7, v8, v7, v9
	v_lshlrev_b32_e32 v8, 18, v6
	v_lshlrev_b32_e32 v9, 25, v6
	v_and_b32_e32 v8, 0x100000, v8
	v_and_b32_e32 v9, 0x10000000, v9
	v_or3_b32 v7, v7, v8, v9
	v_lshrrev_b32_e32 v8, 4, v27
	v_lshrrev_b32_e32 v9, 12, v6
	v_lshrrev_b32_e32 v10, 5, v6
	v_and_b32_e32 v8, 0xf0f0f0f, v8
	v_and_b32_e32 v9, 16, v9
	v_and_b32_e32 v10, 0x1000, v10
	v_or3_b32 v8, v9, v8, v10
	v_lshlrev_b32_e32 v9, 2, v6
	v_lshlrev_b32_e32 v6, 9, v6
	v_and_b32_e32 v9, 0x100000, v9
	v_and_b32_e32 v6, 0x10000000, v6
	v_or3_b32 v6, v8, v9, v6
	ds_write2_b32 v60, v7, v6 offset1:1
	v_ashrrev_i32_e32 v6, v40, v29
	v_lshlrev_b32_e32 v8, 4, v6
	v_lshlrev_b32_e32 v9, 11, v6
	v_and_b32_e32 v7, 0xf0f0f0f, v28
	v_and_b32_e32 v8, 16, v8
	v_and_b32_e32 v9, 0x1000, v9
	v_or3_b32 v7, v8, v7, v9
	v_lshlrev_b32_e32 v8, 18, v6
	v_lshlrev_b32_e32 v9, 25, v6
	v_and_b32_e32 v8, 0x100000, v8
	v_and_b32_e32 v9, 0x10000000, v9
	v_or3_b32 v7, v7, v8, v9
	v_lshrrev_b32_e32 v8, 4, v28
	v_lshrrev_b32_e32 v9, 12, v6
	v_lshrrev_b32_e32 v10, 5, v6
	v_and_b32_e32 v8, 0xf0f0f0f, v8
	v_and_b32_e32 v9, 16, v9
	v_and_b32_e32 v10, 0x1000, v10
	v_or3_b32 v8, v9, v8, v10
	v_lshlrev_b32_e32 v9, 2, v6
	v_lshlrev_b32_e32 v6, 9, v6
	v_and_b32_e32 v9, 0x100000, v9
	;; [unrolled: 25-line block ×3, first 2 shown]
	v_and_b32_e32 v6, 0x10000000, v6
	v_or3_b32 v6, v8, v9, v6
	ds_write2_b32 v64, v7, v6 offset1:1
	s_waitcnt vmcnt(0)
	v_ashrrev_i32_e32 v5, v40, v5
	v_lshlrev_b32_e32 v7, 4, v5
	v_lshlrev_b32_e32 v8, 11, v5
	v_and_b32_e32 v6, 0xf0f0f0f, v11
	v_and_b32_e32 v7, 16, v7
	;; [unrolled: 1-line block ×3, first 2 shown]
	v_or3_b32 v6, v7, v6, v8
	v_lshlrev_b32_e32 v7, 18, v5
	v_lshlrev_b32_e32 v8, 25, v5
	v_and_b32_e32 v7, 0x100000, v7
	v_and_b32_e32 v8, 0x10000000, v8
	v_or3_b32 v19, v6, v7, v8
	v_lshrrev_b32_e32 v6, 4, v11
	v_lshrrev_b32_e32 v7, 12, v5
	;; [unrolled: 1-line block ×3, first 2 shown]
	v_and_b32_e32 v6, 0xf0f0f0f, v6
	v_and_b32_e32 v7, 16, v7
	;; [unrolled: 1-line block ×3, first 2 shown]
	v_or3_b32 v7, v7, v6, v8
	v_lshlrev_b32_e32 v6, 2, v5
	v_and_b32_e32 v8, 0x100000, v6
	v_lshlrev_b32_e32 v9, 9, v5
	v_mad_u64_u32 v[5:6], s[0:1], v73, 24, s[0:1]
	v_and_b32_e32 v9, 0x10000000, v9
	v_or3_b32 v20, v7, v8, v9
	v_mad_u64_u32 v[7:8], s[0:1], v75, 24, v[5:6]
	v_mad_u64_u32 v[9:10], s[0:1], v76, 24, v[5:6]
	;; [unrolled: 1-line block ×4, first 2 shown]
	global_load_dword v7, v[7:8], off
	s_nop 0
	global_load_dword v8, v[9:10], off
	s_nop 0
	global_load_dword v9, v[11:12], off
	v_and_b32_e32 v10, 0xf0f0f0f, v13
	global_load_dword v5, v[5:6], off
	v_ashrrev_i32_e32 v6, v40, v16
	v_lshlrev_b32_e32 v11, 4, v6
	v_lshlrev_b32_e32 v12, 11, v6
	v_and_b32_e32 v11, 16, v11
	v_and_b32_e32 v12, 0x1000, v12
	v_or3_b32 v10, v11, v10, v12
	v_lshlrev_b32_e32 v11, 18, v6
	v_lshlrev_b32_e32 v12, 25, v6
	v_and_b32_e32 v11, 0x100000, v11
	v_and_b32_e32 v12, 0x10000000, v12
	v_or3_b32 v10, v10, v11, v12
	v_lshrrev_b32_e32 v11, 4, v13
	v_lshrrev_b32_e32 v12, 12, v6
	v_lshrrev_b32_e32 v13, 5, v6
	v_and_b32_e32 v11, 0xf0f0f0f, v11
	v_and_b32_e32 v12, 16, v12
	;; [unrolled: 1-line block ×3, first 2 shown]
	v_or3_b32 v11, v12, v11, v13
	v_lshlrev_b32_e32 v12, 2, v6
	v_lshlrev_b32_e32 v6, 9, v6
	v_and_b32_e32 v12, 0x100000, v12
	v_and_b32_e32 v6, 0x10000000, v6
	v_or3_b32 v6, v11, v12, v6
	ds_write2_b32 v68, v10, v6 offset1:1
	v_ashrrev_i32_e32 v6, v40, v15
	v_lshlrev_b32_e32 v11, 4, v6
	v_lshlrev_b32_e32 v12, 11, v6
	v_and_b32_e32 v10, 0xf0f0f0f, v14
	v_and_b32_e32 v11, 16, v11
	;; [unrolled: 1-line block ×3, first 2 shown]
	v_or3_b32 v10, v11, v10, v12
	v_lshlrev_b32_e32 v11, 18, v6
	v_lshlrev_b32_e32 v12, 25, v6
	v_and_b32_e32 v11, 0x100000, v11
	v_and_b32_e32 v12, 0x10000000, v12
	v_or3_b32 v10, v10, v11, v12
	v_lshrrev_b32_e32 v11, 4, v14
	v_lshrrev_b32_e32 v12, 12, v6
	;; [unrolled: 1-line block ×3, first 2 shown]
	v_and_b32_e32 v11, 0xf0f0f0f, v11
	v_and_b32_e32 v12, 16, v12
	;; [unrolled: 1-line block ×3, first 2 shown]
	v_or3_b32 v11, v12, v11, v13
	v_lshlrev_b32_e32 v12, 2, v6
	v_lshlrev_b32_e32 v6, 9, v6
	v_and_b32_e32 v12, 0x100000, v12
	v_and_b32_e32 v6, 0x10000000, v6
	v_or3_b32 v6, v11, v12, v6
	ds_write2_b32 v70, v10, v6 offset1:1
	v_ashrrev_i32_e32 v6, v40, v18
	v_lshlrev_b32_e32 v11, 4, v6
	v_lshlrev_b32_e32 v12, 11, v6
	v_and_b32_e32 v10, 0xf0f0f0f, v17
	v_and_b32_e32 v11, 16, v11
	v_and_b32_e32 v12, 0x1000, v12
	v_or3_b32 v10, v11, v10, v12
	v_lshlrev_b32_e32 v11, 18, v6
	v_lshlrev_b32_e32 v12, 25, v6
	v_and_b32_e32 v11, 0x100000, v11
	v_and_b32_e32 v12, 0x10000000, v12
	v_or3_b32 v10, v10, v11, v12
	v_lshrrev_b32_e32 v11, 4, v17
	v_lshrrev_b32_e32 v12, 12, v6
	;; [unrolled: 1-line block ×3, first 2 shown]
	v_and_b32_e32 v11, 0xf0f0f0f, v11
	v_and_b32_e32 v12, 16, v12
	;; [unrolled: 1-line block ×3, first 2 shown]
	v_or3_b32 v11, v12, v11, v13
	v_lshlrev_b32_e32 v12, 2, v6
	v_lshlrev_b32_e32 v6, 9, v6
	v_and_b32_e32 v12, 0x100000, v12
	v_and_b32_e32 v6, 0x10000000, v6
	v_or3_b32 v6, v11, v12, v6
	ds_write2_b32 v66, v19, v20 offset1:1
	ds_write2_b32 v72, v10, v6 offset1:1
	s_waitcnt vmcnt(3)
	ds_write_b32 v107, v7
	s_waitcnt vmcnt(2)
	ds_write_b32 v108, v8
	;; [unrolled: 2-line block ×4, first 2 shown]
	s_cbranch_scc0 .LBB143_5
; %bb.7:                                ;   in Loop: Header=BB143_6 Depth=1
	v_add_u32_e32 v144, s14, v2
	v_add_u32_e32 v21, s14, v74
	;; [unrolled: 1-line block ×3, first 2 shown]
	v_mad_u64_u32 v[19:20], s[0:1], v144, 36, s[2:3]
	v_mad_i64_i32 v[5:6], s[0:1], v5, 36, v[3:4]
	v_add_u32_e32 v7, v21, v81
	v_mad_i64_i32 v[7:8], s[0:1], v7, 36, v[3:4]
	v_add_u32_e32 v9, v21, v82
	v_add_u32_e32 v11, v21, v83
	v_mad_i64_i32 v[9:10], s[0:1], v9, 36, v[3:4]
	v_mad_i64_i32 v[11:12], s[0:1], v11, 36, v[3:4]
	v_add_u32_e32 v13, v21, v84
	v_add_u32_e32 v15, v21, v85
	;; [unrolled: 1-line block ×4, first 2 shown]
	v_mad_i64_i32 v[13:14], s[0:1], v13, 36, v[3:4]
	v_mad_i64_i32 v[15:16], s[0:1], v15, 36, v[3:4]
	;; [unrolled: 1-line block ×4, first 2 shown]
	global_load_dword v19, v[19:20], off
	s_nop 0
	global_load_dword v5, v[5:6], off offset:4
	s_nop 0
	global_load_dword v6, v[7:8], off offset:4
	;; [unrolled: 2-line block ×3, first 2 shown]
	global_load_dword v8, v[11:12], off offset:4
	s_nop 0
	global_load_dword v9, v[13:14], off offset:4
	global_load_dword v10, v[15:16], off offset:4
                                        ; kill: killed $vgpr13_vgpr14
                                        ; kill: killed $vgpr15_vgpr16
	global_load_dword v11, v[17:18], off offset:4
	global_load_dword v12, v[21:22], off offset:4
	s_mov_b32 s0, -4
	v_mov_b32_e32 v145, v96
	v_mov_b32_e32 v146, v88
	;; [unrolled: 1-line block ×7, first 2 shown]
	s_waitcnt vmcnt(8)
	ds_write_b32 v79, v19
	s_waitcnt vmcnt(7)
	ds_write_b32 v114, v5
	;; [unrolled: 2-line block ×9, first 2 shown]
	s_waitcnt lgkmcnt(0)
	s_barrier
.LBB143_8:                              ;   Parent Loop BB143_6 Depth=1
                                        ; =>  This Inner Loop Header: Depth=2
	ds_read_b128 v[156:159], v145
	ds_read_b128 v[160:163], v145 offset:16
	ds_read2_b32 v[164:165], v147 offset1:32
	ds_read_b32 v152, v148
	ds_read2_b32 v[5:6], v146 offset1:1
	s_add_i32 s0, s0, 4
	v_add_u32_e32 v148, 4, v148
	s_cmp_lt_u32 s0, 12
	s_waitcnt lgkmcnt(1)
	v_pk_mul_f16 v14, v164, v152
	s_waitcnt lgkmcnt(0)
	v_dot4_i32_i8 v7, v5, v156, 0
	v_dot4_i32_i8 v9, v6, v160, v7
	ds_read2_b32 v[7:8], v146 offset0:2 offset1:3
	v_pk_mul_f16 v166, v152, v165
	s_waitcnt lgkmcnt(0)
	v_dot4_i32_i8 v9, v7, v157, v9
	v_dot4_i32_i8 v11, v8, v161, v9
	ds_read2_b32 v[9:10], v146 offset0:4 offset1:5
	s_waitcnt lgkmcnt(0)
	v_dot4_i32_i8 v11, v9, v158, v11
	v_dot4_i32_i8 v13, v10, v162, v11
	ds_read2_b32 v[11:12], v146 offset0:6 offset1:7
	s_waitcnt lgkmcnt(0)
	v_dot4_i32_i8 v13, v11, v159, v13
	v_dot4_i32_i8 v13, v12, v163, v13
	v_cvt_f32_i32_e32 v13, v13
	v_fma_mix_f32 v13, v14, v13, v14 op_sel:[0,0,1] op_sel_hi:[1,0,1]
	v_add_f32_e32 v39, v39, v13
	v_add_u32_e32 v13, 0x2080, v146
	ds_read_b32 v153, v149
	ds_read2_b32 v[13:14], v13 offset1:1
	v_add_u32_e32 v149, 4, v149
	s_waitcnt lgkmcnt(1)
	v_pk_mul_f16 v22, v164, v153
	s_waitcnt lgkmcnt(0)
	v_dot4_i32_i8 v15, v13, v156, 0
	v_dot4_i32_i8 v17, v14, v160, v15
	v_add_u32_e32 v15, 0x2088, v146
	ds_read2_b32 v[15:16], v15 offset1:1
	s_waitcnt lgkmcnt(0)
	v_dot4_i32_i8 v17, v15, v157, v17
	v_dot4_i32_i8 v19, v16, v161, v17
	v_add_u32_e32 v17, 0x2090, v146
	ds_read2_b32 v[17:18], v17 offset1:1
	s_waitcnt lgkmcnt(0)
	v_dot4_i32_i8 v19, v17, v158, v19
	v_dot4_i32_i8 v21, v18, v162, v19
	v_add_u32_e32 v19, 0x2098, v146
	ds_read2_b32 v[19:20], v19 offset1:1
	s_waitcnt lgkmcnt(0)
	v_dot4_i32_i8 v21, v19, v159, v21
	v_dot4_i32_i8 v21, v20, v163, v21
	v_cvt_f32_i32_e32 v21, v21
	v_fma_mix_f32 v21, v22, v21, v22 op_sel:[0,0,1] op_sel_hi:[1,0,1]
	v_add_f32_e32 v135, v135, v21
	v_add_u32_e32 v21, 0x4100, v146
	ds_read_b32 v154, v150
	ds_read2_b32 v[21:22], v21 offset1:1
	v_add_u32_e32 v150, 4, v150
	s_waitcnt lgkmcnt(1)
	v_pk_mul_f16 v30, v164, v154
	s_waitcnt lgkmcnt(0)
	v_dot4_i32_i8 v23, v21, v156, 0
	v_dot4_i32_i8 v25, v22, v160, v23
	v_add_u32_e32 v23, 0x4108, v146
	ds_read2_b32 v[23:24], v23 offset1:1
	s_waitcnt lgkmcnt(0)
	v_dot4_i32_i8 v25, v23, v157, v25
	v_dot4_i32_i8 v27, v24, v161, v25
	v_add_u32_e32 v25, 0x4110, v146
	ds_read2_b32 v[25:26], v25 offset1:1
	s_waitcnt lgkmcnt(0)
	v_dot4_i32_i8 v27, v25, v158, v27
	v_dot4_i32_i8 v29, v26, v162, v27
	v_add_u32_e32 v27, 0x4118, v146
	ds_read2_b32 v[27:28], v27 offset1:1
	s_waitcnt lgkmcnt(0)
	v_dot4_i32_i8 v29, v27, v159, v29
	v_dot4_i32_i8 v29, v28, v163, v29
	v_cvt_f32_i32_e32 v29, v29
	v_fma_mix_f32 v29, v30, v29, v30 op_sel:[0,0,1] op_sel_hi:[1,0,1]
	v_add_f32_e32 v140, v140, v29
	v_add_u32_e32 v29, 0x6180, v146
	ds_read_b32 v155, v151
	ds_read2_b32 v[29:30], v29 offset1:1
	v_add_u32_e32 v151, 4, v151
	s_waitcnt lgkmcnt(0)
	v_dot4_i32_i8 v31, v29, v156, 0
	v_dot4_i32_i8 v33, v30, v160, v31
	v_add_u32_e32 v31, 0x6188, v146
	ds_read2_b32 v[31:32], v31 offset1:1
	s_waitcnt lgkmcnt(0)
	v_dot4_i32_i8 v33, v31, v157, v33
	v_dot4_i32_i8 v35, v32, v161, v33
	v_add_u32_e32 v33, 0x6190, v146
	ds_read2_b32 v[33:34], v33 offset1:1
	v_pk_mul_f16 v157, v164, v155
	s_waitcnt lgkmcnt(0)
	v_dot4_i32_i8 v35, v33, v158, v35
	v_dot4_i32_i8 v156, v34, v162, v35
	v_add_u32_e32 v35, 0x6198, v146
	ds_read2_b32 v[35:36], v35 offset1:1
	v_add_u32_e32 v146, 32, v146
	s_waitcnt lgkmcnt(0)
	v_dot4_i32_i8 v156, v35, v159, v156
	v_dot4_i32_i8 v156, v36, v163, v156
	v_cvt_f32_i32_e32 v156, v156
	v_fma_mix_f32 v156, v157, v156, v157 op_sel:[0,0,1] op_sel_hi:[1,0,1]
	v_add_f32_e32 v143, v143, v156
	ds_read_b128 v[156:159], v145 offset:1024
	ds_read_b128 v[160:163], v145 offset:1040
	s_waitcnt lgkmcnt(1)
	v_dot4_i32_i8 v164, v5, v156, 0
	s_waitcnt lgkmcnt(0)
	v_dot4_i32_i8 v164, v6, v160, v164
	v_dot4_i32_i8 v164, v7, v157, v164
	;; [unrolled: 1-line block ×7, first 2 shown]
	v_cvt_f32_i32_e32 v164, v164
	v_fma_mix_f32 v164, v164, v166, v166 op_sel:[0,0,1] op_sel_hi:[0,1,1]
	v_add_f32_e32 v121, v121, v164
	v_dot4_i32_i8 v164, v13, v156, 0
	v_dot4_i32_i8 v164, v14, v160, v164
	;; [unrolled: 1-line block ×8, first 2 shown]
	v_cvt_f32_i32_e32 v164, v164
	v_pk_mul_f16 v166, v153, v165
	v_fma_mix_f32 v164, v164, v166, v166 op_sel:[0,0,1] op_sel_hi:[0,1,1]
	v_add_f32_e32 v132, v132, v164
	v_dot4_i32_i8 v164, v21, v156, 0
	v_dot4_i32_i8 v156, v29, v156, 0
	;; [unrolled: 1-line block ×16, first 2 shown]
	v_cvt_f32_i32_e32 v164, v164
	v_cvt_f32_i32_e32 v156, v156
	v_pk_mul_f16 v166, v154, v165
	v_pk_mul_f16 v157, v155, v165
	v_fma_mix_f32 v164, v164, v166, v166 op_sel:[0,0,1] op_sel_hi:[0,1,1]
	v_fma_mix_f32 v156, v156, v157, v157 op_sel:[0,0,1] op_sel_hi:[0,1,1]
	v_add_f32_e32 v138, v138, v164
	v_add_f32_e32 v142, v142, v156
	ds_read_b128 v[156:159], v145 offset:2048
	ds_read_b128 v[160:163], v145 offset:2064
	ds_read2_b32 v[164:165], v147 offset0:64 offset1:96
	s_waitcnt lgkmcnt(2)
	v_dot4_i32_i8 v166, v5, v156, 0
	s_waitcnt lgkmcnt(1)
	v_dot4_i32_i8 v166, v6, v160, v166
	v_dot4_i32_i8 v166, v7, v157, v166
	;; [unrolled: 1-line block ×7, first 2 shown]
	v_cvt_f32_i32_e32 v166, v166
	s_waitcnt lgkmcnt(0)
	v_pk_mul_f16 v167, v152, v164
	v_fma_mix_f32 v166, v166, v167, v167 op_sel:[0,0,1] op_sel_hi:[0,1,1]
	v_add_f32_e32 v115, v115, v166
	v_dot4_i32_i8 v166, v13, v156, 0
	v_dot4_i32_i8 v166, v14, v160, v166
	;; [unrolled: 1-line block ×8, first 2 shown]
	v_cvt_f32_i32_e32 v166, v166
	v_pk_mul_f16 v167, v153, v164
	v_fma_mix_f32 v166, v166, v167, v167 op_sel:[0,0,1] op_sel_hi:[0,1,1]
	v_add_f32_e32 v129, v129, v166
	v_dot4_i32_i8 v166, v21, v156, 0
	v_dot4_i32_i8 v156, v29, v156, 0
	;; [unrolled: 1-line block ×11, first 2 shown]
	v_cvt_f32_i32_e32 v156, v156
	v_dot4_i32_i8 v166, v24, v161, v166
	v_dot4_i32_i8 v166, v25, v158, v166
	;; [unrolled: 1-line block ×3, first 2 shown]
	v_pk_mul_f16 v157, v155, v164
	v_dot4_i32_i8 v166, v27, v159, v166
	v_fma_mix_f32 v156, v156, v157, v157 op_sel:[0,0,1] op_sel_hi:[0,1,1]
	v_dot4_i32_i8 v166, v28, v163, v166
	v_add_f32_e32 v141, v141, v156
	ds_read_b128 v[156:159], v145 offset:3072
	ds_read_b128 v[160:163], v145 offset:3088
	v_pk_mul_f16 v167, v154, v164
	v_cvt_f32_i32_e32 v166, v166
	s_waitcnt lgkmcnt(1)
	v_dot4_i32_i8 v164, v5, v156, 0
	s_waitcnt lgkmcnt(0)
	v_dot4_i32_i8 v164, v6, v160, v164
	v_dot4_i32_i8 v164, v7, v157, v164
	;; [unrolled: 1-line block ×7, first 2 shown]
	v_cvt_f32_i32_e32 v164, v164
	v_fma_mix_f32 v166, v166, v167, v167 op_sel:[0,0,1] op_sel_hi:[0,1,1]
	v_add_f32_e32 v136, v136, v166
	v_pk_mul_f16 v166, v152, v165
	v_fma_mix_f32 v164, v164, v166, v166 op_sel:[0,0,1] op_sel_hi:[0,1,1]
	v_add_f32_e32 v109, v109, v164
	v_dot4_i32_i8 v164, v13, v156, 0
	v_dot4_i32_i8 v164, v14, v160, v164
	v_dot4_i32_i8 v164, v15, v157, v164
	v_dot4_i32_i8 v164, v16, v161, v164
	v_dot4_i32_i8 v164, v17, v158, v164
	v_dot4_i32_i8 v164, v18, v162, v164
	v_dot4_i32_i8 v164, v19, v159, v164
	v_dot4_i32_i8 v164, v20, v163, v164
	v_cvt_f32_i32_e32 v164, v164
	v_pk_mul_f16 v166, v153, v165
	v_fma_mix_f32 v164, v164, v166, v166 op_sel:[0,0,1] op_sel_hi:[0,1,1]
	v_add_f32_e32 v123, v123, v164
	v_dot4_i32_i8 v164, v21, v156, 0
	v_dot4_i32_i8 v156, v29, v156, 0
	;; [unrolled: 1-line block ×16, first 2 shown]
	v_cvt_f32_i32_e32 v164, v164
	v_cvt_f32_i32_e32 v156, v156
	v_pk_mul_f16 v166, v154, v165
	v_pk_mul_f16 v157, v155, v165
	v_fma_mix_f32 v164, v164, v166, v166 op_sel:[0,0,1] op_sel_hi:[0,1,1]
	v_fma_mix_f32 v156, v156, v157, v157 op_sel:[0,0,1] op_sel_hi:[0,1,1]
	v_add_f32_e32 v133, v133, v164
	v_add_f32_e32 v139, v139, v156
	ds_read_b128 v[156:159], v145 offset:4096
	ds_read_b128 v[160:163], v145 offset:4112
	ds_read2_b32 v[164:165], v147 offset0:128 offset1:160
	s_waitcnt lgkmcnt(2)
	v_dot4_i32_i8 v166, v5, v156, 0
	s_waitcnt lgkmcnt(1)
	v_dot4_i32_i8 v166, v6, v160, v166
	v_dot4_i32_i8 v166, v7, v157, v166
	;; [unrolled: 1-line block ×7, first 2 shown]
	v_cvt_f32_i32_e32 v166, v166
	s_waitcnt lgkmcnt(0)
	v_pk_mul_f16 v167, v152, v164
	v_fma_mix_f32 v166, v166, v167, v167 op_sel:[0,0,1] op_sel_hi:[0,1,1]
	v_add_f32_e32 v105, v105, v166
	v_dot4_i32_i8 v166, v13, v156, 0
	v_dot4_i32_i8 v166, v14, v160, v166
	;; [unrolled: 1-line block ×8, first 2 shown]
	v_cvt_f32_i32_e32 v166, v166
	v_pk_mul_f16 v167, v153, v164
	v_fma_mix_f32 v166, v166, v167, v167 op_sel:[0,0,1] op_sel_hi:[0,1,1]
	v_add_f32_e32 v117, v117, v166
	v_dot4_i32_i8 v166, v21, v156, 0
	v_dot4_i32_i8 v156, v29, v156, 0
	;; [unrolled: 1-line block ×11, first 2 shown]
	v_cvt_f32_i32_e32 v156, v156
	v_dot4_i32_i8 v166, v24, v161, v166
	v_dot4_i32_i8 v166, v25, v158, v166
	;; [unrolled: 1-line block ×3, first 2 shown]
	v_pk_mul_f16 v157, v155, v164
	v_dot4_i32_i8 v166, v27, v159, v166
	v_fma_mix_f32 v156, v156, v157, v157 op_sel:[0,0,1] op_sel_hi:[0,1,1]
	v_dot4_i32_i8 v166, v28, v163, v166
	v_add_f32_e32 v137, v137, v156
	ds_read_b128 v[156:159], v145 offset:5120
	ds_read_b128 v[160:163], v145 offset:5136
	v_pk_mul_f16 v167, v154, v164
	v_cvt_f32_i32_e32 v166, v166
	s_waitcnt lgkmcnt(1)
	v_dot4_i32_i8 v164, v5, v156, 0
	s_waitcnt lgkmcnt(0)
	v_dot4_i32_i8 v164, v6, v160, v164
	v_dot4_i32_i8 v164, v7, v157, v164
	;; [unrolled: 1-line block ×7, first 2 shown]
	v_cvt_f32_i32_e32 v164, v164
	v_fma_mix_f32 v166, v166, v167, v167 op_sel:[0,0,1] op_sel_hi:[0,1,1]
	v_add_f32_e32 v130, v130, v166
	v_pk_mul_f16 v166, v152, v165
	v_fma_mix_f32 v164, v164, v166, v166 op_sel:[0,0,1] op_sel_hi:[0,1,1]
	v_add_f32_e32 v101, v101, v164
	v_dot4_i32_i8 v164, v13, v156, 0
	v_dot4_i32_i8 v164, v14, v160, v164
	;; [unrolled: 1-line block ×8, first 2 shown]
	v_cvt_f32_i32_e32 v164, v164
	v_pk_mul_f16 v166, v153, v165
	v_fma_mix_f32 v164, v164, v166, v166 op_sel:[0,0,1] op_sel_hi:[0,1,1]
	v_add_f32_e32 v111, v111, v164
	v_dot4_i32_i8 v164, v21, v156, 0
	v_dot4_i32_i8 v156, v29, v156, 0
	;; [unrolled: 1-line block ×16, first 2 shown]
	v_cvt_f32_i32_e32 v164, v164
	v_cvt_f32_i32_e32 v156, v156
	v_pk_mul_f16 v166, v154, v165
	v_pk_mul_f16 v157, v155, v165
	v_fma_mix_f32 v164, v164, v166, v166 op_sel:[0,0,1] op_sel_hi:[0,1,1]
	v_fma_mix_f32 v156, v156, v157, v157 op_sel:[0,0,1] op_sel_hi:[0,1,1]
	v_add_f32_e32 v125, v125, v164
	v_add_f32_e32 v134, v134, v156
	ds_read_b128 v[156:159], v145 offset:6144
	ds_read_b128 v[160:163], v145 offset:6160
	ds_read2_b32 v[164:165], v147 offset0:192 offset1:224
	v_add_u32_e32 v147, 4, v147
	s_waitcnt lgkmcnt(2)
	v_dot4_i32_i8 v166, v5, v156, 0
	s_waitcnt lgkmcnt(1)
	v_dot4_i32_i8 v166, v6, v160, v166
	v_dot4_i32_i8 v166, v7, v157, v166
	;; [unrolled: 1-line block ×7, first 2 shown]
	v_cvt_f32_i32_e32 v166, v166
	s_waitcnt lgkmcnt(0)
	v_pk_mul_f16 v167, v152, v164
	v_fma_mix_f32 v166, v166, v167, v167 op_sel:[0,0,1] op_sel_hi:[0,1,1]
	v_add_f32_e32 v97, v97, v166
	v_dot4_i32_i8 v166, v13, v156, 0
	v_dot4_i32_i8 v166, v14, v160, v166
	;; [unrolled: 1-line block ×8, first 2 shown]
	v_cvt_f32_i32_e32 v166, v166
	v_pk_mul_f16 v167, v153, v164
	v_fma_mix_f32 v166, v166, v167, v167 op_sel:[0,0,1] op_sel_hi:[0,1,1]
	v_add_f32_e32 v106, v106, v166
	v_dot4_i32_i8 v166, v21, v156, 0
	v_dot4_i32_i8 v156, v29, v156, 0
	;; [unrolled: 1-line block ×11, first 2 shown]
	v_cvt_f32_i32_e32 v156, v156
	v_dot4_i32_i8 v166, v24, v161, v166
	v_dot4_i32_i8 v166, v25, v158, v166
	;; [unrolled: 1-line block ×3, first 2 shown]
	v_pk_mul_f16 v157, v155, v164
	v_dot4_i32_i8 v166, v27, v159, v166
	v_fma_mix_f32 v156, v156, v157, v157 op_sel:[0,0,1] op_sel_hi:[0,1,1]
	v_dot4_i32_i8 v166, v28, v163, v166
	v_add_f32_e32 v131, v131, v156
	ds_read_b128 v[156:159], v145 offset:7168
	ds_read_b128 v[160:163], v145 offset:7184
	v_cvt_f32_i32_e32 v166, v166
	v_pk_mul_f16 v167, v154, v164
	v_add_u32_e32 v145, 32, v145
	s_waitcnt lgkmcnt(1)
	v_dot4_i32_i8 v5, v5, v156, 0
	s_waitcnt lgkmcnt(0)
	v_dot4_i32_i8 v5, v6, v160, v5
	v_dot4_i32_i8 v5, v7, v157, v5
	v_dot4_i32_i8 v5, v8, v161, v5
	v_dot4_i32_i8 v5, v9, v158, v5
	v_dot4_i32_i8 v5, v10, v162, v5
	v_dot4_i32_i8 v5, v11, v159, v5
	v_dot4_i32_i8 v5, v12, v163, v5
	v_cvt_f32_i32_e32 v5, v5
	v_pk_mul_f16 v6, v152, v165
	v_fma_mix_f32 v166, v166, v167, v167 op_sel:[0,0,1] op_sel_hi:[0,1,1]
	v_add_f32_e32 v119, v119, v166
	v_fma_mix_f32 v5, v5, v6, v6 op_sel:[0,0,1] op_sel_hi:[0,1,1]
	v_add_f32_e32 v94, v94, v5
	v_dot4_i32_i8 v5, v13, v156, 0
	v_dot4_i32_i8 v5, v14, v160, v5
	v_dot4_i32_i8 v5, v15, v157, v5
	v_dot4_i32_i8 v5, v16, v161, v5
	v_dot4_i32_i8 v5, v17, v158, v5
	v_dot4_i32_i8 v5, v18, v162, v5
	v_dot4_i32_i8 v5, v19, v159, v5
	v_dot4_i32_i8 v5, v20, v163, v5
	v_cvt_f32_i32_e32 v5, v5
	v_pk_mul_f16 v6, v153, v165
	v_fma_mix_f32 v5, v5, v6, v6 op_sel:[0,0,1] op_sel_hi:[0,1,1]
	v_add_f32_e32 v103, v103, v5
	v_dot4_i32_i8 v5, v21, v156, 0
	v_dot4_i32_i8 v5, v22, v160, v5
	v_dot4_i32_i8 v5, v23, v157, v5
	v_dot4_i32_i8 v5, v24, v161, v5
	v_dot4_i32_i8 v5, v25, v158, v5
	v_dot4_i32_i8 v5, v26, v162, v5
	v_dot4_i32_i8 v5, v27, v159, v5
	v_dot4_i32_i8 v5, v28, v163, v5
	v_cvt_f32_i32_e32 v5, v5
	v_pk_mul_f16 v6, v154, v165
	;; [unrolled: 12-line block ×3, first 2 shown]
	v_fma_mix_f32 v5, v5, v6, v6 op_sel:[0,0,1] op_sel_hi:[0,1,1]
	v_add_f32_e32 v127, v127, v5
	s_cbranch_scc1 .LBB143_8
; %bb.9:                                ;   in Loop: Header=BB143_6 Depth=1
	s_and_b32 s0, s9, -4
	s_cmp_eq_u32 s0, 4
	s_barrier
	s_cbranch_scc1 .LBB143_5
; %bb.10:                               ;   in Loop: Header=BB143_6 Depth=1
	v_add_u32_e32 v21, s14, v89
	v_add_u32_e32 v19, 4, v144
	;; [unrolled: 1-line block ×3, first 2 shown]
	v_mad_u64_u32 v[19:20], s[0:1], v19, 36, s[2:3]
	v_mad_i64_i32 v[5:6], s[0:1], v5, 36, v[3:4]
	v_add_u32_e32 v7, v21, v81
	v_mad_i64_i32 v[7:8], s[0:1], v7, 36, v[3:4]
	v_add_u32_e32 v9, v21, v82
	v_add_u32_e32 v11, v21, v83
	v_mad_i64_i32 v[9:10], s[0:1], v9, 36, v[3:4]
	v_mad_i64_i32 v[11:12], s[0:1], v11, 36, v[3:4]
	v_add_u32_e32 v13, v21, v84
	v_add_u32_e32 v15, v21, v85
	;; [unrolled: 1-line block ×4, first 2 shown]
	v_mad_i64_i32 v[13:14], s[0:1], v13, 36, v[3:4]
	v_mad_i64_i32 v[15:16], s[0:1], v15, 36, v[3:4]
	;; [unrolled: 1-line block ×4, first 2 shown]
	global_load_dword v19, v[19:20], off
	s_nop 0
	global_load_dword v5, v[5:6], off offset:4
	s_nop 0
	global_load_dword v6, v[7:8], off offset:4
	;; [unrolled: 2-line block ×3, first 2 shown]
	global_load_dword v8, v[11:12], off offset:4
	s_nop 0
	global_load_dword v9, v[13:14], off offset:4
                                        ; kill: killed $vgpr11_vgpr12
                                        ; kill: killed $vgpr13_vgpr14
	global_load_dword v10, v[15:16], off offset:4
	global_load_dword v11, v[17:18], off offset:4
	;; [unrolled: 1-line block ×3, first 2 shown]
	s_mov_b32 s0, 12
	v_mov_b32_e32 v144, v95
	v_mov_b32_e32 v145, v96
	;; [unrolled: 1-line block ×7, first 2 shown]
	s_waitcnt vmcnt(8)
	ds_write_b32 v79, v19
	s_waitcnt vmcnt(7)
	ds_write_b32 v114, v5
	s_waitcnt vmcnt(6)
	ds_write_b32 v116, v6
	s_waitcnt vmcnt(5)
	ds_write_b32 v118, v7
	s_waitcnt vmcnt(4)
	ds_write_b32 v120, v8
	s_waitcnt vmcnt(3)
	ds_write_b32 v122, v9
	s_waitcnt vmcnt(2)
	ds_write_b32 v124, v10
	s_waitcnt vmcnt(1)
	ds_write_b32 v126, v11
	s_waitcnt vmcnt(0)
	ds_write_b32 v128, v12
	s_waitcnt lgkmcnt(0)
	s_barrier
.LBB143_11:                             ;   Parent Loop BB143_6 Depth=1
                                        ; =>  This Inner Loop Header: Depth=2
	ds_read_b128 v[155:158], v145
	ds_read_b128 v[159:162], v145 offset:16
	ds_read2_b32 v[163:164], v144 offset1:32
	ds_read_b32 v151, v147
	ds_read2_b32 v[5:6], v146 offset1:1
	s_add_i32 s0, s0, 4
	v_add_u32_e32 v147, 4, v147
	s_cmp_lt_u32 s0, 28
	s_waitcnt lgkmcnt(1)
	v_pk_mul_f16 v14, v163, v151
	s_waitcnt lgkmcnt(0)
	v_dot4_i32_i8 v7, v5, v155, 0
	v_dot4_i32_i8 v9, v6, v159, v7
	ds_read2_b32 v[7:8], v146 offset0:2 offset1:3
	v_pk_mul_f16 v165, v151, v164
	s_waitcnt lgkmcnt(0)
	v_dot4_i32_i8 v9, v7, v156, v9
	v_dot4_i32_i8 v11, v8, v160, v9
	ds_read2_b32 v[9:10], v146 offset0:4 offset1:5
	s_waitcnt lgkmcnt(0)
	v_dot4_i32_i8 v11, v9, v157, v11
	v_dot4_i32_i8 v13, v10, v161, v11
	ds_read2_b32 v[11:12], v146 offset0:6 offset1:7
	s_waitcnt lgkmcnt(0)
	v_dot4_i32_i8 v13, v11, v158, v13
	v_dot4_i32_i8 v13, v12, v162, v13
	v_cvt_f32_i32_e32 v13, v13
	v_fma_mix_f32 v13, v14, v13, v14 op_sel:[0,0,1] op_sel_hi:[1,0,1]
	v_add_f32_e32 v39, v39, v13
	v_add_u32_e32 v13, 0x2080, v146
	ds_read_b32 v152, v148
	ds_read2_b32 v[13:14], v13 offset1:1
	v_add_u32_e32 v148, 4, v148
	s_waitcnt lgkmcnt(1)
	v_pk_mul_f16 v22, v163, v152
	s_waitcnt lgkmcnt(0)
	v_dot4_i32_i8 v15, v13, v155, 0
	v_dot4_i32_i8 v17, v14, v159, v15
	v_add_u32_e32 v15, 0x2088, v146
	ds_read2_b32 v[15:16], v15 offset1:1
	s_waitcnt lgkmcnt(0)
	v_dot4_i32_i8 v17, v15, v156, v17
	v_dot4_i32_i8 v19, v16, v160, v17
	v_add_u32_e32 v17, 0x2090, v146
	ds_read2_b32 v[17:18], v17 offset1:1
	;; [unrolled: 5-line block ×3, first 2 shown]
	s_waitcnt lgkmcnt(0)
	v_dot4_i32_i8 v21, v19, v158, v21
	v_dot4_i32_i8 v21, v20, v162, v21
	v_cvt_f32_i32_e32 v21, v21
	v_fma_mix_f32 v21, v22, v21, v22 op_sel:[0,0,1] op_sel_hi:[1,0,1]
	v_add_f32_e32 v135, v135, v21
	v_add_u32_e32 v21, 0x4100, v146
	ds_read_b32 v153, v149
	ds_read2_b32 v[21:22], v21 offset1:1
	v_add_u32_e32 v149, 4, v149
	s_waitcnt lgkmcnt(1)
	v_pk_mul_f16 v30, v163, v153
	s_waitcnt lgkmcnt(0)
	v_dot4_i32_i8 v23, v21, v155, 0
	v_dot4_i32_i8 v25, v22, v159, v23
	v_add_u32_e32 v23, 0x4108, v146
	ds_read2_b32 v[23:24], v23 offset1:1
	s_waitcnt lgkmcnt(0)
	v_dot4_i32_i8 v25, v23, v156, v25
	v_dot4_i32_i8 v27, v24, v160, v25
	v_add_u32_e32 v25, 0x4110, v146
	ds_read2_b32 v[25:26], v25 offset1:1
	;; [unrolled: 5-line block ×3, first 2 shown]
	s_waitcnt lgkmcnt(0)
	v_dot4_i32_i8 v29, v27, v158, v29
	v_dot4_i32_i8 v29, v28, v162, v29
	v_cvt_f32_i32_e32 v29, v29
	v_fma_mix_f32 v29, v30, v29, v30 op_sel:[0,0,1] op_sel_hi:[1,0,1]
	v_add_f32_e32 v140, v140, v29
	v_add_u32_e32 v29, 0x6180, v146
	ds_read_b32 v154, v150
	ds_read2_b32 v[29:30], v29 offset1:1
	v_add_u32_e32 v150, 4, v150
	s_waitcnt lgkmcnt(0)
	v_dot4_i32_i8 v31, v29, v155, 0
	v_dot4_i32_i8 v33, v30, v159, v31
	v_add_u32_e32 v31, 0x6188, v146
	ds_read2_b32 v[31:32], v31 offset1:1
	s_waitcnt lgkmcnt(0)
	v_dot4_i32_i8 v33, v31, v156, v33
	v_dot4_i32_i8 v35, v32, v160, v33
	v_add_u32_e32 v33, 0x6190, v146
	ds_read2_b32 v[33:34], v33 offset1:1
	v_pk_mul_f16 v156, v163, v154
	s_waitcnt lgkmcnt(0)
	v_dot4_i32_i8 v35, v33, v157, v35
	v_dot4_i32_i8 v155, v34, v161, v35
	v_add_u32_e32 v35, 0x6198, v146
	ds_read2_b32 v[35:36], v35 offset1:1
	v_add_u32_e32 v146, 32, v146
	s_waitcnt lgkmcnt(0)
	v_dot4_i32_i8 v155, v35, v158, v155
	v_dot4_i32_i8 v155, v36, v162, v155
	v_cvt_f32_i32_e32 v155, v155
	v_fma_mix_f32 v155, v156, v155, v156 op_sel:[0,0,1] op_sel_hi:[1,0,1]
	v_add_f32_e32 v143, v143, v155
	ds_read_b128 v[155:158], v145 offset:1024
	ds_read_b128 v[159:162], v145 offset:1040
	s_waitcnt lgkmcnt(1)
	v_dot4_i32_i8 v163, v5, v155, 0
	s_waitcnt lgkmcnt(0)
	v_dot4_i32_i8 v163, v6, v159, v163
	v_dot4_i32_i8 v163, v7, v156, v163
	;; [unrolled: 1-line block ×7, first 2 shown]
	v_cvt_f32_i32_e32 v163, v163
	v_fma_mix_f32 v163, v163, v165, v165 op_sel:[0,0,1] op_sel_hi:[0,1,1]
	v_add_f32_e32 v121, v121, v163
	v_dot4_i32_i8 v163, v13, v155, 0
	v_dot4_i32_i8 v163, v14, v159, v163
	;; [unrolled: 1-line block ×8, first 2 shown]
	v_cvt_f32_i32_e32 v163, v163
	v_pk_mul_f16 v165, v152, v164
	v_fma_mix_f32 v163, v163, v165, v165 op_sel:[0,0,1] op_sel_hi:[0,1,1]
	v_add_f32_e32 v132, v132, v163
	v_dot4_i32_i8 v163, v21, v155, 0
	v_dot4_i32_i8 v155, v29, v155, 0
	;; [unrolled: 1-line block ×16, first 2 shown]
	v_cvt_f32_i32_e32 v163, v163
	v_cvt_f32_i32_e32 v155, v155
	v_pk_mul_f16 v165, v153, v164
	v_pk_mul_f16 v156, v154, v164
	v_fma_mix_f32 v163, v163, v165, v165 op_sel:[0,0,1] op_sel_hi:[0,1,1]
	v_fma_mix_f32 v155, v155, v156, v156 op_sel:[0,0,1] op_sel_hi:[0,1,1]
	v_add_f32_e32 v138, v138, v163
	v_add_f32_e32 v142, v142, v155
	ds_read_b128 v[155:158], v145 offset:2048
	ds_read_b128 v[159:162], v145 offset:2064
	ds_read2_b32 v[163:164], v144 offset0:64 offset1:96
	s_waitcnt lgkmcnt(2)
	v_dot4_i32_i8 v165, v5, v155, 0
	s_waitcnt lgkmcnt(1)
	v_dot4_i32_i8 v165, v6, v159, v165
	v_dot4_i32_i8 v165, v7, v156, v165
	;; [unrolled: 1-line block ×7, first 2 shown]
	v_cvt_f32_i32_e32 v165, v165
	s_waitcnt lgkmcnt(0)
	v_pk_mul_f16 v166, v151, v163
	v_fma_mix_f32 v165, v165, v166, v166 op_sel:[0,0,1] op_sel_hi:[0,1,1]
	v_add_f32_e32 v115, v115, v165
	v_dot4_i32_i8 v165, v13, v155, 0
	v_dot4_i32_i8 v165, v14, v159, v165
	;; [unrolled: 1-line block ×8, first 2 shown]
	v_cvt_f32_i32_e32 v165, v165
	v_pk_mul_f16 v166, v152, v163
	v_fma_mix_f32 v165, v165, v166, v166 op_sel:[0,0,1] op_sel_hi:[0,1,1]
	v_add_f32_e32 v129, v129, v165
	v_dot4_i32_i8 v165, v21, v155, 0
	v_dot4_i32_i8 v155, v29, v155, 0
	;; [unrolled: 1-line block ×11, first 2 shown]
	v_cvt_f32_i32_e32 v155, v155
	v_dot4_i32_i8 v165, v24, v160, v165
	v_dot4_i32_i8 v165, v25, v157, v165
	v_dot4_i32_i8 v165, v26, v161, v165
	v_pk_mul_f16 v156, v154, v163
	v_dot4_i32_i8 v165, v27, v158, v165
	v_fma_mix_f32 v155, v155, v156, v156 op_sel:[0,0,1] op_sel_hi:[0,1,1]
	v_dot4_i32_i8 v165, v28, v162, v165
	v_add_f32_e32 v141, v141, v155
	ds_read_b128 v[155:158], v145 offset:3072
	ds_read_b128 v[159:162], v145 offset:3088
	v_pk_mul_f16 v166, v153, v163
	v_cvt_f32_i32_e32 v165, v165
	s_waitcnt lgkmcnt(1)
	v_dot4_i32_i8 v163, v5, v155, 0
	s_waitcnt lgkmcnt(0)
	v_dot4_i32_i8 v163, v6, v159, v163
	v_dot4_i32_i8 v163, v7, v156, v163
	v_dot4_i32_i8 v163, v8, v160, v163
	v_dot4_i32_i8 v163, v9, v157, v163
	v_dot4_i32_i8 v163, v10, v161, v163
	v_dot4_i32_i8 v163, v11, v158, v163
	v_dot4_i32_i8 v163, v12, v162, v163
	v_cvt_f32_i32_e32 v163, v163
	v_fma_mix_f32 v165, v165, v166, v166 op_sel:[0,0,1] op_sel_hi:[0,1,1]
	v_add_f32_e32 v136, v136, v165
	v_pk_mul_f16 v165, v151, v164
	v_fma_mix_f32 v163, v163, v165, v165 op_sel:[0,0,1] op_sel_hi:[0,1,1]
	v_add_f32_e32 v109, v109, v163
	v_dot4_i32_i8 v163, v13, v155, 0
	v_dot4_i32_i8 v163, v14, v159, v163
	;; [unrolled: 1-line block ×8, first 2 shown]
	v_cvt_f32_i32_e32 v163, v163
	v_pk_mul_f16 v165, v152, v164
	v_fma_mix_f32 v163, v163, v165, v165 op_sel:[0,0,1] op_sel_hi:[0,1,1]
	v_add_f32_e32 v123, v123, v163
	v_dot4_i32_i8 v163, v21, v155, 0
	v_dot4_i32_i8 v155, v29, v155, 0
	v_dot4_i32_i8 v163, v22, v159, v163
	v_dot4_i32_i8 v155, v30, v159, v155
	v_dot4_i32_i8 v163, v23, v156, v163
	v_dot4_i32_i8 v155, v31, v156, v155
	v_dot4_i32_i8 v163, v24, v160, v163
	v_dot4_i32_i8 v155, v32, v160, v155
	v_dot4_i32_i8 v163, v25, v157, v163
	v_dot4_i32_i8 v155, v33, v157, v155
	v_dot4_i32_i8 v163, v26, v161, v163
	v_dot4_i32_i8 v155, v34, v161, v155
	v_dot4_i32_i8 v163, v27, v158, v163
	v_dot4_i32_i8 v155, v35, v158, v155
	v_dot4_i32_i8 v163, v28, v162, v163
	v_dot4_i32_i8 v155, v36, v162, v155
	v_cvt_f32_i32_e32 v163, v163
	v_cvt_f32_i32_e32 v155, v155
	v_pk_mul_f16 v165, v153, v164
	v_pk_mul_f16 v156, v154, v164
	v_fma_mix_f32 v163, v163, v165, v165 op_sel:[0,0,1] op_sel_hi:[0,1,1]
	v_fma_mix_f32 v155, v155, v156, v156 op_sel:[0,0,1] op_sel_hi:[0,1,1]
	v_add_f32_e32 v133, v133, v163
	v_add_f32_e32 v139, v139, v155
	ds_read_b128 v[155:158], v145 offset:4096
	ds_read_b128 v[159:162], v145 offset:4112
	ds_read2_b32 v[163:164], v144 offset0:128 offset1:160
	s_waitcnt lgkmcnt(2)
	v_dot4_i32_i8 v165, v5, v155, 0
	s_waitcnt lgkmcnt(1)
	v_dot4_i32_i8 v165, v6, v159, v165
	v_dot4_i32_i8 v165, v7, v156, v165
	v_dot4_i32_i8 v165, v8, v160, v165
	v_dot4_i32_i8 v165, v9, v157, v165
	v_dot4_i32_i8 v165, v10, v161, v165
	v_dot4_i32_i8 v165, v11, v158, v165
	v_dot4_i32_i8 v165, v12, v162, v165
	v_cvt_f32_i32_e32 v165, v165
	s_waitcnt lgkmcnt(0)
	v_pk_mul_f16 v166, v151, v163
	v_fma_mix_f32 v165, v165, v166, v166 op_sel:[0,0,1] op_sel_hi:[0,1,1]
	v_add_f32_e32 v105, v105, v165
	v_dot4_i32_i8 v165, v13, v155, 0
	v_dot4_i32_i8 v165, v14, v159, v165
	;; [unrolled: 1-line block ×8, first 2 shown]
	v_cvt_f32_i32_e32 v165, v165
	v_pk_mul_f16 v166, v152, v163
	v_fma_mix_f32 v165, v165, v166, v166 op_sel:[0,0,1] op_sel_hi:[0,1,1]
	v_add_f32_e32 v117, v117, v165
	v_dot4_i32_i8 v165, v21, v155, 0
	v_dot4_i32_i8 v155, v29, v155, 0
	;; [unrolled: 1-line block ×11, first 2 shown]
	v_cvt_f32_i32_e32 v155, v155
	v_dot4_i32_i8 v165, v24, v160, v165
	v_dot4_i32_i8 v165, v25, v157, v165
	;; [unrolled: 1-line block ×3, first 2 shown]
	v_pk_mul_f16 v156, v154, v163
	v_dot4_i32_i8 v165, v27, v158, v165
	v_fma_mix_f32 v155, v155, v156, v156 op_sel:[0,0,1] op_sel_hi:[0,1,1]
	v_dot4_i32_i8 v165, v28, v162, v165
	v_add_f32_e32 v137, v137, v155
	ds_read_b128 v[155:158], v145 offset:5120
	ds_read_b128 v[159:162], v145 offset:5136
	v_pk_mul_f16 v166, v153, v163
	v_cvt_f32_i32_e32 v165, v165
	s_waitcnt lgkmcnt(1)
	v_dot4_i32_i8 v163, v5, v155, 0
	s_waitcnt lgkmcnt(0)
	v_dot4_i32_i8 v163, v6, v159, v163
	v_dot4_i32_i8 v163, v7, v156, v163
	;; [unrolled: 1-line block ×7, first 2 shown]
	v_cvt_f32_i32_e32 v163, v163
	v_fma_mix_f32 v165, v165, v166, v166 op_sel:[0,0,1] op_sel_hi:[0,1,1]
	v_add_f32_e32 v130, v130, v165
	v_pk_mul_f16 v165, v151, v164
	v_fma_mix_f32 v163, v163, v165, v165 op_sel:[0,0,1] op_sel_hi:[0,1,1]
	v_add_f32_e32 v101, v101, v163
	v_dot4_i32_i8 v163, v13, v155, 0
	v_dot4_i32_i8 v163, v14, v159, v163
	;; [unrolled: 1-line block ×8, first 2 shown]
	v_cvt_f32_i32_e32 v163, v163
	v_pk_mul_f16 v165, v152, v164
	v_fma_mix_f32 v163, v163, v165, v165 op_sel:[0,0,1] op_sel_hi:[0,1,1]
	v_add_f32_e32 v111, v111, v163
	v_dot4_i32_i8 v163, v21, v155, 0
	v_dot4_i32_i8 v155, v29, v155, 0
	;; [unrolled: 1-line block ×16, first 2 shown]
	v_cvt_f32_i32_e32 v163, v163
	v_cvt_f32_i32_e32 v155, v155
	v_pk_mul_f16 v165, v153, v164
	v_pk_mul_f16 v156, v154, v164
	v_fma_mix_f32 v163, v163, v165, v165 op_sel:[0,0,1] op_sel_hi:[0,1,1]
	v_fma_mix_f32 v155, v155, v156, v156 op_sel:[0,0,1] op_sel_hi:[0,1,1]
	v_add_f32_e32 v125, v125, v163
	v_add_f32_e32 v134, v134, v155
	ds_read_b128 v[155:158], v145 offset:6144
	ds_read_b128 v[159:162], v145 offset:6160
	ds_read2_b32 v[163:164], v144 offset0:192 offset1:224
	v_add_u32_e32 v144, 4, v144
	s_waitcnt lgkmcnt(2)
	v_dot4_i32_i8 v165, v5, v155, 0
	s_waitcnt lgkmcnt(1)
	v_dot4_i32_i8 v165, v6, v159, v165
	v_dot4_i32_i8 v165, v7, v156, v165
	;; [unrolled: 1-line block ×7, first 2 shown]
	v_cvt_f32_i32_e32 v165, v165
	s_waitcnt lgkmcnt(0)
	v_pk_mul_f16 v166, v151, v163
	v_fma_mix_f32 v165, v165, v166, v166 op_sel:[0,0,1] op_sel_hi:[0,1,1]
	v_add_f32_e32 v97, v97, v165
	v_dot4_i32_i8 v165, v13, v155, 0
	v_dot4_i32_i8 v165, v14, v159, v165
	;; [unrolled: 1-line block ×8, first 2 shown]
	v_cvt_f32_i32_e32 v165, v165
	v_pk_mul_f16 v166, v152, v163
	v_fma_mix_f32 v165, v165, v166, v166 op_sel:[0,0,1] op_sel_hi:[0,1,1]
	v_add_f32_e32 v106, v106, v165
	v_dot4_i32_i8 v165, v21, v155, 0
	v_dot4_i32_i8 v155, v29, v155, 0
	;; [unrolled: 1-line block ×11, first 2 shown]
	v_cvt_f32_i32_e32 v155, v155
	v_dot4_i32_i8 v165, v24, v160, v165
	v_dot4_i32_i8 v165, v25, v157, v165
	;; [unrolled: 1-line block ×3, first 2 shown]
	v_pk_mul_f16 v156, v154, v163
	v_dot4_i32_i8 v165, v27, v158, v165
	v_fma_mix_f32 v155, v155, v156, v156 op_sel:[0,0,1] op_sel_hi:[0,1,1]
	v_dot4_i32_i8 v165, v28, v162, v165
	v_add_f32_e32 v131, v131, v155
	ds_read_b128 v[155:158], v145 offset:7168
	ds_read_b128 v[159:162], v145 offset:7184
	v_cvt_f32_i32_e32 v165, v165
	v_pk_mul_f16 v166, v153, v163
	v_add_u32_e32 v145, 32, v145
	s_waitcnt lgkmcnt(1)
	v_dot4_i32_i8 v5, v5, v155, 0
	s_waitcnt lgkmcnt(0)
	v_dot4_i32_i8 v5, v6, v159, v5
	v_dot4_i32_i8 v5, v7, v156, v5
	;; [unrolled: 1-line block ×7, first 2 shown]
	v_cvt_f32_i32_e32 v5, v5
	v_pk_mul_f16 v6, v151, v164
	v_fma_mix_f32 v165, v165, v166, v166 op_sel:[0,0,1] op_sel_hi:[0,1,1]
	v_add_f32_e32 v119, v119, v165
	v_fma_mix_f32 v5, v5, v6, v6 op_sel:[0,0,1] op_sel_hi:[0,1,1]
	v_add_f32_e32 v94, v94, v5
	v_dot4_i32_i8 v5, v13, v155, 0
	v_dot4_i32_i8 v5, v14, v159, v5
	v_dot4_i32_i8 v5, v15, v156, v5
	v_dot4_i32_i8 v5, v16, v160, v5
	v_dot4_i32_i8 v5, v17, v157, v5
	v_dot4_i32_i8 v5, v18, v161, v5
	v_dot4_i32_i8 v5, v19, v158, v5
	v_dot4_i32_i8 v5, v20, v162, v5
	v_cvt_f32_i32_e32 v5, v5
	v_pk_mul_f16 v6, v152, v164
	v_fma_mix_f32 v5, v5, v6, v6 op_sel:[0,0,1] op_sel_hi:[0,1,1]
	v_add_f32_e32 v103, v103, v5
	v_dot4_i32_i8 v5, v21, v155, 0
	v_dot4_i32_i8 v5, v22, v159, v5
	v_dot4_i32_i8 v5, v23, v156, v5
	v_dot4_i32_i8 v5, v24, v160, v5
	v_dot4_i32_i8 v5, v25, v157, v5
	v_dot4_i32_i8 v5, v26, v161, v5
	v_dot4_i32_i8 v5, v27, v158, v5
	v_dot4_i32_i8 v5, v28, v162, v5
	v_cvt_f32_i32_e32 v5, v5
	v_pk_mul_f16 v6, v153, v164
	;; [unrolled: 12-line block ×3, first 2 shown]
	v_fma_mix_f32 v5, v5, v6, v6 op_sel:[0,0,1] op_sel_hi:[0,1,1]
	v_add_f32_e32 v127, v127, v5
	s_cbranch_scc1 .LBB143_11
; %bb.12:                               ;   in Loop: Header=BB143_6 Depth=1
	s_barrier
	s_branch .LBB143_5
.LBB143_13:
	v_cvt_f16_f32_e32 v11, v39
	v_cvt_f16_f32_e32 v12, v135
	;; [unrolled: 1-line block ×32, first 2 shown]
	v_mov_b32_e32 v34, v37
.LBB143_14:
	v_cmp_gt_u32_e32 vcc, s8, v34
	s_and_saveexec_b64 s[0:1], vcc
	s_cbranch_execz .LBB143_65
; %bb.15:
	v_mul_lo_u32 v34, v34, s10
	v_add_u32_e32 v0, s6, v0
	v_cmp_gt_u32_e32 vcc, s10, v0
	s_and_saveexec_b64 s[2:3], vcc
	s_cbranch_execz .LBB143_17
; %bb.16:
	v_add_u32_e32 v35, v0, v34
	v_mov_b32_e32 v36, 0
	v_lshlrev_b64 v[35:36], 1, v[35:36]
	s_waitcnt lgkmcnt(0)
	v_mov_b32_e32 v37, s13
	v_add_co_u32_e64 v35, s[0:1], s12, v35
	v_addc_co_u32_e64 v36, s[0:1], v37, v36, s[0:1]
	global_store_short v[35:36], v11, off
.LBB143_17:
	s_or_b64 exec, exec, s[2:3]
	v_add_u32_e32 v11, 32, v0
	v_cmp_gt_u32_e64 s[0:1], s10, v11
	s_and_saveexec_b64 s[4:5], s[0:1]
	s_cbranch_execz .LBB143_19
; %bb.18:
	v_add_u32_e32 v35, v11, v34
	v_mov_b32_e32 v36, 0
	v_lshlrev_b64 v[35:36], 1, v[35:36]
	s_waitcnt lgkmcnt(0)
	v_mov_b32_e32 v37, s13
	v_add_co_u32_e64 v35, s[2:3], s12, v35
	v_addc_co_u32_e64 v36, s[2:3], v37, v36, s[2:3]
	global_store_short v[35:36], v12, off
.LBB143_19:
	s_or_b64 exec, exec, s[4:5]
	v_add_u32_e32 v12, 64, v0
	v_cmp_gt_u32_e64 s[2:3], s10, v12
	s_and_saveexec_b64 s[6:7], s[2:3]
	;; [unrolled: 15-line block ×3, first 2 shown]
	s_cbranch_execz .LBB143_23
; %bb.22:
	v_add_u32_e32 v34, v13, v34
	v_mov_b32_e32 v35, 0
	v_lshlrev_b64 v[34:35], 1, v[34:35]
	s_waitcnt lgkmcnt(0)
	v_mov_b32_e32 v36, s13
	v_add_co_u32_e64 v34, s[6:7], s12, v34
	v_addc_co_u32_e64 v35, s[6:7], v36, v35, s[6:7]
	global_store_short v[34:35], v33, off
.LBB143_23:
	s_or_b64 exec, exec, s[14:15]
	v_add3_u32 v33, v1, s11, 8
	v_cmp_gt_u32_e64 s[6:7], s8, v33
	s_and_b64 exec, exec, s[6:7]
	s_cbranch_execz .LBB143_65
; %bb.24:
	v_mul_lo_u32 v33, v33, s10
	s_and_saveexec_b64 s[14:15], vcc
	s_cbranch_execnz .LBB143_66
; %bb.25:
	s_or_b64 exec, exec, s[14:15]
	s_and_saveexec_b64 s[14:15], s[0:1]
	s_cbranch_execnz .LBB143_67
.LBB143_26:
	s_or_b64 exec, exec, s[14:15]
	s_and_saveexec_b64 s[14:15], s[2:3]
	s_cbranch_execnz .LBB143_68
.LBB143_27:
	s_or_b64 exec, exec, s[14:15]
	s_and_saveexec_b64 s[14:15], s[4:5]
	s_cbranch_execz .LBB143_29
.LBB143_28:
	v_add_u32_e32 v30, v33, v13
	v_mov_b32_e32 v31, 0
	v_lshlrev_b64 v[30:31], 1, v[30:31]
	s_waitcnt lgkmcnt(0)
	v_mov_b32_e32 v32, s13
	v_add_co_u32_e64 v30, s[6:7], s12, v30
	v_addc_co_u32_e64 v31, s[6:7], v32, v31, s[6:7]
	global_store_short v[30:31], v29, off
.LBB143_29:
	s_or_b64 exec, exec, s[14:15]
	v_add3_u32 v29, v1, s11, 16
	v_cmp_gt_u32_e64 s[6:7], s8, v29
	s_and_b64 exec, exec, s[6:7]
	s_cbranch_execz .LBB143_65
; %bb.30:
	v_mul_lo_u32 v29, v29, s10
	s_and_saveexec_b64 s[14:15], vcc
	s_cbranch_execnz .LBB143_69
; %bb.31:
	s_or_b64 exec, exec, s[14:15]
	s_and_saveexec_b64 s[14:15], s[0:1]
	s_cbranch_execnz .LBB143_70
.LBB143_32:
	s_or_b64 exec, exec, s[14:15]
	s_and_saveexec_b64 s[14:15], s[2:3]
	s_cbranch_execnz .LBB143_71
.LBB143_33:
	s_or_b64 exec, exec, s[14:15]
	s_and_saveexec_b64 s[14:15], s[4:5]
	s_cbranch_execz .LBB143_35
.LBB143_34:
	v_add_u32_e32 v26, v29, v13
	v_mov_b32_e32 v27, 0
	v_lshlrev_b64 v[26:27], 1, v[26:27]
	s_waitcnt lgkmcnt(0)
	v_mov_b32_e32 v28, s13
	v_add_co_u32_e64 v26, s[6:7], s12, v26
	v_addc_co_u32_e64 v27, s[6:7], v28, v27, s[6:7]
	global_store_short v[26:27], v25, off
.LBB143_35:
	s_or_b64 exec, exec, s[14:15]
	v_add3_u32 v25, v1, s11, 24
	v_cmp_gt_u32_e64 s[6:7], s8, v25
	s_and_b64 exec, exec, s[6:7]
	s_cbranch_execz .LBB143_65
; %bb.36:
	v_mul_lo_u32 v25, v25, s10
	s_and_saveexec_b64 s[14:15], vcc
	s_cbranch_execnz .LBB143_72
; %bb.37:
	s_or_b64 exec, exec, s[14:15]
	s_and_saveexec_b64 s[14:15], s[0:1]
	s_cbranch_execnz .LBB143_73
.LBB143_38:
	s_or_b64 exec, exec, s[14:15]
	s_and_saveexec_b64 s[14:15], s[2:3]
	s_cbranch_execnz .LBB143_74
.LBB143_39:
	s_or_b64 exec, exec, s[14:15]
	s_and_saveexec_b64 s[14:15], s[4:5]
	s_cbranch_execz .LBB143_41
.LBB143_40:
	v_add_u32_e32 v22, v25, v13
	v_mov_b32_e32 v23, 0
	v_lshlrev_b64 v[22:23], 1, v[22:23]
	s_waitcnt lgkmcnt(0)
	v_mov_b32_e32 v24, s13
	v_add_co_u32_e64 v22, s[6:7], s12, v22
	v_addc_co_u32_e64 v23, s[6:7], v24, v23, s[6:7]
	global_store_short v[22:23], v21, off
.LBB143_41:
	s_or_b64 exec, exec, s[14:15]
	v_add3_u32 v21, v1, s11, 32
	v_cmp_gt_u32_e64 s[6:7], s8, v21
	s_and_b64 exec, exec, s[6:7]
	s_cbranch_execz .LBB143_65
; %bb.42:
	v_mul_lo_u32 v21, v21, s10
	s_and_saveexec_b64 s[14:15], vcc
	s_cbranch_execnz .LBB143_75
; %bb.43:
	s_or_b64 exec, exec, s[14:15]
	s_and_saveexec_b64 s[14:15], s[0:1]
	s_cbranch_execnz .LBB143_76
.LBB143_44:
	s_or_b64 exec, exec, s[14:15]
	s_and_saveexec_b64 s[14:15], s[2:3]
	s_cbranch_execnz .LBB143_77
.LBB143_45:
	s_or_b64 exec, exec, s[14:15]
	s_and_saveexec_b64 s[14:15], s[4:5]
	s_cbranch_execz .LBB143_47
.LBB143_46:
	v_add_u32_e32 v18, v21, v13
	v_mov_b32_e32 v19, 0
	v_lshlrev_b64 v[18:19], 1, v[18:19]
	s_waitcnt lgkmcnt(0)
	v_mov_b32_e32 v20, s13
	v_add_co_u32_e64 v18, s[6:7], s12, v18
	v_addc_co_u32_e64 v19, s[6:7], v20, v19, s[6:7]
	global_store_short v[18:19], v17, off
.LBB143_47:
	s_or_b64 exec, exec, s[14:15]
	v_add3_u32 v17, v1, s11, 40
	v_cmp_gt_u32_e64 s[6:7], s8, v17
	s_and_b64 exec, exec, s[6:7]
	s_cbranch_execz .LBB143_65
; %bb.48:
	v_mul_lo_u32 v17, v17, s10
	s_and_saveexec_b64 s[14:15], vcc
	s_cbranch_execnz .LBB143_78
; %bb.49:
	s_or_b64 exec, exec, s[14:15]
	s_and_saveexec_b64 s[14:15], s[0:1]
	s_cbranch_execnz .LBB143_79
.LBB143_50:
	s_or_b64 exec, exec, s[14:15]
	s_and_saveexec_b64 s[14:15], s[2:3]
	s_cbranch_execnz .LBB143_80
.LBB143_51:
	s_or_b64 exec, exec, s[14:15]
	s_and_saveexec_b64 s[14:15], s[4:5]
	s_cbranch_execz .LBB143_53
.LBB143_52:
	v_add_u32_e32 v14, v17, v13
	v_mov_b32_e32 v15, 0
	v_lshlrev_b64 v[14:15], 1, v[14:15]
	s_waitcnt lgkmcnt(0)
	v_mov_b32_e32 v16, s13
	v_add_co_u32_e64 v14, s[6:7], s12, v14
	v_addc_co_u32_e64 v15, s[6:7], v16, v15, s[6:7]
	global_store_short v[14:15], v10, off
.LBB143_53:
	s_or_b64 exec, exec, s[14:15]
	v_add3_u32 v10, v1, s11, 48
	v_cmp_gt_u32_e64 s[6:7], s8, v10
	s_and_b64 exec, exec, s[6:7]
	s_cbranch_execz .LBB143_65
; %bb.54:
	v_mul_lo_u32 v10, v10, s10
	s_and_saveexec_b64 s[14:15], vcc
	s_cbranch_execnz .LBB143_81
; %bb.55:
	s_or_b64 exec, exec, s[14:15]
	s_and_saveexec_b64 s[14:15], s[0:1]
	s_cbranch_execnz .LBB143_82
.LBB143_56:
	s_or_b64 exec, exec, s[14:15]
	s_and_saveexec_b64 s[14:15], s[2:3]
	s_cbranch_execnz .LBB143_83
.LBB143_57:
	s_or_b64 exec, exec, s[14:15]
	s_and_saveexec_b64 s[14:15], s[4:5]
	s_cbranch_execz .LBB143_59
.LBB143_58:
	v_add_u32_e32 v7, v10, v13
	v_mov_b32_e32 v8, 0
	v_lshlrev_b64 v[7:8], 1, v[7:8]
	s_waitcnt lgkmcnt(0)
	v_mov_b32_e32 v9, s13
	v_add_co_u32_e64 v7, s[6:7], s12, v7
	v_addc_co_u32_e64 v8, s[6:7], v9, v8, s[6:7]
	global_store_short v[7:8], v6, off
.LBB143_59:
	s_or_b64 exec, exec, s[14:15]
	v_add3_u32 v1, v1, s11, 56
	v_cmp_gt_u32_e64 s[6:7], s8, v1
	s_and_b64 exec, exec, s[6:7]
	s_cbranch_execz .LBB143_65
; %bb.60:
	v_mul_lo_u32 v1, v1, s10
	s_and_saveexec_b64 s[6:7], vcc
	s_cbranch_execnz .LBB143_84
; %bb.61:
	s_or_b64 exec, exec, s[6:7]
	s_and_saveexec_b64 s[6:7], s[0:1]
	s_cbranch_execnz .LBB143_85
.LBB143_62:
	s_or_b64 exec, exec, s[6:7]
	s_and_saveexec_b64 s[0:1], s[2:3]
	s_cbranch_execnz .LBB143_86
.LBB143_63:
	s_or_b64 exec, exec, s[0:1]
	s_and_b64 exec, exec, s[4:5]
	s_cbranch_execz .LBB143_65
.LBB143_64:
	v_add_u32_e32 v0, v1, v13
	v_mov_b32_e32 v1, 0
	v_lshlrev_b64 v[0:1], 1, v[0:1]
	s_waitcnt lgkmcnt(0)
	v_mov_b32_e32 v3, s13
	v_add_co_u32_e32 v0, vcc, s12, v0
	v_addc_co_u32_e32 v1, vcc, v3, v1, vcc
	global_store_short v[0:1], v2, off
.LBB143_65:
	s_endpgm
.LBB143_66:
	v_add_u32_e32 v34, v33, v0
	v_mov_b32_e32 v35, 0
	v_lshlrev_b64 v[34:35], 1, v[34:35]
	s_waitcnt lgkmcnt(0)
	v_mov_b32_e32 v36, s13
	v_add_co_u32_e64 v34, s[6:7], s12, v34
	v_addc_co_u32_e64 v35, s[6:7], v36, v35, s[6:7]
	global_store_short v[34:35], v32, off
	s_or_b64 exec, exec, s[14:15]
	s_and_saveexec_b64 s[14:15], s[0:1]
	s_cbranch_execz .LBB143_26
.LBB143_67:
	v_add_u32_e32 v34, v33, v11
	v_mov_b32_e32 v35, 0
	v_lshlrev_b64 v[34:35], 1, v[34:35]
	s_waitcnt lgkmcnt(0)
	v_mov_b32_e32 v32, s13
	v_add_co_u32_e64 v34, s[6:7], s12, v34
	v_addc_co_u32_e64 v35, s[6:7], v32, v35, s[6:7]
	global_store_short v[34:35], v31, off
	s_or_b64 exec, exec, s[14:15]
	s_and_saveexec_b64 s[14:15], s[2:3]
	s_cbranch_execz .LBB143_27
.LBB143_68:
	v_add_u32_e32 v31, v33, v12
	v_mov_b32_e32 v32, 0
	v_lshlrev_b64 v[31:32], 1, v[31:32]
	s_waitcnt lgkmcnt(0)
	v_mov_b32_e32 v34, s13
	v_add_co_u32_e64 v31, s[6:7], s12, v31
	v_addc_co_u32_e64 v32, s[6:7], v34, v32, s[6:7]
	global_store_short v[31:32], v30, off
	s_or_b64 exec, exec, s[14:15]
	s_and_saveexec_b64 s[14:15], s[4:5]
	s_cbranch_execnz .LBB143_28
	s_branch .LBB143_29
.LBB143_69:
	v_add_u32_e32 v30, v29, v0
	v_mov_b32_e32 v31, 0
	v_lshlrev_b64 v[30:31], 1, v[30:31]
	s_waitcnt lgkmcnt(0)
	v_mov_b32_e32 v32, s13
	v_add_co_u32_e64 v30, s[6:7], s12, v30
	v_addc_co_u32_e64 v31, s[6:7], v32, v31, s[6:7]
	global_store_short v[30:31], v28, off
	s_or_b64 exec, exec, s[14:15]
	s_and_saveexec_b64 s[14:15], s[0:1]
	s_cbranch_execz .LBB143_32
.LBB143_70:
	v_add_u32_e32 v30, v29, v11
	v_mov_b32_e32 v31, 0
	v_lshlrev_b64 v[30:31], 1, v[30:31]
	s_waitcnt lgkmcnt(0)
	v_mov_b32_e32 v28, s13
	v_add_co_u32_e64 v30, s[6:7], s12, v30
	v_addc_co_u32_e64 v31, s[6:7], v28, v31, s[6:7]
	global_store_short v[30:31], v27, off
	s_or_b64 exec, exec, s[14:15]
	s_and_saveexec_b64 s[14:15], s[2:3]
	s_cbranch_execz .LBB143_33
.LBB143_71:
	v_add_u32_e32 v27, v29, v12
	v_mov_b32_e32 v28, 0
	v_lshlrev_b64 v[27:28], 1, v[27:28]
	s_waitcnt lgkmcnt(0)
	v_mov_b32_e32 v30, s13
	v_add_co_u32_e64 v27, s[6:7], s12, v27
	v_addc_co_u32_e64 v28, s[6:7], v30, v28, s[6:7]
	global_store_short v[27:28], v26, off
	s_or_b64 exec, exec, s[14:15]
	s_and_saveexec_b64 s[14:15], s[4:5]
	s_cbranch_execnz .LBB143_34
	s_branch .LBB143_35
.LBB143_72:
	v_add_u32_e32 v26, v25, v0
	v_mov_b32_e32 v27, 0
	v_lshlrev_b64 v[26:27], 1, v[26:27]
	s_waitcnt lgkmcnt(0)
	v_mov_b32_e32 v28, s13
	v_add_co_u32_e64 v26, s[6:7], s12, v26
	v_addc_co_u32_e64 v27, s[6:7], v28, v27, s[6:7]
	global_store_short v[26:27], v24, off
	s_or_b64 exec, exec, s[14:15]
	s_and_saveexec_b64 s[14:15], s[0:1]
	s_cbranch_execz .LBB143_38
.LBB143_73:
	v_add_u32_e32 v26, v25, v11
	v_mov_b32_e32 v27, 0
	v_lshlrev_b64 v[26:27], 1, v[26:27]
	s_waitcnt lgkmcnt(0)
	v_mov_b32_e32 v24, s13
	v_add_co_u32_e64 v26, s[6:7], s12, v26
	v_addc_co_u32_e64 v27, s[6:7], v24, v27, s[6:7]
	global_store_short v[26:27], v23, off
	s_or_b64 exec, exec, s[14:15]
	s_and_saveexec_b64 s[14:15], s[2:3]
	s_cbranch_execz .LBB143_39
.LBB143_74:
	v_add_u32_e32 v23, v25, v12
	v_mov_b32_e32 v24, 0
	v_lshlrev_b64 v[23:24], 1, v[23:24]
	s_waitcnt lgkmcnt(0)
	v_mov_b32_e32 v26, s13
	v_add_co_u32_e64 v23, s[6:7], s12, v23
	v_addc_co_u32_e64 v24, s[6:7], v26, v24, s[6:7]
	global_store_short v[23:24], v22, off
	s_or_b64 exec, exec, s[14:15]
	s_and_saveexec_b64 s[14:15], s[4:5]
	s_cbranch_execnz .LBB143_40
	s_branch .LBB143_41
.LBB143_75:
	v_add_u32_e32 v22, v21, v0
	v_mov_b32_e32 v23, 0
	v_lshlrev_b64 v[22:23], 1, v[22:23]
	s_waitcnt lgkmcnt(0)
	v_mov_b32_e32 v24, s13
	v_add_co_u32_e64 v22, s[6:7], s12, v22
	v_addc_co_u32_e64 v23, s[6:7], v24, v23, s[6:7]
	global_store_short v[22:23], v20, off
	s_or_b64 exec, exec, s[14:15]
	s_and_saveexec_b64 s[14:15], s[0:1]
	s_cbranch_execz .LBB143_44
.LBB143_76:
	v_add_u32_e32 v22, v21, v11
	v_mov_b32_e32 v23, 0
	v_lshlrev_b64 v[22:23], 1, v[22:23]
	s_waitcnt lgkmcnt(0)
	v_mov_b32_e32 v20, s13
	v_add_co_u32_e64 v22, s[6:7], s12, v22
	v_addc_co_u32_e64 v23, s[6:7], v20, v23, s[6:7]
	global_store_short v[22:23], v19, off
	s_or_b64 exec, exec, s[14:15]
	s_and_saveexec_b64 s[14:15], s[2:3]
	s_cbranch_execz .LBB143_45
.LBB143_77:
	v_add_u32_e32 v19, v21, v12
	v_mov_b32_e32 v20, 0
	v_lshlrev_b64 v[19:20], 1, v[19:20]
	s_waitcnt lgkmcnt(0)
	v_mov_b32_e32 v22, s13
	v_add_co_u32_e64 v19, s[6:7], s12, v19
	v_addc_co_u32_e64 v20, s[6:7], v22, v20, s[6:7]
	global_store_short v[19:20], v18, off
	s_or_b64 exec, exec, s[14:15]
	s_and_saveexec_b64 s[14:15], s[4:5]
	s_cbranch_execnz .LBB143_46
	s_branch .LBB143_47
.LBB143_78:
	v_add_u32_e32 v18, v17, v0
	v_mov_b32_e32 v19, 0
	v_lshlrev_b64 v[18:19], 1, v[18:19]
	s_waitcnt lgkmcnt(0)
	v_mov_b32_e32 v20, s13
	v_add_co_u32_e64 v18, s[6:7], s12, v18
	v_addc_co_u32_e64 v19, s[6:7], v20, v19, s[6:7]
	global_store_short v[18:19], v16, off
	s_or_b64 exec, exec, s[14:15]
	s_and_saveexec_b64 s[14:15], s[0:1]
	s_cbranch_execz .LBB143_50
.LBB143_79:
	v_add_u32_e32 v18, v17, v11
	v_mov_b32_e32 v19, 0
	v_lshlrev_b64 v[18:19], 1, v[18:19]
	s_waitcnt lgkmcnt(0)
	v_mov_b32_e32 v16, s13
	v_add_co_u32_e64 v18, s[6:7], s12, v18
	v_addc_co_u32_e64 v19, s[6:7], v16, v19, s[6:7]
	global_store_short v[18:19], v15, off
	s_or_b64 exec, exec, s[14:15]
	s_and_saveexec_b64 s[14:15], s[2:3]
	s_cbranch_execz .LBB143_51
.LBB143_80:
	v_add_u32_e32 v15, v17, v12
	v_mov_b32_e32 v16, 0
	v_lshlrev_b64 v[15:16], 1, v[15:16]
	s_waitcnt lgkmcnt(0)
	v_mov_b32_e32 v18, s13
	v_add_co_u32_e64 v15, s[6:7], s12, v15
	v_addc_co_u32_e64 v16, s[6:7], v18, v16, s[6:7]
	global_store_short v[15:16], v14, off
	s_or_b64 exec, exec, s[14:15]
	s_and_saveexec_b64 s[14:15], s[4:5]
	s_cbranch_execnz .LBB143_52
	s_branch .LBB143_53
.LBB143_81:
	v_add_u32_e32 v14, v10, v0
	v_mov_b32_e32 v15, 0
	v_lshlrev_b64 v[14:15], 1, v[14:15]
	s_waitcnt lgkmcnt(0)
	v_mov_b32_e32 v16, s13
	v_add_co_u32_e64 v14, s[6:7], s12, v14
	v_addc_co_u32_e64 v15, s[6:7], v16, v15, s[6:7]
	global_store_short v[14:15], v9, off
	s_or_b64 exec, exec, s[14:15]
	s_and_saveexec_b64 s[14:15], s[0:1]
	s_cbranch_execz .LBB143_56
.LBB143_82:
	v_add_u32_e32 v14, v10, v11
	v_mov_b32_e32 v15, 0
	v_lshlrev_b64 v[14:15], 1, v[14:15]
	s_waitcnt lgkmcnt(0)
	v_mov_b32_e32 v9, s13
	v_add_co_u32_e64 v14, s[6:7], s12, v14
	v_addc_co_u32_e64 v15, s[6:7], v9, v15, s[6:7]
	global_store_short v[14:15], v8, off
	s_or_b64 exec, exec, s[14:15]
	s_and_saveexec_b64 s[14:15], s[2:3]
	s_cbranch_execz .LBB143_57
.LBB143_83:
	v_add_u32_e32 v8, v10, v12
	v_mov_b32_e32 v9, 0
	v_lshlrev_b64 v[8:9], 1, v[8:9]
	s_waitcnt lgkmcnt(0)
	v_mov_b32_e32 v14, s13
	v_add_co_u32_e64 v8, s[6:7], s12, v8
	v_addc_co_u32_e64 v9, s[6:7], v14, v9, s[6:7]
	global_store_short v[8:9], v7, off
	s_or_b64 exec, exec, s[14:15]
	s_and_saveexec_b64 s[14:15], s[4:5]
	s_cbranch_execnz .LBB143_58
	s_branch .LBB143_59
.LBB143_84:
	v_add_u32_e32 v6, v1, v0
	v_mov_b32_e32 v7, 0
	v_lshlrev_b64 v[6:7], 1, v[6:7]
	s_waitcnt lgkmcnt(0)
	v_mov_b32_e32 v0, s13
	v_add_co_u32_e32 v6, vcc, s12, v6
	v_addc_co_u32_e32 v7, vcc, v0, v7, vcc
	global_store_short v[6:7], v5, off
	s_or_b64 exec, exec, s[6:7]
	s_and_saveexec_b64 s[6:7], s[0:1]
	s_cbranch_execz .LBB143_62
.LBB143_85:
	v_add_u32_e32 v5, v1, v11
	v_mov_b32_e32 v6, 0
	v_lshlrev_b64 v[5:6], 1, v[5:6]
	s_waitcnt lgkmcnt(0)
	v_mov_b32_e32 v0, s13
	v_add_co_u32_e32 v5, vcc, s12, v5
	v_addc_co_u32_e32 v6, vcc, v0, v6, vcc
	global_store_short v[5:6], v4, off
	s_or_b64 exec, exec, s[6:7]
	s_and_saveexec_b64 s[0:1], s[2:3]
	s_cbranch_execz .LBB143_63
.LBB143_86:
	v_add_u32_e32 v4, v1, v12
	v_mov_b32_e32 v5, 0
	v_lshlrev_b64 v[4:5], 1, v[4:5]
	s_waitcnt lgkmcnt(0)
	v_mov_b32_e32 v0, s13
	v_add_co_u32_e32 v4, vcc, s12, v4
	v_addc_co_u32_e32 v5, vcc, v0, v5, vcc
	global_store_short v[4:5], v3, off
	s_or_b64 exec, exec, s[0:1]
	s_and_b64 exec, exec, s[4:5]
	s_cbranch_execnz .LBB143_64
	s_branch .LBB143_65
	.section	.rodata,"a",@progbits
	.p2align	6, 0x0
	.amdhsa_kernel _ZL12mul_mat_q5_1IN3c104HalfELb0EEvPKvS3_PT_iiiii
		.amdhsa_group_segment_fixed_size 46720
		.amdhsa_private_segment_fixed_size 0
		.amdhsa_kernarg_size 44
		.amdhsa_user_sgpr_count 6
		.amdhsa_user_sgpr_private_segment_buffer 1
		.amdhsa_user_sgpr_dispatch_ptr 0
		.amdhsa_user_sgpr_queue_ptr 0
		.amdhsa_user_sgpr_kernarg_segment_ptr 1
		.amdhsa_user_sgpr_dispatch_id 0
		.amdhsa_user_sgpr_flat_scratch_init 0
		.amdhsa_user_sgpr_private_segment_size 0
		.amdhsa_uses_dynamic_stack 0
		.amdhsa_system_sgpr_private_segment_wavefront_offset 0
		.amdhsa_system_sgpr_workgroup_id_x 1
		.amdhsa_system_sgpr_workgroup_id_y 1
		.amdhsa_system_sgpr_workgroup_id_z 0
		.amdhsa_system_sgpr_workgroup_info 0
		.amdhsa_system_vgpr_workitem_id 1
		.amdhsa_next_free_vgpr 168
		.amdhsa_next_free_sgpr 98
		.amdhsa_reserve_vcc 1
		.amdhsa_reserve_flat_scratch 0
		.amdhsa_float_round_mode_32 0
		.amdhsa_float_round_mode_16_64 0
		.amdhsa_float_denorm_mode_32 3
		.amdhsa_float_denorm_mode_16_64 3
		.amdhsa_dx10_clamp 1
		.amdhsa_ieee_mode 1
		.amdhsa_fp16_overflow 0
		.amdhsa_exception_fp_ieee_invalid_op 0
		.amdhsa_exception_fp_denorm_src 0
		.amdhsa_exception_fp_ieee_div_zero 0
		.amdhsa_exception_fp_ieee_overflow 0
		.amdhsa_exception_fp_ieee_underflow 0
		.amdhsa_exception_fp_ieee_inexact 0
		.amdhsa_exception_int_div_zero 0
	.end_amdhsa_kernel
	.section	.text._ZL12mul_mat_q5_1IN3c104HalfELb0EEvPKvS3_PT_iiiii,"axG",@progbits,_ZL12mul_mat_q5_1IN3c104HalfELb0EEvPKvS3_PT_iiiii,comdat
.Lfunc_end143:
	.size	_ZL12mul_mat_q5_1IN3c104HalfELb0EEvPKvS3_PT_iiiii, .Lfunc_end143-_ZL12mul_mat_q5_1IN3c104HalfELb0EEvPKvS3_PT_iiiii
                                        ; -- End function
	.set _ZL12mul_mat_q5_1IN3c104HalfELb0EEvPKvS3_PT_iiiii.num_vgpr, 168
	.set _ZL12mul_mat_q5_1IN3c104HalfELb0EEvPKvS3_PT_iiiii.num_agpr, 0
	.set _ZL12mul_mat_q5_1IN3c104HalfELb0EEvPKvS3_PT_iiiii.numbered_sgpr, 18
	.set _ZL12mul_mat_q5_1IN3c104HalfELb0EEvPKvS3_PT_iiiii.num_named_barrier, 0
	.set _ZL12mul_mat_q5_1IN3c104HalfELb0EEvPKvS3_PT_iiiii.private_seg_size, 0
	.set _ZL12mul_mat_q5_1IN3c104HalfELb0EEvPKvS3_PT_iiiii.uses_vcc, 1
	.set _ZL12mul_mat_q5_1IN3c104HalfELb0EEvPKvS3_PT_iiiii.uses_flat_scratch, 0
	.set _ZL12mul_mat_q5_1IN3c104HalfELb0EEvPKvS3_PT_iiiii.has_dyn_sized_stack, 0
	.set _ZL12mul_mat_q5_1IN3c104HalfELb0EEvPKvS3_PT_iiiii.has_recursion, 0
	.set _ZL12mul_mat_q5_1IN3c104HalfELb0EEvPKvS3_PT_iiiii.has_indirect_call, 0
	.section	.AMDGPU.csdata,"",@progbits
; Kernel info:
; codeLenInByte = 14720
; TotalNumSgprs: 22
; NumVgprs: 168
; ScratchSize: 0
; MemoryBound: 0
; FloatMode: 240
; IeeeMode: 1
; LDSByteSize: 46720 bytes/workgroup (compile time only)
; SGPRBlocks: 12
; VGPRBlocks: 41
; NumSGPRsForWavesPerEU: 102
; NumVGPRsForWavesPerEU: 168
; Occupancy: 1
; WaveLimiterHint : 0
; COMPUTE_PGM_RSRC2:SCRATCH_EN: 0
; COMPUTE_PGM_RSRC2:USER_SGPR: 6
; COMPUTE_PGM_RSRC2:TRAP_HANDLER: 0
; COMPUTE_PGM_RSRC2:TGID_X_EN: 1
; COMPUTE_PGM_RSRC2:TGID_Y_EN: 1
; COMPUTE_PGM_RSRC2:TGID_Z_EN: 0
; COMPUTE_PGM_RSRC2:TIDIG_COMP_CNT: 1
	.section	.text._ZL12mul_mat_q5_1IN3c104HalfELb1EEvPKvS3_PT_iiiii,"axG",@progbits,_ZL12mul_mat_q5_1IN3c104HalfELb1EEvPKvS3_PT_iiiii,comdat
	.globl	_ZL12mul_mat_q5_1IN3c104HalfELb1EEvPKvS3_PT_iiiii ; -- Begin function _ZL12mul_mat_q5_1IN3c104HalfELb1EEvPKvS3_PT_iiiii
	.p2align	8
	.type	_ZL12mul_mat_q5_1IN3c104HalfELb1EEvPKvS3_PT_iiiii,@function
_ZL12mul_mat_q5_1IN3c104HalfELb1EEvPKvS3_PT_iiiii: ; @_ZL12mul_mat_q5_1IN3c104HalfELb1EEvPKvS3_PT_iiiii
; %bb.0:
	s_load_dwordx4 s[8:11], s[4:5], 0x18
	s_load_dword s14, s[4:5], 0x28
	s_lshl_b32 s15, s7, 6
	v_add_u32_e32 v53, s15, v1
	s_waitcnt lgkmcnt(0)
	s_cmp_gt_i32 s8, 31
	s_cbranch_scc1 .LBB144_2
; %bb.1:
	v_add_u32_e32 v34, s15, v1
	s_mov_b64 s[0:1], 0
	s_branch .LBB144_3
.LBB144_2:
	s_mov_b64 s[0:1], -1
                                        ; implicit-def: $vgpr34
.LBB144_3:
	s_load_dwordx2 s[12:13], s[4:5], 0x10
	s_lshl_b32 s6, s6, 7
	v_mov_b32_e32 v2, 0
	s_andn2_b64 vcc, exec, s[0:1]
	v_mov_b32_e32 v6, 0
	v_mov_b32_e32 v10, 0
	;; [unrolled: 1-line block ×31, first 2 shown]
	s_cbranch_vccnz .LBB144_14
; %bb.4:
	s_load_dwordx4 s[0:3], s[4:5], 0x0
	s_ashr_i32 s4, s8, 31
	s_lshr_b32 s4, s4, 27
	s_ashr_i32 s5, s11, 31
	s_add_i32 s4, s8, s4
	s_lshr_b32 s5, s5, 27
	s_ashr_i32 s4, s4, 5
	s_add_i32 s5, s11, s5
	s_ashr_i32 s11, s5, 5
	s_mul_i32 s5, s4, s6
	s_mul_hi_i32 s7, s5, 24
	s_mul_i32 s5, s5, 24
	s_waitcnt lgkmcnt(0)
	s_add_u32 s5, s0, s5
	s_addc_u32 s7, s1, s7
	s_not_b32 s0, s6
	s_add_i32 s1, s9, s0
	v_and_b32_e32 v19, 3, v0
	v_min_i32_e32 v2, s1, v1
	v_lshlrev_b32_e32 v18, 3, v0
	s_movk_i32 s0, 0x104
	v_mul_lo_u32 v57, v2, s4
	v_mad_u64_u32 v[2:3], s[8:9], v2, s0, v[18:19]
	v_add_u32_e32 v28, 8, v1
	v_min_i32_e32 v3, s1, v28
	v_mul_lo_u32 v58, v3, s4
	v_mad_u64_u32 v[3:4], s[8:9], v3, s0, v[18:19]
	v_add_u32_e32 v29, 16, v1
	v_min_i32_e32 v4, s1, v29
	v_mul_lo_u32 v59, v4, s4
	v_mad_u64_u32 v[4:5], s[8:9], v4, s0, v[18:19]
	v_add_u32_e32 v32, 24, v1
	v_min_i32_e32 v5, s1, v32
	v_mul_lo_u32 v60, v5, s4
	v_mad_u64_u32 v[5:6], s[8:9], v5, s0, v[18:19]
	v_add_u32_e32 v33, 32, v1
	v_min_i32_e32 v6, s1, v33
	v_mul_lo_u32 v61, v6, s4
	v_mad_u64_u32 v[6:7], s[8:9], v6, s0, v[18:19]
	v_add_u32_e32 v34, 40, v1
	v_min_i32_e32 v7, s1, v34
	v_mul_lo_u32 v62, v7, s4
	v_mad_u64_u32 v[7:8], s[8:9], v7, s0, v[18:19]
	v_add_u32_e32 v35, 48, v1
	v_min_i32_e32 v8, s1, v35
	v_mul_lo_u32 v63, v8, s4
	v_mad_u64_u32 v[8:9], s[8:9], v8, s0, v[18:19]
	v_add_u32_e32 v36, 56, v1
	v_min_i32_e32 v9, s1, v36
	v_mul_lo_u32 v64, v9, s4
	v_mad_u64_u32 v[9:10], s[8:9], v9, s0, v[18:19]
	v_add_u32_e32 v10, 64, v1
	v_min_i32_e32 v10, s1, v10
	v_mul_lo_u32 v65, v10, s4
	v_mad_u64_u32 v[10:11], s[8:9], v10, s0, v[18:19]
	v_add_u32_e32 v11, 0x48, v1
	v_min_i32_e32 v11, s1, v11
	v_mul_lo_u32 v66, v11, s4
	v_mad_u64_u32 v[11:12], s[8:9], v11, s0, v[18:19]
	v_add_u32_e32 v12, 0x50, v1
	v_min_i32_e32 v12, s1, v12
	v_mul_lo_u32 v67, v12, s4
	v_mad_u64_u32 v[12:13], s[8:9], v12, s0, v[18:19]
	v_add_u32_e32 v13, 0x58, v1
	v_min_i32_e32 v13, s1, v13
	v_mul_lo_u32 v68, v13, s4
	v_mad_u64_u32 v[13:14], s[8:9], v13, s0, v[18:19]
	v_add_u32_e32 v14, 0x60, v1
	v_min_i32_e32 v14, s1, v14
	v_mul_lo_u32 v69, v14, s4
	v_mad_u64_u32 v[14:15], s[8:9], v14, s0, v[18:19]
	v_add_u32_e32 v15, 0x68, v1
	v_min_i32_e32 v15, s1, v15
	v_mul_lo_u32 v70, v15, s4
	v_mad_u64_u32 v[15:16], s[8:9], v15, s0, v[18:19]
	v_add_u32_e32 v16, 0x70, v1
	v_min_i32_e32 v16, s1, v16
	v_mul_lo_u32 v71, v16, s4
	v_mad_u64_u32 v[16:17], s[8:9], v16, s0, v[18:19]
	v_add_u32_e32 v17, 0x78, v1
	v_min_i32_e32 v17, s1, v17
	v_mul_lo_u32 v72, v17, s4
	v_mad_u64_u32 v[17:18], s[8:9], v17, s0, v[18:19]
	v_lshrrev_b32_e32 v74, 3, v0
	v_lshl_add_u32 v18, v1, 2, v74
	v_min_i32_e32 v20, s1, v18
	v_ashrrev_i32_e32 v21, 31, v20
	v_lshrrev_b32_e32 v21, 30, v21
	v_and_b32_e32 v73, 7, v0
	v_mul_lo_u32 v75, v20, s4
	v_add_u32_e32 v21, v20, v21
	v_lshlrev_b32_e32 v38, 5, v20
	v_add_u32_e32 v20, 32, v18
	v_and_b32_e32 v21, -4, v21
	v_lshlrev_b32_e32 v22, 2, v73
	s_mov_b32 s8, 0xa200
	v_min_i32_e32 v20, s1, v20
	v_add3_u32 v37, v21, v22, s8
	v_ashrrev_i32_e32 v21, 31, v20
	v_lshrrev_b32_e32 v21, 30, v21
	v_mul_lo_u32 v76, v20, s4
	v_add_u32_e32 v21, v20, v21
	v_lshlrev_b32_e32 v40, 5, v20
	v_add_u32_e32 v20, 64, v18
	v_and_b32_e32 v21, -4, v21
	v_min_i32_e32 v20, s1, v20
	v_add3_u32 v39, v21, v22, s8
	v_ashrrev_i32_e32 v21, 31, v20
	v_add_u32_e32 v18, 0x60, v18
	v_lshrrev_b32_e32 v21, 30, v21
	v_min_i32_e32 v18, s1, v18
	v_mul_lo_u32 v77, v20, s4
	v_add_u32_e32 v21, v20, v21
	v_lshlrev_b32_e32 v42, 5, v20
	v_ashrrev_i32_e32 v20, 31, v18
	v_lshrrev_b32_e32 v20, 30, v20
	v_add_u32_e32 v20, v18, v20
	v_and_b32_e32 v21, -4, v21
	v_and_b32_e32 v20, -4, v20
	v_add3_u32 v41, v21, v22, s8
	v_add3_u32 v43, v20, v22, s8
	s_add_i32 s1, s10, -1
	v_lshlrev_b32_e32 v22, 2, v0
	v_lshrrev_b32_e32 v54, 2, v0
	v_mul_lo_u32 v78, v18, s4
	v_lshlrev_b32_e32 v44, 5, v18
	v_cvt_f64_i32_e32 v[20:21], s1
	v_and_b32_e32 v18, 31, v0
	v_and_b32_e32 v45, 28, v22
	v_mov_b32_e32 v24, 0x8200
	v_cvt_f64_u32_e32 v[22:23], v53
	v_lshl_or_b32 v46, v18, 2, v24
	v_lshl_add_u32 v18, v1, 3, v54
	v_and_b32_e32 v30, 63, v18
	v_add_u32_e32 v18, 8, v53
	v_cvt_f64_u32_e32 v[24:25], v18
	v_add_u32_e32 v18, 16, v53
	v_min_f64 v[22:23], v[22:23], v[20:21]
	v_cvt_f64_u32_e32 v[26:27], v18
	v_min_f64 v[24:25], v[24:25], v[20:21]
	v_or_b32_e32 v18, s15, v30
	v_min_i32_e32 v18, s1, v18
	v_min_f64 v[26:27], v[26:27], v[20:21]
	v_lshlrev_b32_e32 v56, 2, v19
	v_mad_u64_u32 v[18:19], s[8:9], v18, s11, v[19:20]
	v_cvt_i32_f64_e32 v22, v[22:23]
	v_lshl_or_b32 v19, v30, 4, v56
	v_add_u32_e32 v79, 0xb280, v19
	v_cvt_i32_f64_e32 v19, v[24:25]
	v_mul_lo_u32 v80, s11, v22
	v_cvt_i32_f64_e32 v22, v[26:27]
	v_lshlrev_b32_e32 v48, 7, v28
	v_mul_lo_u32 v81, s11, v19
	v_add_u32_e32 v19, 24, v53
	v_mul_lo_u32 v82, s11, v22
	v_cvt_f64_u32_e32 v[22:23], v19
	v_add_u32_e32 v19, 32, v53
	v_cvt_f64_u32_e32 v[24:25], v19
	v_add_u32_e32 v19, 40, v53
	v_min_f64 v[22:23], v[22:23], v[20:21]
	v_cvt_f64_u32_e32 v[26:27], v19
	v_add_u32_e32 v19, 48, v53
	v_lshlrev_b32_e32 v49, 7, v29
	v_cvt_f64_u32_e32 v[28:29], v19
	v_add_u32_e32 v19, 56, v53
	v_cvt_f64_u32_e32 v[30:31], v19
	v_min_f64 v[24:25], v[24:25], v[20:21]
	v_min_f64 v[26:27], v[26:27], v[20:21]
	v_cvt_i32_f64_e32 v50, v[22:23]
	v_min_f64 v[22:23], v[28:29], v[20:21]
	v_min_f64 v[19:20], v[30:31], v[20:21]
	v_add_u32_e32 v28, 0x60, v0
	v_mul_lo_u32 v83, s11, v50
	v_lshlrev_b32_e32 v29, 5, v0
	v_cvt_i32_f64_e32 v24, v[24:25]
	v_cvt_i32_f64_e32 v25, v[26:27]
	v_add_u32_e32 v26, 32, v0
	v_cvt_i32_f64_e32 v22, v[22:23]
	v_cvt_i32_f64_e32 v19, v[19:20]
	v_mul_lo_u32 v84, s11, v24
	v_mul_lo_u32 v85, s11, v25
	;; [unrolled: 1-line block ×4, first 2 shown]
	v_add_u32_e32 v27, 64, v0
	v_lshrrev_b32_e32 v89, 3, v26
	v_and_b32_e32 v26, 0x1fc, v26
	v_and_b32_e32 v28, 0x1fc, v28
	;; [unrolled: 1-line block ×3, first 2 shown]
	v_add_u32_e32 v26, v29, v26
	v_and_b32_e32 v30, 0xfc, v0
	v_lshlrev_b32_e32 v47, 7, v1
	v_lshlrev_b32_e32 v21, 7, v32
	;; [unrolled: 1-line block ×6, first 2 shown]
	v_mov_b32_e32 v20, s3
	v_add_co_u32_e32 v19, vcc, s2, v45
	v_add_u32_e32 v28, v29, v28
	v_add_u32_e32 v27, v29, v27
	;; [unrolled: 1-line block ×4, first 2 shown]
	v_mov_b32_e32 v30, 0xb280
	v_add_u32_e32 v100, 0xa610, v26
	v_mov_b32_e32 v26, 0x80
	v_mov_b32_e32 v55, 0
	s_add_i32 s8, s4, 3
	v_mul_u32_u24_e32 v88, 0x104, v0
	v_addc_co_u32_e32 v20, vcc, 0, v20, vcc
	v_add_u32_e32 v90, 0xae00, v28
	v_add_u32_e32 v91, 0xaa00, v27
	;; [unrolled: 1-line block ×3, first 2 shown]
	v_lshl_add_u32 v95, v1, 4, v30
	v_add_u32_e32 v96, 0x8200, v47
	v_add_u32_e32 v98, 0xae10, v28
	;; [unrolled: 1-line block ×4, first 2 shown]
	v_mad_u32_u24 v104, v0, s0, v26
	s_mov_b32 s9, 0
	v_add_u32_e32 v107, v37, v38
	v_add_u32_e32 v108, v39, v40
	v_add_u32_e32 v110, v41, v42
	v_add_u32_e32 v112, v43, v44
	v_add_u32_e32 v114, v46, v47
	v_add_u32_e32 v116, v46, v48
	v_add_u32_e32 v118, v46, v49
	v_add_u32_e32 v120, v46, v21
	v_add_u32_e32 v122, v46, v24
	v_add_u32_e32 v124, v46, v23
	v_add_u32_e32 v126, v46, v22
	v_add_u32_e32 v128, v46, v25
	v_mov_b32_e32 v121, 0
	v_mov_b32_e32 v115, 0
	;; [unrolled: 1-line block ×31, first 2 shown]
	s_branch .LBB144_6
.LBB144_5:                              ;   in Loop: Header=BB144_6 Depth=1
	s_add_i32 s9, s9, 8
	s_add_i32 s8, s8, -8
	s_cmp_ge_i32 s9, s4
	s_cbranch_scc1 .LBB144_13
.LBB144_6:                              ; =>This Loop Header: Depth=1
                                        ;     Child Loop BB144_8 Depth 2
                                        ;     Child Loop BB144_11 Depth 2
	s_mul_i32 s0, s9, 24
	s_mul_hi_u32 s1, s9, 24
	s_add_u32 s0, s5, s0
	s_addc_u32 s1, s7, s1
	v_mad_u64_u32 v[21:22], s[16:17], v54, 24, s[0:1]
	s_cmp_gt_u32 s8, 3
	v_mad_i64_i32 v[23:24], s[16:17], v57, 24, v[21:22]
	v_mad_i64_i32 v[29:30], s[16:17], v60, 24, v[21:22]
	v_add_co_u32_e32 v25, vcc, v23, v56
	v_mad_i64_i32 v[27:28], s[16:17], v59, 24, v[21:22]
	v_addc_co_u32_e32 v26, vcc, 0, v24, vcc
	v_mad_i64_i32 v[31:32], s[16:17], v58, 24, v[21:22]
	global_load_dword v39, v[25:26], off offset:8
	global_load_dword v40, v[29:30], off offset:4
	;; [unrolled: 1-line block ×4, first 2 shown]
                                        ; kill: killed $vgpr25 killed $vgpr26
	global_load_dword v43, v[23:24], off offset:4
	v_add_co_u32_e32 v23, vcc, v31, v56
	v_addc_co_u32_e32 v24, vcc, 0, v32, vcc
	global_load_dword v44, v[23:24], off offset:8
	v_add_co_u32_e32 v23, vcc, v27, v56
	v_addc_co_u32_e32 v24, vcc, 0, v28, vcc
	v_add_co_u32_e32 v25, vcc, v29, v56
	v_addc_co_u32_e32 v26, vcc, 0, v30, vcc
	global_load_dword v45, v[23:24], off offset:8
	global_load_dword v46, v[25:26], off offset:8
	v_mad_i64_i32 v[23:24], s[16:17], v61, 24, v[21:22]
	v_mad_i64_i32 v[25:26], s[16:17], v62, 24, v[21:22]
	;; [unrolled: 1-line block ×3, first 2 shown]
	v_add_co_u32_e32 v31, vcc, v23, v56
	v_addc_co_u32_e32 v32, vcc, 0, v24, vcc
	v_mad_i64_i32 v[29:30], s[16:17], v64, 24, v[21:22]
	v_add_co_u32_e32 v33, vcc, v25, v56
	v_addc_co_u32_e32 v34, vcc, 0, v26, vcc
	v_add_co_u32_e32 v35, vcc, v27, v56
	v_addc_co_u32_e32 v36, vcc, 0, v28, vcc
	;; [unrolled: 2-line block ×3, first 2 shown]
	global_load_dword v31, v[31:32], off offset:8
	s_nop 0
	global_load_dword v47, v[33:34], off offset:8
	global_load_dword v48, v[35:36], off offset:8
	;; [unrolled: 1-line block ×6, first 2 shown]
	s_nop 0
	global_load_dword v23, v[23:24], off offset:4
	s_waitcnt vmcnt(15)
	v_lshrrev_b32_e32 v26, 4, v39
	v_and_b32_e32 v25, 0xf0f0f0f, v39
	v_and_b32_e32 v26, 0xf0f0f0f, v26
	s_waitcnt vmcnt(12)
	v_ashrrev_i32_e32 v27, v56, v42
	v_lshlrev_b32_e32 v37, 4, v27
	s_waitcnt vmcnt(11)
	v_ashrrev_i32_e32 v24, v56, v43
	v_lshlrev_b32_e32 v29, 4, v24
	v_lshlrev_b32_e32 v30, 11, v24
	v_lshrrev_b32_e32 v34, 12, v24
	v_lshrrev_b32_e32 v35, 5, v24
	v_lshlrev_b32_e32 v32, 18, v24
	v_lshlrev_b32_e32 v33, 25, v24
	v_lshlrev_b32_e32 v36, 2, v24
	v_lshlrev_b32_e32 v24, 9, v24
	v_and_b32_e32 v29, 16, v29
	v_and_b32_e32 v30, 0x1000, v30
	;; [unrolled: 1-line block ×8, first 2 shown]
	v_or3_b32 v25, v29, v25, v30
	v_or3_b32 v26, v34, v26, v35
	;; [unrolled: 1-line block ×4, first 2 shown]
	ds_write2_b32 v2, v25, v24 offset1:1
	v_lshlrev_b32_e32 v25, 11, v27
	s_waitcnt vmcnt(10)
	v_and_b32_e32 v28, 0xf0f0f0f, v44
	v_and_b32_e32 v24, 16, v37
	;; [unrolled: 1-line block ×3, first 2 shown]
	v_or3_b32 v24, v24, v28, v25
	v_lshlrev_b32_e32 v25, 18, v27
	v_lshlrev_b32_e32 v26, 25, v27
	v_and_b32_e32 v25, 0x100000, v25
	v_and_b32_e32 v26, 0x10000000, v26
	v_or3_b32 v24, v24, v25, v26
	v_lshrrev_b32_e32 v25, 4, v44
	v_lshrrev_b32_e32 v26, 12, v27
	;; [unrolled: 1-line block ×3, first 2 shown]
	v_and_b32_e32 v25, 0xf0f0f0f, v25
	v_and_b32_e32 v26, 16, v26
	;; [unrolled: 1-line block ×3, first 2 shown]
	v_or3_b32 v25, v26, v25, v28
	v_lshlrev_b32_e32 v26, 2, v27
	v_lshlrev_b32_e32 v27, 9, v27
	v_and_b32_e32 v26, 0x100000, v26
	v_and_b32_e32 v27, 0x10000000, v27
	v_or3_b32 v25, v25, v26, v27
	ds_write2_b32 v3, v24, v25 offset1:1
	v_ashrrev_i32_e32 v24, v56, v41
	v_lshlrev_b32_e32 v26, 4, v24
	v_lshlrev_b32_e32 v27, 11, v24
	s_waitcnt vmcnt(9)
	v_and_b32_e32 v25, 0xf0f0f0f, v45
	v_and_b32_e32 v26, 16, v26
	;; [unrolled: 1-line block ×3, first 2 shown]
	v_or3_b32 v25, v26, v25, v27
	v_lshlrev_b32_e32 v26, 18, v24
	v_lshlrev_b32_e32 v27, 25, v24
	v_and_b32_e32 v26, 0x100000, v26
	v_and_b32_e32 v27, 0x10000000, v27
	v_or3_b32 v25, v25, v26, v27
	v_lshrrev_b32_e32 v26, 4, v45
	v_lshrrev_b32_e32 v27, 12, v24
	;; [unrolled: 1-line block ×3, first 2 shown]
	v_and_b32_e32 v26, 0xf0f0f0f, v26
	v_and_b32_e32 v27, 16, v27
	;; [unrolled: 1-line block ×3, first 2 shown]
	v_or3_b32 v26, v27, v26, v28
	v_lshlrev_b32_e32 v27, 2, v24
	v_lshlrev_b32_e32 v24, 9, v24
	v_and_b32_e32 v27, 0x100000, v27
	v_and_b32_e32 v24, 0x10000000, v24
	v_or3_b32 v24, v26, v27, v24
	ds_write2_b32 v4, v25, v24 offset1:1
	v_ashrrev_i32_e32 v24, v56, v40
	v_lshlrev_b32_e32 v26, 4, v24
	v_lshlrev_b32_e32 v27, 11, v24
	s_waitcnt vmcnt(8)
	v_and_b32_e32 v25, 0xf0f0f0f, v46
	v_and_b32_e32 v26, 16, v26
	;; [unrolled: 1-line block ×3, first 2 shown]
	v_or3_b32 v25, v26, v25, v27
	v_lshlrev_b32_e32 v26, 18, v24
	v_lshlrev_b32_e32 v27, 25, v24
	v_and_b32_e32 v26, 0x100000, v26
	v_and_b32_e32 v27, 0x10000000, v27
	v_or3_b32 v25, v25, v26, v27
	v_lshrrev_b32_e32 v26, 4, v46
	v_lshrrev_b32_e32 v27, 12, v24
	;; [unrolled: 1-line block ×3, first 2 shown]
	v_and_b32_e32 v26, 0xf0f0f0f, v26
	v_and_b32_e32 v27, 16, v27
	;; [unrolled: 1-line block ×3, first 2 shown]
	v_or3_b32 v26, v27, v26, v28
	v_lshlrev_b32_e32 v27, 2, v24
	v_lshlrev_b32_e32 v24, 9, v24
	v_and_b32_e32 v27, 0x100000, v27
	v_and_b32_e32 v24, 0x10000000, v24
	v_or3_b32 v24, v26, v27, v24
	s_waitcnt vmcnt(0)
	v_ashrrev_i32_e32 v39, v56, v23
	ds_write2_b32 v5, v25, v24 offset1:1
	v_lshlrev_b32_e32 v24, 4, v39
	v_lshlrev_b32_e32 v25, 11, v39
	v_and_b32_e32 v23, 0xf0f0f0f, v31
	v_and_b32_e32 v24, 16, v24
	v_and_b32_e32 v25, 0x1000, v25
	v_or3_b32 v23, v24, v23, v25
	v_lshlrev_b32_e32 v24, 18, v39
	v_lshlrev_b32_e32 v25, 25, v39
	v_and_b32_e32 v24, 0x100000, v24
	v_and_b32_e32 v25, 0x10000000, v25
	v_or3_b32 v40, v23, v24, v25
	v_lshrrev_b32_e32 v23, 4, v31
	v_lshrrev_b32_e32 v24, 12, v39
	;; [unrolled: 1-line block ×3, first 2 shown]
	v_and_b32_e32 v23, 0xf0f0f0f, v23
	v_and_b32_e32 v24, 16, v24
	;; [unrolled: 1-line block ×3, first 2 shown]
	v_or3_b32 v41, v24, v23, v25
	v_lshlrev_b32_e32 v23, 2, v39
	v_and_b32_e32 v42, 0x100000, v23
	v_mad_i64_i32 v[23:24], s[16:17], v65, 24, v[21:22]
	v_mad_i64_i32 v[25:26], s[16:17], v66, 24, v[21:22]
	v_add_co_u32_e32 v27, vcc, v23, v56
	v_mad_i64_i32 v[31:32], s[16:17], v67, 24, v[21:22]
	v_addc_co_u32_e32 v28, vcc, 0, v24, vcc
	v_add_co_u32_e32 v29, vcc, v25, v56
	v_mad_i64_i32 v[33:34], s[16:17], v68, 24, v[21:22]
	v_addc_co_u32_e32 v30, vcc, 0, v26, vcc
	v_add_co_u32_e32 v35, vcc, v31, v56
	v_addc_co_u32_e32 v36, vcc, 0, v32, vcc
	v_add_co_u32_e32 v37, vcc, v33, v56
	v_addc_co_u32_e32 v38, vcc, 0, v34, vcc
	global_load_dword v27, v[27:28], off offset:8
	s_nop 0
	global_load_dword v43, v[29:30], off offset:8
	global_load_dword v44, v[35:36], off offset:8
	s_nop 0
	global_load_dword v37, v[37:38], off offset:8
	s_nop 0
	global_load_dword v38, v[33:34], off offset:4
	global_load_dword v45, v[31:32], off offset:4
	;; [unrolled: 1-line block ×3, first 2 shown]
	s_nop 0
	global_load_dword v23, v[23:24], off offset:4
	v_lshlrev_b32_e32 v24, 9, v39
	v_and_b32_e32 v24, 0x10000000, v24
	v_or3_b32 v24, v41, v42, v24
	ds_write2_b32 v6, v40, v24 offset1:1
	v_ashrrev_i32_e32 v24, v56, v52
	v_lshlrev_b32_e32 v26, 4, v24
	v_lshlrev_b32_e32 v28, 11, v24
	v_and_b32_e32 v25, 0xf0f0f0f, v47
	v_and_b32_e32 v26, 16, v26
	v_and_b32_e32 v28, 0x1000, v28
	v_or3_b32 v25, v26, v25, v28
	v_lshlrev_b32_e32 v26, 18, v24
	v_lshlrev_b32_e32 v28, 25, v24
	v_and_b32_e32 v26, 0x100000, v26
	v_and_b32_e32 v28, 0x10000000, v28
	v_or3_b32 v25, v25, v26, v28
	v_lshrrev_b32_e32 v26, 4, v47
	v_lshrrev_b32_e32 v28, 12, v24
	v_lshrrev_b32_e32 v29, 5, v24
	v_and_b32_e32 v26, 0xf0f0f0f, v26
	v_and_b32_e32 v28, 16, v28
	v_and_b32_e32 v29, 0x1000, v29
	v_or3_b32 v26, v28, v26, v29
	v_lshlrev_b32_e32 v28, 2, v24
	v_lshlrev_b32_e32 v24, 9, v24
	v_and_b32_e32 v28, 0x100000, v28
	v_and_b32_e32 v24, 0x10000000, v24
	v_or3_b32 v24, v26, v28, v24
	ds_write2_b32 v7, v25, v24 offset1:1
	v_ashrrev_i32_e32 v24, v56, v51
	v_lshlrev_b32_e32 v26, 4, v24
	v_lshlrev_b32_e32 v28, 11, v24
	v_and_b32_e32 v25, 0xf0f0f0f, v48
	v_and_b32_e32 v26, 16, v26
	v_and_b32_e32 v28, 0x1000, v28
	v_or3_b32 v25, v26, v25, v28
	v_lshlrev_b32_e32 v26, 18, v24
	v_lshlrev_b32_e32 v28, 25, v24
	v_and_b32_e32 v26, 0x100000, v26
	v_and_b32_e32 v28, 0x10000000, v28
	v_or3_b32 v25, v25, v26, v28
	v_lshrrev_b32_e32 v26, 4, v48
	v_lshrrev_b32_e32 v28, 12, v24
	v_lshrrev_b32_e32 v29, 5, v24
	v_and_b32_e32 v26, 0xf0f0f0f, v26
	v_and_b32_e32 v28, 16, v28
	v_and_b32_e32 v29, 0x1000, v29
	v_or3_b32 v26, v28, v26, v29
	v_lshlrev_b32_e32 v28, 2, v24
	v_lshlrev_b32_e32 v24, 9, v24
	v_and_b32_e32 v28, 0x100000, v28
	;; [unrolled: 25-line block ×3, first 2 shown]
	v_and_b32_e32 v24, 0x10000000, v24
	v_or3_b32 v24, v26, v28, v24
	ds_write2_b32 v9, v25, v24 offset1:1
	s_waitcnt vmcnt(0)
	v_ashrrev_i32_e32 v39, v56, v23
	v_lshlrev_b32_e32 v24, 4, v39
	v_lshlrev_b32_e32 v25, 11, v39
	v_and_b32_e32 v23, 0xf0f0f0f, v27
	v_and_b32_e32 v24, 16, v24
	;; [unrolled: 1-line block ×3, first 2 shown]
	v_or3_b32 v23, v24, v23, v25
	v_lshlrev_b32_e32 v24, 18, v39
	v_lshlrev_b32_e32 v25, 25, v39
	v_and_b32_e32 v24, 0x100000, v24
	v_and_b32_e32 v25, 0x10000000, v25
	v_or3_b32 v40, v23, v24, v25
	v_lshrrev_b32_e32 v23, 4, v27
	v_lshrrev_b32_e32 v24, 12, v39
	;; [unrolled: 1-line block ×3, first 2 shown]
	v_and_b32_e32 v23, 0xf0f0f0f, v23
	v_and_b32_e32 v24, 16, v24
	;; [unrolled: 1-line block ×3, first 2 shown]
	v_or3_b32 v41, v24, v23, v25
	v_lshlrev_b32_e32 v23, 2, v39
	v_and_b32_e32 v42, 0x100000, v23
	v_mad_i64_i32 v[23:24], s[16:17], v69, 24, v[21:22]
	v_mad_i64_i32 v[25:26], s[16:17], v70, 24, v[21:22]
	v_add_co_u32_e32 v27, vcc, v23, v56
	v_mad_i64_i32 v[31:32], s[16:17], v71, 24, v[21:22]
	v_addc_co_u32_e32 v28, vcc, 0, v24, vcc
	v_add_co_u32_e32 v29, vcc, v25, v56
	v_mad_i64_i32 v[21:22], s[16:17], v72, 24, v[21:22]
	v_addc_co_u32_e32 v30, vcc, 0, v26, vcc
	v_add_co_u32_e32 v33, vcc, v31, v56
	v_addc_co_u32_e32 v34, vcc, 0, v32, vcc
	v_add_co_u32_e32 v35, vcc, v21, v56
	v_addc_co_u32_e32 v36, vcc, 0, v22, vcc
	global_load_dword v27, v[27:28], off offset:8
	s_nop 0
	global_load_dword v29, v[29:30], off offset:8
	s_nop 0
	;; [unrolled: 2-line block ×3, first 2 shown]
	global_load_dword v33, v[35:36], off offset:8
	global_load_dword v34, v[21:22], off offset:4
	s_nop 0
	global_load_dword v31, v[31:32], off offset:4
	s_nop 0
	global_load_dword v32, v[25:26], off offset:4
	global_load_dword v21, v[23:24], off offset:4
	v_lshlrev_b32_e32 v22, 9, v39
	v_and_b32_e32 v22, 0x10000000, v22
	v_or3_b32 v22, v41, v42, v22
	ds_write2_b32 v10, v40, v22 offset1:1
	v_ashrrev_i32_e32 v22, v56, v46
	v_lshlrev_b32_e32 v24, 4, v22
	v_lshlrev_b32_e32 v25, 11, v22
	v_and_b32_e32 v23, 0xf0f0f0f, v43
	v_and_b32_e32 v24, 16, v24
	v_and_b32_e32 v25, 0x1000, v25
	v_or3_b32 v23, v24, v23, v25
	v_lshlrev_b32_e32 v24, 18, v22
	v_lshlrev_b32_e32 v25, 25, v22
	v_and_b32_e32 v24, 0x100000, v24
	v_and_b32_e32 v25, 0x10000000, v25
	v_or3_b32 v23, v23, v24, v25
	v_lshrrev_b32_e32 v24, 4, v43
	v_lshrrev_b32_e32 v25, 12, v22
	v_lshrrev_b32_e32 v26, 5, v22
	v_and_b32_e32 v24, 0xf0f0f0f, v24
	v_and_b32_e32 v25, 16, v25
	v_and_b32_e32 v26, 0x1000, v26
	v_or3_b32 v24, v25, v24, v26
	v_lshlrev_b32_e32 v25, 2, v22
	v_lshlrev_b32_e32 v22, 9, v22
	v_and_b32_e32 v25, 0x100000, v25
	v_and_b32_e32 v22, 0x10000000, v22
	v_or3_b32 v22, v24, v25, v22
	ds_write2_b32 v11, v23, v22 offset1:1
	v_ashrrev_i32_e32 v22, v56, v45
	v_lshlrev_b32_e32 v24, 4, v22
	v_lshlrev_b32_e32 v25, 11, v22
	v_and_b32_e32 v23, 0xf0f0f0f, v44
	v_and_b32_e32 v24, 16, v24
	v_and_b32_e32 v25, 0x1000, v25
	v_or3_b32 v23, v24, v23, v25
	v_lshlrev_b32_e32 v24, 18, v22
	v_lshlrev_b32_e32 v25, 25, v22
	v_and_b32_e32 v24, 0x100000, v24
	v_and_b32_e32 v25, 0x10000000, v25
	v_or3_b32 v23, v23, v24, v25
	v_lshrrev_b32_e32 v24, 4, v44
	v_lshrrev_b32_e32 v25, 12, v22
	v_lshrrev_b32_e32 v26, 5, v22
	v_and_b32_e32 v24, 0xf0f0f0f, v24
	v_and_b32_e32 v25, 16, v25
	v_and_b32_e32 v26, 0x1000, v26
	v_or3_b32 v24, v25, v24, v26
	v_lshlrev_b32_e32 v25, 2, v22
	v_lshlrev_b32_e32 v22, 9, v22
	v_and_b32_e32 v25, 0x100000, v25
	;; [unrolled: 25-line block ×3, first 2 shown]
	v_and_b32_e32 v22, 0x10000000, v22
	v_or3_b32 v22, v24, v25, v22
	ds_write2_b32 v13, v23, v22 offset1:1
	s_waitcnt vmcnt(0)
	v_ashrrev_i32_e32 v21, v56, v21
	v_lshlrev_b32_e32 v23, 4, v21
	v_lshlrev_b32_e32 v24, 11, v21
	v_and_b32_e32 v22, 0xf0f0f0f, v27
	v_and_b32_e32 v23, 16, v23
	;; [unrolled: 1-line block ×3, first 2 shown]
	v_or3_b32 v22, v23, v22, v24
	v_lshlrev_b32_e32 v23, 18, v21
	v_lshlrev_b32_e32 v24, 25, v21
	v_and_b32_e32 v23, 0x100000, v23
	v_and_b32_e32 v24, 0x10000000, v24
	v_or3_b32 v35, v22, v23, v24
	v_lshrrev_b32_e32 v22, 4, v27
	v_lshrrev_b32_e32 v23, 12, v21
	;; [unrolled: 1-line block ×3, first 2 shown]
	v_and_b32_e32 v22, 0xf0f0f0f, v22
	v_and_b32_e32 v23, 16, v23
	v_and_b32_e32 v24, 0x1000, v24
	v_or3_b32 v23, v23, v22, v24
	v_lshlrev_b32_e32 v22, 2, v21
	v_and_b32_e32 v24, 0x100000, v22
	v_lshlrev_b32_e32 v25, 9, v21
	v_mad_u64_u32 v[21:22], s[0:1], v73, 24, s[0:1]
	v_and_b32_e32 v25, 0x10000000, v25
	v_or3_b32 v36, v23, v24, v25
	v_mad_i64_i32 v[23:24], s[0:1], v75, 24, v[21:22]
	v_mad_i64_i32 v[25:26], s[0:1], v76, 24, v[21:22]
	;; [unrolled: 1-line block ×4, first 2 shown]
	global_load_dword v23, v[23:24], off
	s_nop 0
	global_load_dword v24, v[25:26], off
	s_nop 0
	global_load_dword v25, v[27:28], off
	v_and_b32_e32 v26, 0xf0f0f0f, v29
	global_load_dword v21, v[21:22], off
	v_ashrrev_i32_e32 v22, v56, v32
	v_lshlrev_b32_e32 v27, 4, v22
	v_lshlrev_b32_e32 v28, 11, v22
	v_and_b32_e32 v27, 16, v27
	v_and_b32_e32 v28, 0x1000, v28
	v_or3_b32 v26, v27, v26, v28
	v_lshlrev_b32_e32 v27, 18, v22
	v_lshlrev_b32_e32 v28, 25, v22
	v_and_b32_e32 v27, 0x100000, v27
	v_and_b32_e32 v28, 0x10000000, v28
	v_or3_b32 v26, v26, v27, v28
	v_lshrrev_b32_e32 v27, 4, v29
	v_lshrrev_b32_e32 v28, 12, v22
	;; [unrolled: 1-line block ×3, first 2 shown]
	v_and_b32_e32 v27, 0xf0f0f0f, v27
	v_and_b32_e32 v28, 16, v28
	;; [unrolled: 1-line block ×3, first 2 shown]
	v_or3_b32 v27, v28, v27, v29
	v_lshlrev_b32_e32 v28, 2, v22
	v_lshlrev_b32_e32 v22, 9, v22
	v_and_b32_e32 v28, 0x100000, v28
	v_and_b32_e32 v22, 0x10000000, v22
	v_or3_b32 v22, v27, v28, v22
	ds_write2_b32 v14, v35, v36 offset1:1
	ds_write2_b32 v15, v26, v22 offset1:1
	v_ashrrev_i32_e32 v22, v56, v31
	v_lshlrev_b32_e32 v27, 4, v22
	v_lshlrev_b32_e32 v28, 11, v22
	v_and_b32_e32 v26, 0xf0f0f0f, v30
	v_and_b32_e32 v27, 16, v27
	v_and_b32_e32 v28, 0x1000, v28
	v_or3_b32 v26, v27, v26, v28
	v_lshlrev_b32_e32 v27, 18, v22
	v_lshlrev_b32_e32 v28, 25, v22
	v_and_b32_e32 v27, 0x100000, v27
	v_and_b32_e32 v28, 0x10000000, v28
	v_or3_b32 v26, v26, v27, v28
	v_lshrrev_b32_e32 v27, 4, v30
	v_lshrrev_b32_e32 v28, 12, v22
	;; [unrolled: 1-line block ×3, first 2 shown]
	v_and_b32_e32 v27, 0xf0f0f0f, v27
	v_and_b32_e32 v28, 16, v28
	v_and_b32_e32 v29, 0x1000, v29
	v_or3_b32 v27, v28, v27, v29
	v_lshlrev_b32_e32 v28, 2, v22
	v_lshlrev_b32_e32 v22, 9, v22
	v_and_b32_e32 v28, 0x100000, v28
	v_and_b32_e32 v22, 0x10000000, v22
	v_or3_b32 v22, v27, v28, v22
	ds_write2_b32 v16, v26, v22 offset1:1
	v_ashrrev_i32_e32 v22, v56, v34
	v_lshlrev_b32_e32 v27, 4, v22
	v_lshlrev_b32_e32 v28, 11, v22
	v_and_b32_e32 v26, 0xf0f0f0f, v33
	v_and_b32_e32 v27, 16, v27
	;; [unrolled: 1-line block ×3, first 2 shown]
	v_or3_b32 v26, v27, v26, v28
	v_lshlrev_b32_e32 v27, 18, v22
	v_lshlrev_b32_e32 v28, 25, v22
	v_and_b32_e32 v27, 0x100000, v27
	v_and_b32_e32 v28, 0x10000000, v28
	v_or3_b32 v26, v26, v27, v28
	v_lshrrev_b32_e32 v27, 4, v33
	v_lshrrev_b32_e32 v28, 12, v22
	;; [unrolled: 1-line block ×3, first 2 shown]
	v_and_b32_e32 v27, 0xf0f0f0f, v27
	v_and_b32_e32 v28, 16, v28
	;; [unrolled: 1-line block ×3, first 2 shown]
	v_or3_b32 v27, v28, v27, v29
	v_lshlrev_b32_e32 v28, 2, v22
	v_lshlrev_b32_e32 v22, 9, v22
	v_and_b32_e32 v28, 0x100000, v28
	v_and_b32_e32 v22, 0x10000000, v22
	v_or3_b32 v22, v27, v28, v22
	ds_write2_b32 v17, v26, v22 offset1:1
	s_waitcnt vmcnt(3)
	ds_write_b32 v107, v23
	s_waitcnt vmcnt(2)
	ds_write_b32 v108, v24
	s_waitcnt vmcnt(1)
	ds_write_b32 v110, v25
	s_waitcnt vmcnt(0)
	ds_write_b32 v112, v21
	s_cbranch_scc0 .LBB144_5
; %bb.7:                                ;   in Loop: Header=BB144_6 Depth=1
	v_add_u32_e32 v144, s9, v18
	v_add_u32_e32 v37, s9, v74
	;; [unrolled: 1-line block ×3, first 2 shown]
	v_mad_u64_u32 v[35:36], s[0:1], v144, 36, s[2:3]
	v_mad_i64_i32 v[21:22], s[0:1], v21, 36, v[19:20]
	v_add_u32_e32 v23, v37, v81
	v_mad_i64_i32 v[23:24], s[0:1], v23, 36, v[19:20]
	v_add_u32_e32 v25, v37, v82
	v_add_u32_e32 v27, v37, v83
	v_mad_i64_i32 v[25:26], s[0:1], v25, 36, v[19:20]
	v_mad_i64_i32 v[27:28], s[0:1], v27, 36, v[19:20]
	v_add_u32_e32 v29, v37, v84
	v_add_u32_e32 v31, v37, v85
	v_add_u32_e32 v33, v37, v86
	v_add_u32_e32 v37, v37, v87
	v_mad_i64_i32 v[29:30], s[0:1], v29, 36, v[19:20]
	v_mad_i64_i32 v[31:32], s[0:1], v31, 36, v[19:20]
	v_mad_i64_i32 v[33:34], s[0:1], v33, 36, v[19:20]
	v_mad_i64_i32 v[37:38], s[0:1], v37, 36, v[19:20]
	global_load_dword v35, v[35:36], off
	s_nop 0
	global_load_dword v21, v[21:22], off offset:4
	s_nop 0
	global_load_dword v22, v[23:24], off offset:4
	s_nop 0
	global_load_dword v23, v[25:26], off offset:4
	global_load_dword v24, v[27:28], off offset:4
	s_nop 0
	global_load_dword v25, v[29:30], off offset:4
	global_load_dword v26, v[31:32], off offset:4
                                        ; kill: killed $vgpr29_vgpr30
                                        ; kill: killed $vgpr31_vgpr32
	global_load_dword v27, v[33:34], off offset:4
	global_load_dword v28, v[37:38], off offset:4
	s_mov_b32 s0, -4
	v_mov_b32_e32 v145, v96
	v_mov_b32_e32 v146, v88
	;; [unrolled: 1-line block ×7, first 2 shown]
	s_waitcnt vmcnt(8)
	ds_write_b32 v79, v35
	s_waitcnt vmcnt(7)
	ds_write_b32 v114, v21
	;; [unrolled: 2-line block ×9, first 2 shown]
	s_waitcnt lgkmcnt(0)
	s_barrier
.LBB144_8:                              ;   Parent Loop BB144_6 Depth=1
                                        ; =>  This Inner Loop Header: Depth=2
	ds_read_b128 v[156:159], v145
	ds_read_b128 v[160:163], v145 offset:16
	ds_read2_b32 v[164:165], v147 offset1:32
	ds_read_b32 v152, v148
	ds_read2_b32 v[21:22], v146 offset1:1
	s_add_i32 s0, s0, 4
	v_add_u32_e32 v148, 4, v148
	s_cmp_lt_u32 s0, 12
	s_waitcnt lgkmcnt(1)
	v_pk_mul_f16 v30, v164, v152
	s_waitcnt lgkmcnt(0)
	v_dot4_i32_i8 v23, v21, v156, 0
	v_dot4_i32_i8 v25, v22, v160, v23
	ds_read2_b32 v[23:24], v146 offset0:2 offset1:3
	v_pk_mul_f16 v166, v152, v165
	s_waitcnt lgkmcnt(0)
	v_dot4_i32_i8 v25, v23, v157, v25
	v_dot4_i32_i8 v27, v24, v161, v25
	ds_read2_b32 v[25:26], v146 offset0:4 offset1:5
	s_waitcnt lgkmcnt(0)
	v_dot4_i32_i8 v27, v25, v158, v27
	v_dot4_i32_i8 v29, v26, v162, v27
	ds_read2_b32 v[27:28], v146 offset0:6 offset1:7
	s_waitcnt lgkmcnt(0)
	v_dot4_i32_i8 v29, v27, v159, v29
	v_dot4_i32_i8 v29, v28, v163, v29
	v_cvt_f32_i32_e32 v29, v29
	v_fma_mix_f32 v29, v30, v29, v30 op_sel:[0,0,1] op_sel_hi:[1,0,1]
	v_add_f32_e32 v55, v55, v29
	v_add_u32_e32 v29, 0x2080, v146
	ds_read_b32 v153, v149
	ds_read2_b32 v[29:30], v29 offset1:1
	v_add_u32_e32 v149, 4, v149
	s_waitcnt lgkmcnt(1)
	v_pk_mul_f16 v38, v164, v153
	s_waitcnt lgkmcnt(0)
	v_dot4_i32_i8 v31, v29, v156, 0
	v_dot4_i32_i8 v33, v30, v160, v31
	v_add_u32_e32 v31, 0x2088, v146
	ds_read2_b32 v[31:32], v31 offset1:1
	s_waitcnt lgkmcnt(0)
	v_dot4_i32_i8 v33, v31, v157, v33
	v_dot4_i32_i8 v35, v32, v161, v33
	v_add_u32_e32 v33, 0x2090, v146
	ds_read2_b32 v[33:34], v33 offset1:1
	;; [unrolled: 5-line block ×3, first 2 shown]
	s_waitcnt lgkmcnt(0)
	v_dot4_i32_i8 v37, v35, v159, v37
	v_dot4_i32_i8 v37, v36, v163, v37
	v_cvt_f32_i32_e32 v37, v37
	v_fma_mix_f32 v37, v38, v37, v38 op_sel:[0,0,1] op_sel_hi:[1,0,1]
	v_add_f32_e32 v135, v135, v37
	v_add_u32_e32 v37, 0x4100, v146
	ds_read_b32 v154, v150
	ds_read2_b32 v[37:38], v37 offset1:1
	v_add_u32_e32 v150, 4, v150
	s_waitcnt lgkmcnt(1)
	v_pk_mul_f16 v46, v164, v154
	s_waitcnt lgkmcnt(0)
	v_dot4_i32_i8 v39, v37, v156, 0
	v_dot4_i32_i8 v41, v38, v160, v39
	v_add_u32_e32 v39, 0x4108, v146
	ds_read2_b32 v[39:40], v39 offset1:1
	s_waitcnt lgkmcnt(0)
	v_dot4_i32_i8 v41, v39, v157, v41
	v_dot4_i32_i8 v43, v40, v161, v41
	v_add_u32_e32 v41, 0x4110, v146
	ds_read2_b32 v[41:42], v41 offset1:1
	;; [unrolled: 5-line block ×3, first 2 shown]
	s_waitcnt lgkmcnt(0)
	v_dot4_i32_i8 v45, v43, v159, v45
	v_dot4_i32_i8 v45, v44, v163, v45
	v_cvt_f32_i32_e32 v45, v45
	v_fma_mix_f32 v45, v46, v45, v46 op_sel:[0,0,1] op_sel_hi:[1,0,1]
	v_add_f32_e32 v140, v140, v45
	v_add_u32_e32 v45, 0x6180, v146
	ds_read_b32 v155, v151
	ds_read2_b32 v[45:46], v45 offset1:1
	v_add_u32_e32 v151, 4, v151
	s_waitcnt lgkmcnt(0)
	v_dot4_i32_i8 v47, v45, v156, 0
	v_dot4_i32_i8 v49, v46, v160, v47
	v_add_u32_e32 v47, 0x6188, v146
	ds_read2_b32 v[47:48], v47 offset1:1
	s_waitcnt lgkmcnt(0)
	v_dot4_i32_i8 v49, v47, v157, v49
	v_dot4_i32_i8 v51, v48, v161, v49
	v_add_u32_e32 v49, 0x6190, v146
	ds_read2_b32 v[49:50], v49 offset1:1
	v_pk_mul_f16 v157, v164, v155
	s_waitcnt lgkmcnt(0)
	v_dot4_i32_i8 v51, v49, v158, v51
	v_dot4_i32_i8 v156, v50, v162, v51
	v_add_u32_e32 v51, 0x6198, v146
	ds_read2_b32 v[51:52], v51 offset1:1
	v_add_u32_e32 v146, 32, v146
	s_waitcnt lgkmcnt(0)
	v_dot4_i32_i8 v156, v51, v159, v156
	v_dot4_i32_i8 v156, v52, v163, v156
	v_cvt_f32_i32_e32 v156, v156
	v_fma_mix_f32 v156, v157, v156, v157 op_sel:[0,0,1] op_sel_hi:[1,0,1]
	v_add_f32_e32 v143, v143, v156
	ds_read_b128 v[156:159], v145 offset:1024
	ds_read_b128 v[160:163], v145 offset:1040
	s_waitcnt lgkmcnt(1)
	v_dot4_i32_i8 v164, v21, v156, 0
	s_waitcnt lgkmcnt(0)
	v_dot4_i32_i8 v164, v22, v160, v164
	v_dot4_i32_i8 v164, v23, v157, v164
	v_dot4_i32_i8 v164, v24, v161, v164
	v_dot4_i32_i8 v164, v25, v158, v164
	v_dot4_i32_i8 v164, v26, v162, v164
	v_dot4_i32_i8 v164, v27, v159, v164
	v_dot4_i32_i8 v164, v28, v163, v164
	v_cvt_f32_i32_e32 v164, v164
	v_fma_mix_f32 v164, v164, v166, v166 op_sel:[0,0,1] op_sel_hi:[0,1,1]
	v_add_f32_e32 v121, v121, v164
	v_dot4_i32_i8 v164, v29, v156, 0
	v_dot4_i32_i8 v164, v30, v160, v164
	;; [unrolled: 1-line block ×8, first 2 shown]
	v_cvt_f32_i32_e32 v164, v164
	v_pk_mul_f16 v166, v153, v165
	v_fma_mix_f32 v164, v164, v166, v166 op_sel:[0,0,1] op_sel_hi:[0,1,1]
	v_add_f32_e32 v132, v132, v164
	v_dot4_i32_i8 v164, v37, v156, 0
	v_dot4_i32_i8 v156, v45, v156, 0
	v_dot4_i32_i8 v164, v38, v160, v164
	v_dot4_i32_i8 v156, v46, v160, v156
	v_dot4_i32_i8 v164, v39, v157, v164
	v_dot4_i32_i8 v156, v47, v157, v156
	v_dot4_i32_i8 v164, v40, v161, v164
	v_dot4_i32_i8 v156, v48, v161, v156
	v_dot4_i32_i8 v164, v41, v158, v164
	v_dot4_i32_i8 v156, v49, v158, v156
	v_dot4_i32_i8 v164, v42, v162, v164
	v_dot4_i32_i8 v156, v50, v162, v156
	v_dot4_i32_i8 v164, v43, v159, v164
	v_dot4_i32_i8 v156, v51, v159, v156
	v_dot4_i32_i8 v164, v44, v163, v164
	v_dot4_i32_i8 v156, v52, v163, v156
	v_cvt_f32_i32_e32 v164, v164
	v_cvt_f32_i32_e32 v156, v156
	v_pk_mul_f16 v166, v154, v165
	v_pk_mul_f16 v157, v155, v165
	v_fma_mix_f32 v164, v164, v166, v166 op_sel:[0,0,1] op_sel_hi:[0,1,1]
	v_fma_mix_f32 v156, v156, v157, v157 op_sel:[0,0,1] op_sel_hi:[0,1,1]
	v_add_f32_e32 v138, v138, v164
	v_add_f32_e32 v142, v142, v156
	ds_read_b128 v[156:159], v145 offset:2048
	ds_read_b128 v[160:163], v145 offset:2064
	ds_read2_b32 v[164:165], v147 offset0:64 offset1:96
	s_waitcnt lgkmcnt(2)
	v_dot4_i32_i8 v166, v21, v156, 0
	s_waitcnt lgkmcnt(1)
	v_dot4_i32_i8 v166, v22, v160, v166
	v_dot4_i32_i8 v166, v23, v157, v166
	;; [unrolled: 1-line block ×7, first 2 shown]
	v_cvt_f32_i32_e32 v166, v166
	s_waitcnt lgkmcnt(0)
	v_pk_mul_f16 v167, v152, v164
	v_fma_mix_f32 v166, v166, v167, v167 op_sel:[0,0,1] op_sel_hi:[0,1,1]
	v_add_f32_e32 v115, v115, v166
	v_dot4_i32_i8 v166, v29, v156, 0
	v_dot4_i32_i8 v166, v30, v160, v166
	;; [unrolled: 1-line block ×8, first 2 shown]
	v_cvt_f32_i32_e32 v166, v166
	v_pk_mul_f16 v167, v153, v164
	v_fma_mix_f32 v166, v166, v167, v167 op_sel:[0,0,1] op_sel_hi:[0,1,1]
	v_add_f32_e32 v129, v129, v166
	v_dot4_i32_i8 v166, v37, v156, 0
	v_dot4_i32_i8 v156, v45, v156, 0
	;; [unrolled: 1-line block ×11, first 2 shown]
	v_cvt_f32_i32_e32 v156, v156
	v_dot4_i32_i8 v166, v40, v161, v166
	v_dot4_i32_i8 v166, v41, v158, v166
	;; [unrolled: 1-line block ×3, first 2 shown]
	v_pk_mul_f16 v157, v155, v164
	v_dot4_i32_i8 v166, v43, v159, v166
	v_fma_mix_f32 v156, v156, v157, v157 op_sel:[0,0,1] op_sel_hi:[0,1,1]
	v_dot4_i32_i8 v166, v44, v163, v166
	v_add_f32_e32 v141, v141, v156
	ds_read_b128 v[156:159], v145 offset:3072
	ds_read_b128 v[160:163], v145 offset:3088
	v_pk_mul_f16 v167, v154, v164
	v_cvt_f32_i32_e32 v166, v166
	s_waitcnt lgkmcnt(1)
	v_dot4_i32_i8 v164, v21, v156, 0
	s_waitcnt lgkmcnt(0)
	v_dot4_i32_i8 v164, v22, v160, v164
	v_dot4_i32_i8 v164, v23, v157, v164
	;; [unrolled: 1-line block ×7, first 2 shown]
	v_cvt_f32_i32_e32 v164, v164
	v_fma_mix_f32 v166, v166, v167, v167 op_sel:[0,0,1] op_sel_hi:[0,1,1]
	v_add_f32_e32 v136, v136, v166
	v_pk_mul_f16 v166, v152, v165
	v_fma_mix_f32 v164, v164, v166, v166 op_sel:[0,0,1] op_sel_hi:[0,1,1]
	v_add_f32_e32 v109, v109, v164
	v_dot4_i32_i8 v164, v29, v156, 0
	v_dot4_i32_i8 v164, v30, v160, v164
	;; [unrolled: 1-line block ×8, first 2 shown]
	v_cvt_f32_i32_e32 v164, v164
	v_pk_mul_f16 v166, v153, v165
	v_fma_mix_f32 v164, v164, v166, v166 op_sel:[0,0,1] op_sel_hi:[0,1,1]
	v_add_f32_e32 v123, v123, v164
	v_dot4_i32_i8 v164, v37, v156, 0
	v_dot4_i32_i8 v156, v45, v156, 0
	v_dot4_i32_i8 v164, v38, v160, v164
	v_dot4_i32_i8 v156, v46, v160, v156
	v_dot4_i32_i8 v164, v39, v157, v164
	v_dot4_i32_i8 v156, v47, v157, v156
	v_dot4_i32_i8 v164, v40, v161, v164
	v_dot4_i32_i8 v156, v48, v161, v156
	v_dot4_i32_i8 v164, v41, v158, v164
	v_dot4_i32_i8 v156, v49, v158, v156
	v_dot4_i32_i8 v164, v42, v162, v164
	v_dot4_i32_i8 v156, v50, v162, v156
	v_dot4_i32_i8 v164, v43, v159, v164
	v_dot4_i32_i8 v156, v51, v159, v156
	v_dot4_i32_i8 v164, v44, v163, v164
	v_dot4_i32_i8 v156, v52, v163, v156
	v_cvt_f32_i32_e32 v164, v164
	v_cvt_f32_i32_e32 v156, v156
	v_pk_mul_f16 v166, v154, v165
	v_pk_mul_f16 v157, v155, v165
	v_fma_mix_f32 v164, v164, v166, v166 op_sel:[0,0,1] op_sel_hi:[0,1,1]
	v_fma_mix_f32 v156, v156, v157, v157 op_sel:[0,0,1] op_sel_hi:[0,1,1]
	v_add_f32_e32 v133, v133, v164
	v_add_f32_e32 v139, v139, v156
	ds_read_b128 v[156:159], v145 offset:4096
	ds_read_b128 v[160:163], v145 offset:4112
	ds_read2_b32 v[164:165], v147 offset0:128 offset1:160
	s_waitcnt lgkmcnt(2)
	v_dot4_i32_i8 v166, v21, v156, 0
	s_waitcnt lgkmcnt(1)
	v_dot4_i32_i8 v166, v22, v160, v166
	v_dot4_i32_i8 v166, v23, v157, v166
	;; [unrolled: 1-line block ×7, first 2 shown]
	v_cvt_f32_i32_e32 v166, v166
	s_waitcnt lgkmcnt(0)
	v_pk_mul_f16 v167, v152, v164
	v_fma_mix_f32 v166, v166, v167, v167 op_sel:[0,0,1] op_sel_hi:[0,1,1]
	v_add_f32_e32 v105, v105, v166
	v_dot4_i32_i8 v166, v29, v156, 0
	v_dot4_i32_i8 v166, v30, v160, v166
	;; [unrolled: 1-line block ×8, first 2 shown]
	v_cvt_f32_i32_e32 v166, v166
	v_pk_mul_f16 v167, v153, v164
	v_fma_mix_f32 v166, v166, v167, v167 op_sel:[0,0,1] op_sel_hi:[0,1,1]
	v_add_f32_e32 v117, v117, v166
	v_dot4_i32_i8 v166, v37, v156, 0
	v_dot4_i32_i8 v156, v45, v156, 0
	;; [unrolled: 1-line block ×11, first 2 shown]
	v_cvt_f32_i32_e32 v156, v156
	v_dot4_i32_i8 v166, v40, v161, v166
	v_dot4_i32_i8 v166, v41, v158, v166
	;; [unrolled: 1-line block ×3, first 2 shown]
	v_pk_mul_f16 v157, v155, v164
	v_dot4_i32_i8 v166, v43, v159, v166
	v_fma_mix_f32 v156, v156, v157, v157 op_sel:[0,0,1] op_sel_hi:[0,1,1]
	v_dot4_i32_i8 v166, v44, v163, v166
	v_add_f32_e32 v137, v137, v156
	ds_read_b128 v[156:159], v145 offset:5120
	ds_read_b128 v[160:163], v145 offset:5136
	v_pk_mul_f16 v167, v154, v164
	v_cvt_f32_i32_e32 v166, v166
	s_waitcnt lgkmcnt(1)
	v_dot4_i32_i8 v164, v21, v156, 0
	s_waitcnt lgkmcnt(0)
	v_dot4_i32_i8 v164, v22, v160, v164
	v_dot4_i32_i8 v164, v23, v157, v164
	;; [unrolled: 1-line block ×7, first 2 shown]
	v_cvt_f32_i32_e32 v164, v164
	v_fma_mix_f32 v166, v166, v167, v167 op_sel:[0,0,1] op_sel_hi:[0,1,1]
	v_add_f32_e32 v130, v130, v166
	v_pk_mul_f16 v166, v152, v165
	v_fma_mix_f32 v164, v164, v166, v166 op_sel:[0,0,1] op_sel_hi:[0,1,1]
	v_add_f32_e32 v101, v101, v164
	v_dot4_i32_i8 v164, v29, v156, 0
	v_dot4_i32_i8 v164, v30, v160, v164
	;; [unrolled: 1-line block ×8, first 2 shown]
	v_cvt_f32_i32_e32 v164, v164
	v_pk_mul_f16 v166, v153, v165
	v_fma_mix_f32 v164, v164, v166, v166 op_sel:[0,0,1] op_sel_hi:[0,1,1]
	v_add_f32_e32 v111, v111, v164
	v_dot4_i32_i8 v164, v37, v156, 0
	v_dot4_i32_i8 v156, v45, v156, 0
	;; [unrolled: 1-line block ×16, first 2 shown]
	v_cvt_f32_i32_e32 v164, v164
	v_cvt_f32_i32_e32 v156, v156
	v_pk_mul_f16 v166, v154, v165
	v_pk_mul_f16 v157, v155, v165
	v_fma_mix_f32 v164, v164, v166, v166 op_sel:[0,0,1] op_sel_hi:[0,1,1]
	v_fma_mix_f32 v156, v156, v157, v157 op_sel:[0,0,1] op_sel_hi:[0,1,1]
	v_add_f32_e32 v125, v125, v164
	v_add_f32_e32 v134, v134, v156
	ds_read_b128 v[156:159], v145 offset:6144
	ds_read_b128 v[160:163], v145 offset:6160
	ds_read2_b32 v[164:165], v147 offset0:192 offset1:224
	v_add_u32_e32 v147, 4, v147
	s_waitcnt lgkmcnt(2)
	v_dot4_i32_i8 v166, v21, v156, 0
	s_waitcnt lgkmcnt(1)
	v_dot4_i32_i8 v166, v22, v160, v166
	v_dot4_i32_i8 v166, v23, v157, v166
	v_dot4_i32_i8 v166, v24, v161, v166
	v_dot4_i32_i8 v166, v25, v158, v166
	v_dot4_i32_i8 v166, v26, v162, v166
	v_dot4_i32_i8 v166, v27, v159, v166
	v_dot4_i32_i8 v166, v28, v163, v166
	v_cvt_f32_i32_e32 v166, v166
	s_waitcnt lgkmcnt(0)
	v_pk_mul_f16 v167, v152, v164
	v_fma_mix_f32 v166, v166, v167, v167 op_sel:[0,0,1] op_sel_hi:[0,1,1]
	v_add_f32_e32 v97, v97, v166
	v_dot4_i32_i8 v166, v29, v156, 0
	v_dot4_i32_i8 v166, v30, v160, v166
	;; [unrolled: 1-line block ×8, first 2 shown]
	v_cvt_f32_i32_e32 v166, v166
	v_pk_mul_f16 v167, v153, v164
	v_fma_mix_f32 v166, v166, v167, v167 op_sel:[0,0,1] op_sel_hi:[0,1,1]
	v_add_f32_e32 v106, v106, v166
	v_dot4_i32_i8 v166, v37, v156, 0
	v_dot4_i32_i8 v156, v45, v156, 0
	;; [unrolled: 1-line block ×11, first 2 shown]
	v_cvt_f32_i32_e32 v156, v156
	v_dot4_i32_i8 v166, v40, v161, v166
	v_dot4_i32_i8 v166, v41, v158, v166
	;; [unrolled: 1-line block ×3, first 2 shown]
	v_pk_mul_f16 v157, v155, v164
	v_dot4_i32_i8 v166, v43, v159, v166
	v_fma_mix_f32 v156, v156, v157, v157 op_sel:[0,0,1] op_sel_hi:[0,1,1]
	v_dot4_i32_i8 v166, v44, v163, v166
	v_add_f32_e32 v131, v131, v156
	ds_read_b128 v[156:159], v145 offset:7168
	ds_read_b128 v[160:163], v145 offset:7184
	v_cvt_f32_i32_e32 v166, v166
	v_pk_mul_f16 v167, v154, v164
	v_add_u32_e32 v145, 32, v145
	s_waitcnt lgkmcnt(1)
	v_dot4_i32_i8 v21, v21, v156, 0
	s_waitcnt lgkmcnt(0)
	v_dot4_i32_i8 v21, v22, v160, v21
	v_dot4_i32_i8 v21, v23, v157, v21
	;; [unrolled: 1-line block ×7, first 2 shown]
	v_cvt_f32_i32_e32 v21, v21
	v_pk_mul_f16 v22, v152, v165
	v_fma_mix_f32 v166, v166, v167, v167 op_sel:[0,0,1] op_sel_hi:[0,1,1]
	v_add_f32_e32 v119, v119, v166
	v_fma_mix_f32 v21, v21, v22, v22 op_sel:[0,0,1] op_sel_hi:[0,1,1]
	v_add_f32_e32 v94, v94, v21
	v_dot4_i32_i8 v21, v29, v156, 0
	v_dot4_i32_i8 v21, v30, v160, v21
	v_dot4_i32_i8 v21, v31, v157, v21
	v_dot4_i32_i8 v21, v32, v161, v21
	v_dot4_i32_i8 v21, v33, v158, v21
	v_dot4_i32_i8 v21, v34, v162, v21
	v_dot4_i32_i8 v21, v35, v159, v21
	v_dot4_i32_i8 v21, v36, v163, v21
	v_cvt_f32_i32_e32 v21, v21
	v_pk_mul_f16 v22, v153, v165
	v_fma_mix_f32 v21, v21, v22, v22 op_sel:[0,0,1] op_sel_hi:[0,1,1]
	v_add_f32_e32 v103, v103, v21
	v_dot4_i32_i8 v21, v37, v156, 0
	v_dot4_i32_i8 v21, v38, v160, v21
	v_dot4_i32_i8 v21, v39, v157, v21
	v_dot4_i32_i8 v21, v40, v161, v21
	v_dot4_i32_i8 v21, v41, v158, v21
	v_dot4_i32_i8 v21, v42, v162, v21
	v_dot4_i32_i8 v21, v43, v159, v21
	v_dot4_i32_i8 v21, v44, v163, v21
	v_cvt_f32_i32_e32 v21, v21
	v_pk_mul_f16 v22, v154, v165
	v_fma_mix_f32 v21, v21, v22, v22 op_sel:[0,0,1] op_sel_hi:[0,1,1]
	v_add_f32_e32 v113, v113, v21
	v_dot4_i32_i8 v21, v45, v156, 0
	v_dot4_i32_i8 v21, v46, v160, v21
	v_dot4_i32_i8 v21, v47, v157, v21
	v_dot4_i32_i8 v21, v48, v161, v21
	v_dot4_i32_i8 v21, v49, v158, v21
	v_dot4_i32_i8 v21, v50, v162, v21
	v_dot4_i32_i8 v21, v51, v159, v21
	v_dot4_i32_i8 v21, v52, v163, v21
	v_cvt_f32_i32_e32 v21, v21
	v_pk_mul_f16 v22, v155, v165
	v_fma_mix_f32 v21, v21, v22, v22 op_sel:[0,0,1] op_sel_hi:[0,1,1]
	v_add_f32_e32 v127, v127, v21
	s_cbranch_scc1 .LBB144_8
; %bb.9:                                ;   in Loop: Header=BB144_6 Depth=1
	s_and_b32 s0, s8, -4
	s_cmp_eq_u32 s0, 4
	s_barrier
	s_cbranch_scc1 .LBB144_5
; %bb.10:                               ;   in Loop: Header=BB144_6 Depth=1
	v_add_u32_e32 v37, s9, v89
	v_add_u32_e32 v35, 4, v144
	;; [unrolled: 1-line block ×3, first 2 shown]
	v_mad_u64_u32 v[35:36], s[0:1], v35, 36, s[2:3]
	v_mad_i64_i32 v[21:22], s[0:1], v21, 36, v[19:20]
	v_add_u32_e32 v23, v37, v81
	v_mad_i64_i32 v[23:24], s[0:1], v23, 36, v[19:20]
	v_add_u32_e32 v25, v37, v82
	v_add_u32_e32 v27, v37, v83
	v_mad_i64_i32 v[25:26], s[0:1], v25, 36, v[19:20]
	v_mad_i64_i32 v[27:28], s[0:1], v27, 36, v[19:20]
	v_add_u32_e32 v29, v37, v84
	v_add_u32_e32 v31, v37, v85
	v_add_u32_e32 v33, v37, v86
	v_add_u32_e32 v37, v37, v87
	v_mad_i64_i32 v[29:30], s[0:1], v29, 36, v[19:20]
	v_mad_i64_i32 v[31:32], s[0:1], v31, 36, v[19:20]
	;; [unrolled: 1-line block ×4, first 2 shown]
	global_load_dword v35, v[35:36], off
	s_nop 0
	global_load_dword v21, v[21:22], off offset:4
	s_nop 0
	global_load_dword v22, v[23:24], off offset:4
	;; [unrolled: 2-line block ×3, first 2 shown]
	global_load_dword v24, v[27:28], off offset:4
	s_nop 0
	global_load_dword v25, v[29:30], off offset:4
                                        ; kill: killed $vgpr27_vgpr28
                                        ; kill: killed $vgpr29_vgpr30
	global_load_dword v26, v[31:32], off offset:4
	global_load_dword v27, v[33:34], off offset:4
	;; [unrolled: 1-line block ×3, first 2 shown]
	s_mov_b32 s0, 12
	v_mov_b32_e32 v144, v95
	v_mov_b32_e32 v145, v96
	;; [unrolled: 1-line block ×7, first 2 shown]
	s_waitcnt vmcnt(8)
	ds_write_b32 v79, v35
	s_waitcnt vmcnt(7)
	ds_write_b32 v114, v21
	;; [unrolled: 2-line block ×9, first 2 shown]
	s_waitcnt lgkmcnt(0)
	s_barrier
.LBB144_11:                             ;   Parent Loop BB144_6 Depth=1
                                        ; =>  This Inner Loop Header: Depth=2
	ds_read_b128 v[155:158], v145
	ds_read_b128 v[159:162], v145 offset:16
	ds_read2_b32 v[163:164], v144 offset1:32
	ds_read_b32 v151, v147
	ds_read2_b32 v[21:22], v146 offset1:1
	s_add_i32 s0, s0, 4
	v_add_u32_e32 v147, 4, v147
	s_cmp_lt_u32 s0, 28
	s_waitcnt lgkmcnt(1)
	v_pk_mul_f16 v30, v163, v151
	s_waitcnt lgkmcnt(0)
	v_dot4_i32_i8 v23, v21, v155, 0
	v_dot4_i32_i8 v25, v22, v159, v23
	ds_read2_b32 v[23:24], v146 offset0:2 offset1:3
	v_pk_mul_f16 v165, v151, v164
	s_waitcnt lgkmcnt(0)
	v_dot4_i32_i8 v25, v23, v156, v25
	v_dot4_i32_i8 v27, v24, v160, v25
	ds_read2_b32 v[25:26], v146 offset0:4 offset1:5
	s_waitcnt lgkmcnt(0)
	v_dot4_i32_i8 v27, v25, v157, v27
	v_dot4_i32_i8 v29, v26, v161, v27
	ds_read2_b32 v[27:28], v146 offset0:6 offset1:7
	s_waitcnt lgkmcnt(0)
	v_dot4_i32_i8 v29, v27, v158, v29
	v_dot4_i32_i8 v29, v28, v162, v29
	v_cvt_f32_i32_e32 v29, v29
	v_fma_mix_f32 v29, v30, v29, v30 op_sel:[0,0,1] op_sel_hi:[1,0,1]
	v_add_f32_e32 v55, v55, v29
	v_add_u32_e32 v29, 0x2080, v146
	ds_read_b32 v152, v148
	ds_read2_b32 v[29:30], v29 offset1:1
	v_add_u32_e32 v148, 4, v148
	s_waitcnt lgkmcnt(1)
	v_pk_mul_f16 v38, v163, v152
	s_waitcnt lgkmcnt(0)
	v_dot4_i32_i8 v31, v29, v155, 0
	v_dot4_i32_i8 v33, v30, v159, v31
	v_add_u32_e32 v31, 0x2088, v146
	ds_read2_b32 v[31:32], v31 offset1:1
	s_waitcnt lgkmcnt(0)
	v_dot4_i32_i8 v33, v31, v156, v33
	v_dot4_i32_i8 v35, v32, v160, v33
	v_add_u32_e32 v33, 0x2090, v146
	ds_read2_b32 v[33:34], v33 offset1:1
	;; [unrolled: 5-line block ×3, first 2 shown]
	s_waitcnt lgkmcnt(0)
	v_dot4_i32_i8 v37, v35, v158, v37
	v_dot4_i32_i8 v37, v36, v162, v37
	v_cvt_f32_i32_e32 v37, v37
	v_fma_mix_f32 v37, v38, v37, v38 op_sel:[0,0,1] op_sel_hi:[1,0,1]
	v_add_f32_e32 v135, v135, v37
	v_add_u32_e32 v37, 0x4100, v146
	ds_read_b32 v153, v149
	ds_read2_b32 v[37:38], v37 offset1:1
	v_add_u32_e32 v149, 4, v149
	s_waitcnt lgkmcnt(1)
	v_pk_mul_f16 v46, v163, v153
	s_waitcnt lgkmcnt(0)
	v_dot4_i32_i8 v39, v37, v155, 0
	v_dot4_i32_i8 v41, v38, v159, v39
	v_add_u32_e32 v39, 0x4108, v146
	ds_read2_b32 v[39:40], v39 offset1:1
	s_waitcnt lgkmcnt(0)
	v_dot4_i32_i8 v41, v39, v156, v41
	v_dot4_i32_i8 v43, v40, v160, v41
	v_add_u32_e32 v41, 0x4110, v146
	ds_read2_b32 v[41:42], v41 offset1:1
	;; [unrolled: 5-line block ×3, first 2 shown]
	s_waitcnt lgkmcnt(0)
	v_dot4_i32_i8 v45, v43, v158, v45
	v_dot4_i32_i8 v45, v44, v162, v45
	v_cvt_f32_i32_e32 v45, v45
	v_fma_mix_f32 v45, v46, v45, v46 op_sel:[0,0,1] op_sel_hi:[1,0,1]
	v_add_f32_e32 v140, v140, v45
	v_add_u32_e32 v45, 0x6180, v146
	ds_read_b32 v154, v150
	ds_read2_b32 v[45:46], v45 offset1:1
	v_add_u32_e32 v150, 4, v150
	s_waitcnt lgkmcnt(0)
	v_dot4_i32_i8 v47, v45, v155, 0
	v_dot4_i32_i8 v49, v46, v159, v47
	v_add_u32_e32 v47, 0x6188, v146
	ds_read2_b32 v[47:48], v47 offset1:1
	s_waitcnt lgkmcnt(0)
	v_dot4_i32_i8 v49, v47, v156, v49
	v_dot4_i32_i8 v51, v48, v160, v49
	v_add_u32_e32 v49, 0x6190, v146
	ds_read2_b32 v[49:50], v49 offset1:1
	v_pk_mul_f16 v156, v163, v154
	s_waitcnt lgkmcnt(0)
	v_dot4_i32_i8 v51, v49, v157, v51
	v_dot4_i32_i8 v155, v50, v161, v51
	v_add_u32_e32 v51, 0x6198, v146
	ds_read2_b32 v[51:52], v51 offset1:1
	v_add_u32_e32 v146, 32, v146
	s_waitcnt lgkmcnt(0)
	v_dot4_i32_i8 v155, v51, v158, v155
	v_dot4_i32_i8 v155, v52, v162, v155
	v_cvt_f32_i32_e32 v155, v155
	v_fma_mix_f32 v155, v156, v155, v156 op_sel:[0,0,1] op_sel_hi:[1,0,1]
	v_add_f32_e32 v143, v143, v155
	ds_read_b128 v[155:158], v145 offset:1024
	ds_read_b128 v[159:162], v145 offset:1040
	s_waitcnt lgkmcnt(1)
	v_dot4_i32_i8 v163, v21, v155, 0
	s_waitcnt lgkmcnt(0)
	v_dot4_i32_i8 v163, v22, v159, v163
	v_dot4_i32_i8 v163, v23, v156, v163
	;; [unrolled: 1-line block ×7, first 2 shown]
	v_cvt_f32_i32_e32 v163, v163
	v_fma_mix_f32 v163, v163, v165, v165 op_sel:[0,0,1] op_sel_hi:[0,1,1]
	v_add_f32_e32 v121, v121, v163
	v_dot4_i32_i8 v163, v29, v155, 0
	v_dot4_i32_i8 v163, v30, v159, v163
	;; [unrolled: 1-line block ×8, first 2 shown]
	v_cvt_f32_i32_e32 v163, v163
	v_pk_mul_f16 v165, v152, v164
	v_fma_mix_f32 v163, v163, v165, v165 op_sel:[0,0,1] op_sel_hi:[0,1,1]
	v_add_f32_e32 v132, v132, v163
	v_dot4_i32_i8 v163, v37, v155, 0
	v_dot4_i32_i8 v155, v45, v155, 0
	;; [unrolled: 1-line block ×16, first 2 shown]
	v_cvt_f32_i32_e32 v163, v163
	v_cvt_f32_i32_e32 v155, v155
	v_pk_mul_f16 v165, v153, v164
	v_pk_mul_f16 v156, v154, v164
	v_fma_mix_f32 v163, v163, v165, v165 op_sel:[0,0,1] op_sel_hi:[0,1,1]
	v_fma_mix_f32 v155, v155, v156, v156 op_sel:[0,0,1] op_sel_hi:[0,1,1]
	v_add_f32_e32 v138, v138, v163
	v_add_f32_e32 v142, v142, v155
	ds_read_b128 v[155:158], v145 offset:2048
	ds_read_b128 v[159:162], v145 offset:2064
	ds_read2_b32 v[163:164], v144 offset0:64 offset1:96
	s_waitcnt lgkmcnt(2)
	v_dot4_i32_i8 v165, v21, v155, 0
	s_waitcnt lgkmcnt(1)
	v_dot4_i32_i8 v165, v22, v159, v165
	v_dot4_i32_i8 v165, v23, v156, v165
	;; [unrolled: 1-line block ×7, first 2 shown]
	v_cvt_f32_i32_e32 v165, v165
	s_waitcnt lgkmcnt(0)
	v_pk_mul_f16 v166, v151, v163
	v_fma_mix_f32 v165, v165, v166, v166 op_sel:[0,0,1] op_sel_hi:[0,1,1]
	v_add_f32_e32 v115, v115, v165
	v_dot4_i32_i8 v165, v29, v155, 0
	v_dot4_i32_i8 v165, v30, v159, v165
	;; [unrolled: 1-line block ×8, first 2 shown]
	v_cvt_f32_i32_e32 v165, v165
	v_pk_mul_f16 v166, v152, v163
	v_fma_mix_f32 v165, v165, v166, v166 op_sel:[0,0,1] op_sel_hi:[0,1,1]
	v_add_f32_e32 v129, v129, v165
	v_dot4_i32_i8 v165, v37, v155, 0
	v_dot4_i32_i8 v155, v45, v155, 0
	;; [unrolled: 1-line block ×11, first 2 shown]
	v_cvt_f32_i32_e32 v155, v155
	v_dot4_i32_i8 v165, v40, v160, v165
	v_dot4_i32_i8 v165, v41, v157, v165
	;; [unrolled: 1-line block ×3, first 2 shown]
	v_pk_mul_f16 v156, v154, v163
	v_dot4_i32_i8 v165, v43, v158, v165
	v_fma_mix_f32 v155, v155, v156, v156 op_sel:[0,0,1] op_sel_hi:[0,1,1]
	v_dot4_i32_i8 v165, v44, v162, v165
	v_add_f32_e32 v141, v141, v155
	ds_read_b128 v[155:158], v145 offset:3072
	ds_read_b128 v[159:162], v145 offset:3088
	v_pk_mul_f16 v166, v153, v163
	v_cvt_f32_i32_e32 v165, v165
	s_waitcnt lgkmcnt(1)
	v_dot4_i32_i8 v163, v21, v155, 0
	s_waitcnt lgkmcnt(0)
	v_dot4_i32_i8 v163, v22, v159, v163
	v_dot4_i32_i8 v163, v23, v156, v163
	v_dot4_i32_i8 v163, v24, v160, v163
	v_dot4_i32_i8 v163, v25, v157, v163
	v_dot4_i32_i8 v163, v26, v161, v163
	v_dot4_i32_i8 v163, v27, v158, v163
	v_dot4_i32_i8 v163, v28, v162, v163
	v_cvt_f32_i32_e32 v163, v163
	v_fma_mix_f32 v165, v165, v166, v166 op_sel:[0,0,1] op_sel_hi:[0,1,1]
	v_add_f32_e32 v136, v136, v165
	v_pk_mul_f16 v165, v151, v164
	v_fma_mix_f32 v163, v163, v165, v165 op_sel:[0,0,1] op_sel_hi:[0,1,1]
	v_add_f32_e32 v109, v109, v163
	v_dot4_i32_i8 v163, v29, v155, 0
	v_dot4_i32_i8 v163, v30, v159, v163
	;; [unrolled: 1-line block ×8, first 2 shown]
	v_cvt_f32_i32_e32 v163, v163
	v_pk_mul_f16 v165, v152, v164
	v_fma_mix_f32 v163, v163, v165, v165 op_sel:[0,0,1] op_sel_hi:[0,1,1]
	v_add_f32_e32 v123, v123, v163
	v_dot4_i32_i8 v163, v37, v155, 0
	v_dot4_i32_i8 v155, v45, v155, 0
	;; [unrolled: 1-line block ×16, first 2 shown]
	v_cvt_f32_i32_e32 v163, v163
	v_cvt_f32_i32_e32 v155, v155
	v_pk_mul_f16 v165, v153, v164
	v_pk_mul_f16 v156, v154, v164
	v_fma_mix_f32 v163, v163, v165, v165 op_sel:[0,0,1] op_sel_hi:[0,1,1]
	v_fma_mix_f32 v155, v155, v156, v156 op_sel:[0,0,1] op_sel_hi:[0,1,1]
	v_add_f32_e32 v133, v133, v163
	v_add_f32_e32 v139, v139, v155
	ds_read_b128 v[155:158], v145 offset:4096
	ds_read_b128 v[159:162], v145 offset:4112
	ds_read2_b32 v[163:164], v144 offset0:128 offset1:160
	s_waitcnt lgkmcnt(2)
	v_dot4_i32_i8 v165, v21, v155, 0
	s_waitcnt lgkmcnt(1)
	v_dot4_i32_i8 v165, v22, v159, v165
	v_dot4_i32_i8 v165, v23, v156, v165
	;; [unrolled: 1-line block ×7, first 2 shown]
	v_cvt_f32_i32_e32 v165, v165
	s_waitcnt lgkmcnt(0)
	v_pk_mul_f16 v166, v151, v163
	v_fma_mix_f32 v165, v165, v166, v166 op_sel:[0,0,1] op_sel_hi:[0,1,1]
	v_add_f32_e32 v105, v105, v165
	v_dot4_i32_i8 v165, v29, v155, 0
	v_dot4_i32_i8 v165, v30, v159, v165
	;; [unrolled: 1-line block ×8, first 2 shown]
	v_cvt_f32_i32_e32 v165, v165
	v_pk_mul_f16 v166, v152, v163
	v_fma_mix_f32 v165, v165, v166, v166 op_sel:[0,0,1] op_sel_hi:[0,1,1]
	v_add_f32_e32 v117, v117, v165
	v_dot4_i32_i8 v165, v37, v155, 0
	v_dot4_i32_i8 v155, v45, v155, 0
	;; [unrolled: 1-line block ×11, first 2 shown]
	v_cvt_f32_i32_e32 v155, v155
	v_dot4_i32_i8 v165, v40, v160, v165
	v_dot4_i32_i8 v165, v41, v157, v165
	;; [unrolled: 1-line block ×3, first 2 shown]
	v_pk_mul_f16 v156, v154, v163
	v_dot4_i32_i8 v165, v43, v158, v165
	v_fma_mix_f32 v155, v155, v156, v156 op_sel:[0,0,1] op_sel_hi:[0,1,1]
	v_dot4_i32_i8 v165, v44, v162, v165
	v_add_f32_e32 v137, v137, v155
	ds_read_b128 v[155:158], v145 offset:5120
	ds_read_b128 v[159:162], v145 offset:5136
	v_pk_mul_f16 v166, v153, v163
	v_cvt_f32_i32_e32 v165, v165
	s_waitcnt lgkmcnt(1)
	v_dot4_i32_i8 v163, v21, v155, 0
	s_waitcnt lgkmcnt(0)
	v_dot4_i32_i8 v163, v22, v159, v163
	v_dot4_i32_i8 v163, v23, v156, v163
	;; [unrolled: 1-line block ×7, first 2 shown]
	v_cvt_f32_i32_e32 v163, v163
	v_fma_mix_f32 v165, v165, v166, v166 op_sel:[0,0,1] op_sel_hi:[0,1,1]
	v_add_f32_e32 v130, v130, v165
	v_pk_mul_f16 v165, v151, v164
	v_fma_mix_f32 v163, v163, v165, v165 op_sel:[0,0,1] op_sel_hi:[0,1,1]
	v_add_f32_e32 v101, v101, v163
	v_dot4_i32_i8 v163, v29, v155, 0
	v_dot4_i32_i8 v163, v30, v159, v163
	;; [unrolled: 1-line block ×8, first 2 shown]
	v_cvt_f32_i32_e32 v163, v163
	v_pk_mul_f16 v165, v152, v164
	v_fma_mix_f32 v163, v163, v165, v165 op_sel:[0,0,1] op_sel_hi:[0,1,1]
	v_add_f32_e32 v111, v111, v163
	v_dot4_i32_i8 v163, v37, v155, 0
	v_dot4_i32_i8 v155, v45, v155, 0
	;; [unrolled: 1-line block ×16, first 2 shown]
	v_cvt_f32_i32_e32 v163, v163
	v_cvt_f32_i32_e32 v155, v155
	v_pk_mul_f16 v165, v153, v164
	v_pk_mul_f16 v156, v154, v164
	v_fma_mix_f32 v163, v163, v165, v165 op_sel:[0,0,1] op_sel_hi:[0,1,1]
	v_fma_mix_f32 v155, v155, v156, v156 op_sel:[0,0,1] op_sel_hi:[0,1,1]
	v_add_f32_e32 v125, v125, v163
	v_add_f32_e32 v134, v134, v155
	ds_read_b128 v[155:158], v145 offset:6144
	ds_read_b128 v[159:162], v145 offset:6160
	ds_read2_b32 v[163:164], v144 offset0:192 offset1:224
	v_add_u32_e32 v144, 4, v144
	s_waitcnt lgkmcnt(2)
	v_dot4_i32_i8 v165, v21, v155, 0
	s_waitcnt lgkmcnt(1)
	v_dot4_i32_i8 v165, v22, v159, v165
	v_dot4_i32_i8 v165, v23, v156, v165
	;; [unrolled: 1-line block ×7, first 2 shown]
	v_cvt_f32_i32_e32 v165, v165
	s_waitcnt lgkmcnt(0)
	v_pk_mul_f16 v166, v151, v163
	v_fma_mix_f32 v165, v165, v166, v166 op_sel:[0,0,1] op_sel_hi:[0,1,1]
	v_add_f32_e32 v97, v97, v165
	v_dot4_i32_i8 v165, v29, v155, 0
	v_dot4_i32_i8 v165, v30, v159, v165
	;; [unrolled: 1-line block ×8, first 2 shown]
	v_cvt_f32_i32_e32 v165, v165
	v_pk_mul_f16 v166, v152, v163
	v_fma_mix_f32 v165, v165, v166, v166 op_sel:[0,0,1] op_sel_hi:[0,1,1]
	v_add_f32_e32 v106, v106, v165
	v_dot4_i32_i8 v165, v37, v155, 0
	v_dot4_i32_i8 v155, v45, v155, 0
	;; [unrolled: 1-line block ×11, first 2 shown]
	v_cvt_f32_i32_e32 v155, v155
	v_dot4_i32_i8 v165, v40, v160, v165
	v_dot4_i32_i8 v165, v41, v157, v165
	;; [unrolled: 1-line block ×3, first 2 shown]
	v_pk_mul_f16 v156, v154, v163
	v_dot4_i32_i8 v165, v43, v158, v165
	v_fma_mix_f32 v155, v155, v156, v156 op_sel:[0,0,1] op_sel_hi:[0,1,1]
	v_dot4_i32_i8 v165, v44, v162, v165
	v_add_f32_e32 v131, v131, v155
	ds_read_b128 v[155:158], v145 offset:7168
	ds_read_b128 v[159:162], v145 offset:7184
	v_cvt_f32_i32_e32 v165, v165
	v_pk_mul_f16 v166, v153, v163
	v_add_u32_e32 v145, 32, v145
	s_waitcnt lgkmcnt(1)
	v_dot4_i32_i8 v21, v21, v155, 0
	s_waitcnt lgkmcnt(0)
	v_dot4_i32_i8 v21, v22, v159, v21
	v_dot4_i32_i8 v21, v23, v156, v21
	;; [unrolled: 1-line block ×7, first 2 shown]
	v_cvt_f32_i32_e32 v21, v21
	v_pk_mul_f16 v22, v151, v164
	v_fma_mix_f32 v165, v165, v166, v166 op_sel:[0,0,1] op_sel_hi:[0,1,1]
	v_add_f32_e32 v119, v119, v165
	v_fma_mix_f32 v21, v21, v22, v22 op_sel:[0,0,1] op_sel_hi:[0,1,1]
	v_add_f32_e32 v94, v94, v21
	v_dot4_i32_i8 v21, v29, v155, 0
	v_dot4_i32_i8 v21, v30, v159, v21
	v_dot4_i32_i8 v21, v31, v156, v21
	v_dot4_i32_i8 v21, v32, v160, v21
	v_dot4_i32_i8 v21, v33, v157, v21
	v_dot4_i32_i8 v21, v34, v161, v21
	v_dot4_i32_i8 v21, v35, v158, v21
	v_dot4_i32_i8 v21, v36, v162, v21
	v_cvt_f32_i32_e32 v21, v21
	v_pk_mul_f16 v22, v152, v164
	v_fma_mix_f32 v21, v21, v22, v22 op_sel:[0,0,1] op_sel_hi:[0,1,1]
	v_add_f32_e32 v103, v103, v21
	v_dot4_i32_i8 v21, v37, v155, 0
	v_dot4_i32_i8 v21, v38, v159, v21
	v_dot4_i32_i8 v21, v39, v156, v21
	v_dot4_i32_i8 v21, v40, v160, v21
	v_dot4_i32_i8 v21, v41, v157, v21
	v_dot4_i32_i8 v21, v42, v161, v21
	v_dot4_i32_i8 v21, v43, v158, v21
	v_dot4_i32_i8 v21, v44, v162, v21
	v_cvt_f32_i32_e32 v21, v21
	v_pk_mul_f16 v22, v153, v164
	;; [unrolled: 12-line block ×3, first 2 shown]
	v_fma_mix_f32 v21, v21, v22, v22 op_sel:[0,0,1] op_sel_hi:[0,1,1]
	v_add_f32_e32 v127, v127, v21
	s_cbranch_scc1 .LBB144_11
; %bb.12:                               ;   in Loop: Header=BB144_6 Depth=1
	s_barrier
	s_branch .LBB144_5
.LBB144_13:
	v_cvt_f16_f32_e32 v11, v55
	v_cvt_f16_f32_e32 v12, v135
	;; [unrolled: 1-line block ×32, first 2 shown]
	v_mov_b32_e32 v34, v53
.LBB144_14:
	v_cmp_gt_u32_e32 vcc, s10, v34
	s_and_saveexec_b64 s[0:1], vcc
	s_cbranch_execz .LBB144_65
; %bb.15:
	v_mul_lo_u32 v34, v34, s14
	v_add_u32_e32 v0, s6, v0
	v_cmp_gt_u32_e32 vcc, s14, v0
	s_and_saveexec_b64 s[2:3], vcc
	s_cbranch_execz .LBB144_17
; %bb.16:
	v_add_u32_e32 v35, v0, v34
	v_mov_b32_e32 v36, 0
	v_lshlrev_b64 v[35:36], 1, v[35:36]
	s_waitcnt lgkmcnt(0)
	v_mov_b32_e32 v37, s13
	v_add_co_u32_e64 v35, s[0:1], s12, v35
	v_addc_co_u32_e64 v36, s[0:1], v37, v36, s[0:1]
	global_store_short v[35:36], v11, off
.LBB144_17:
	s_or_b64 exec, exec, s[2:3]
	v_add_u32_e32 v11, 32, v0
	v_cmp_gt_u32_e64 s[0:1], s14, v11
	s_and_saveexec_b64 s[4:5], s[0:1]
	s_cbranch_execz .LBB144_19
; %bb.18:
	v_add_u32_e32 v35, v11, v34
	v_mov_b32_e32 v36, 0
	v_lshlrev_b64 v[35:36], 1, v[35:36]
	s_waitcnt lgkmcnt(0)
	v_mov_b32_e32 v37, s13
	v_add_co_u32_e64 v35, s[2:3], s12, v35
	v_addc_co_u32_e64 v36, s[2:3], v37, v36, s[2:3]
	global_store_short v[35:36], v12, off
.LBB144_19:
	s_or_b64 exec, exec, s[4:5]
	v_add_u32_e32 v12, 64, v0
	v_cmp_gt_u32_e64 s[2:3], s14, v12
	s_and_saveexec_b64 s[6:7], s[2:3]
	;; [unrolled: 15-line block ×3, first 2 shown]
	s_cbranch_execz .LBB144_23
; %bb.22:
	v_add_u32_e32 v34, v13, v34
	v_mov_b32_e32 v35, 0
	v_lshlrev_b64 v[34:35], 1, v[34:35]
	s_waitcnt lgkmcnt(0)
	v_mov_b32_e32 v36, s13
	v_add_co_u32_e64 v34, s[6:7], s12, v34
	v_addc_co_u32_e64 v35, s[6:7], v36, v35, s[6:7]
	global_store_short v[34:35], v33, off
.LBB144_23:
	s_or_b64 exec, exec, s[8:9]
	v_add3_u32 v33, v1, s15, 8
	v_cmp_gt_u32_e64 s[6:7], s10, v33
	s_and_b64 exec, exec, s[6:7]
	s_cbranch_execz .LBB144_65
; %bb.24:
	v_mul_lo_u32 v33, v33, s14
	s_and_saveexec_b64 s[8:9], vcc
	s_cbranch_execnz .LBB144_66
; %bb.25:
	s_or_b64 exec, exec, s[8:9]
	s_and_saveexec_b64 s[8:9], s[0:1]
	s_cbranch_execnz .LBB144_67
.LBB144_26:
	s_or_b64 exec, exec, s[8:9]
	s_and_saveexec_b64 s[8:9], s[2:3]
	s_cbranch_execnz .LBB144_68
.LBB144_27:
	s_or_b64 exec, exec, s[8:9]
	s_and_saveexec_b64 s[8:9], s[4:5]
	s_cbranch_execz .LBB144_29
.LBB144_28:
	v_add_u32_e32 v30, v33, v13
	v_mov_b32_e32 v31, 0
	v_lshlrev_b64 v[30:31], 1, v[30:31]
	s_waitcnt lgkmcnt(0)
	v_mov_b32_e32 v32, s13
	v_add_co_u32_e64 v30, s[6:7], s12, v30
	v_addc_co_u32_e64 v31, s[6:7], v32, v31, s[6:7]
	global_store_short v[30:31], v29, off
.LBB144_29:
	s_or_b64 exec, exec, s[8:9]
	v_add3_u32 v29, v1, s15, 16
	v_cmp_gt_u32_e64 s[6:7], s10, v29
	s_and_b64 exec, exec, s[6:7]
	s_cbranch_execz .LBB144_65
; %bb.30:
	v_mul_lo_u32 v29, v29, s14
	s_and_saveexec_b64 s[8:9], vcc
	s_cbranch_execnz .LBB144_69
; %bb.31:
	s_or_b64 exec, exec, s[8:9]
	s_and_saveexec_b64 s[8:9], s[0:1]
	s_cbranch_execnz .LBB144_70
.LBB144_32:
	s_or_b64 exec, exec, s[8:9]
	s_and_saveexec_b64 s[8:9], s[2:3]
	s_cbranch_execnz .LBB144_71
.LBB144_33:
	s_or_b64 exec, exec, s[8:9]
	s_and_saveexec_b64 s[8:9], s[4:5]
	s_cbranch_execz .LBB144_35
.LBB144_34:
	v_add_u32_e32 v26, v29, v13
	v_mov_b32_e32 v27, 0
	v_lshlrev_b64 v[26:27], 1, v[26:27]
	s_waitcnt lgkmcnt(0)
	v_mov_b32_e32 v28, s13
	v_add_co_u32_e64 v26, s[6:7], s12, v26
	v_addc_co_u32_e64 v27, s[6:7], v28, v27, s[6:7]
	global_store_short v[26:27], v25, off
.LBB144_35:
	s_or_b64 exec, exec, s[8:9]
	v_add3_u32 v25, v1, s15, 24
	v_cmp_gt_u32_e64 s[6:7], s10, v25
	s_and_b64 exec, exec, s[6:7]
	s_cbranch_execz .LBB144_65
; %bb.36:
	v_mul_lo_u32 v25, v25, s14
	s_and_saveexec_b64 s[8:9], vcc
	s_cbranch_execnz .LBB144_72
; %bb.37:
	s_or_b64 exec, exec, s[8:9]
	s_and_saveexec_b64 s[8:9], s[0:1]
	s_cbranch_execnz .LBB144_73
.LBB144_38:
	s_or_b64 exec, exec, s[8:9]
	s_and_saveexec_b64 s[8:9], s[2:3]
	s_cbranch_execnz .LBB144_74
.LBB144_39:
	s_or_b64 exec, exec, s[8:9]
	s_and_saveexec_b64 s[8:9], s[4:5]
	s_cbranch_execz .LBB144_41
.LBB144_40:
	v_add_u32_e32 v22, v25, v13
	v_mov_b32_e32 v23, 0
	v_lshlrev_b64 v[22:23], 1, v[22:23]
	s_waitcnt lgkmcnt(0)
	v_mov_b32_e32 v24, s13
	v_add_co_u32_e64 v22, s[6:7], s12, v22
	v_addc_co_u32_e64 v23, s[6:7], v24, v23, s[6:7]
	global_store_short v[22:23], v21, off
.LBB144_41:
	s_or_b64 exec, exec, s[8:9]
	v_add3_u32 v21, v1, s15, 32
	v_cmp_gt_u32_e64 s[6:7], s10, v21
	s_and_b64 exec, exec, s[6:7]
	s_cbranch_execz .LBB144_65
; %bb.42:
	v_mul_lo_u32 v21, v21, s14
	s_and_saveexec_b64 s[8:9], vcc
	s_cbranch_execnz .LBB144_75
; %bb.43:
	s_or_b64 exec, exec, s[8:9]
	s_and_saveexec_b64 s[8:9], s[0:1]
	s_cbranch_execnz .LBB144_76
.LBB144_44:
	s_or_b64 exec, exec, s[8:9]
	s_and_saveexec_b64 s[8:9], s[2:3]
	s_cbranch_execnz .LBB144_77
.LBB144_45:
	s_or_b64 exec, exec, s[8:9]
	s_and_saveexec_b64 s[8:9], s[4:5]
	s_cbranch_execz .LBB144_47
.LBB144_46:
	v_add_u32_e32 v18, v21, v13
	v_mov_b32_e32 v19, 0
	v_lshlrev_b64 v[18:19], 1, v[18:19]
	s_waitcnt lgkmcnt(0)
	v_mov_b32_e32 v20, s13
	v_add_co_u32_e64 v18, s[6:7], s12, v18
	v_addc_co_u32_e64 v19, s[6:7], v20, v19, s[6:7]
	global_store_short v[18:19], v17, off
.LBB144_47:
	s_or_b64 exec, exec, s[8:9]
	v_add3_u32 v17, v1, s15, 40
	v_cmp_gt_u32_e64 s[6:7], s10, v17
	s_and_b64 exec, exec, s[6:7]
	s_cbranch_execz .LBB144_65
; %bb.48:
	v_mul_lo_u32 v17, v17, s14
	s_and_saveexec_b64 s[8:9], vcc
	s_cbranch_execnz .LBB144_78
; %bb.49:
	s_or_b64 exec, exec, s[8:9]
	s_and_saveexec_b64 s[8:9], s[0:1]
	s_cbranch_execnz .LBB144_79
.LBB144_50:
	s_or_b64 exec, exec, s[8:9]
	s_and_saveexec_b64 s[8:9], s[2:3]
	s_cbranch_execnz .LBB144_80
.LBB144_51:
	s_or_b64 exec, exec, s[8:9]
	s_and_saveexec_b64 s[8:9], s[4:5]
	s_cbranch_execz .LBB144_53
.LBB144_52:
	v_add_u32_e32 v14, v17, v13
	v_mov_b32_e32 v15, 0
	v_lshlrev_b64 v[14:15], 1, v[14:15]
	s_waitcnt lgkmcnt(0)
	v_mov_b32_e32 v16, s13
	v_add_co_u32_e64 v14, s[6:7], s12, v14
	v_addc_co_u32_e64 v15, s[6:7], v16, v15, s[6:7]
	global_store_short v[14:15], v10, off
.LBB144_53:
	s_or_b64 exec, exec, s[8:9]
	v_add3_u32 v10, v1, s15, 48
	v_cmp_gt_u32_e64 s[6:7], s10, v10
	s_and_b64 exec, exec, s[6:7]
	s_cbranch_execz .LBB144_65
; %bb.54:
	v_mul_lo_u32 v10, v10, s14
	s_and_saveexec_b64 s[8:9], vcc
	s_cbranch_execnz .LBB144_81
; %bb.55:
	s_or_b64 exec, exec, s[8:9]
	s_and_saveexec_b64 s[8:9], s[0:1]
	s_cbranch_execnz .LBB144_82
.LBB144_56:
	s_or_b64 exec, exec, s[8:9]
	s_and_saveexec_b64 s[8:9], s[2:3]
	s_cbranch_execnz .LBB144_83
.LBB144_57:
	s_or_b64 exec, exec, s[8:9]
	s_and_saveexec_b64 s[8:9], s[4:5]
	s_cbranch_execz .LBB144_59
.LBB144_58:
	v_add_u32_e32 v7, v10, v13
	v_mov_b32_e32 v8, 0
	v_lshlrev_b64 v[7:8], 1, v[7:8]
	s_waitcnt lgkmcnt(0)
	v_mov_b32_e32 v9, s13
	v_add_co_u32_e64 v7, s[6:7], s12, v7
	v_addc_co_u32_e64 v8, s[6:7], v9, v8, s[6:7]
	global_store_short v[7:8], v6, off
.LBB144_59:
	s_or_b64 exec, exec, s[8:9]
	v_add3_u32 v1, v1, s15, 56
	v_cmp_gt_u32_e64 s[6:7], s10, v1
	s_and_b64 exec, exec, s[6:7]
	s_cbranch_execz .LBB144_65
; %bb.60:
	v_mul_lo_u32 v1, v1, s14
	s_and_saveexec_b64 s[6:7], vcc
	s_cbranch_execnz .LBB144_84
; %bb.61:
	s_or_b64 exec, exec, s[6:7]
	s_and_saveexec_b64 s[6:7], s[0:1]
	s_cbranch_execnz .LBB144_85
.LBB144_62:
	s_or_b64 exec, exec, s[6:7]
	s_and_saveexec_b64 s[0:1], s[2:3]
	s_cbranch_execnz .LBB144_86
.LBB144_63:
	s_or_b64 exec, exec, s[0:1]
	s_and_b64 exec, exec, s[4:5]
	s_cbranch_execz .LBB144_65
.LBB144_64:
	v_add_u32_e32 v0, v1, v13
	v_mov_b32_e32 v1, 0
	v_lshlrev_b64 v[0:1], 1, v[0:1]
	s_waitcnt lgkmcnt(0)
	v_mov_b32_e32 v3, s13
	v_add_co_u32_e32 v0, vcc, s12, v0
	v_addc_co_u32_e32 v1, vcc, v3, v1, vcc
	global_store_short v[0:1], v2, off
.LBB144_65:
	s_endpgm
.LBB144_66:
	v_add_u32_e32 v34, v33, v0
	v_mov_b32_e32 v35, 0
	v_lshlrev_b64 v[34:35], 1, v[34:35]
	s_waitcnt lgkmcnt(0)
	v_mov_b32_e32 v36, s13
	v_add_co_u32_e64 v34, s[6:7], s12, v34
	v_addc_co_u32_e64 v35, s[6:7], v36, v35, s[6:7]
	global_store_short v[34:35], v32, off
	s_or_b64 exec, exec, s[8:9]
	s_and_saveexec_b64 s[8:9], s[0:1]
	s_cbranch_execz .LBB144_26
.LBB144_67:
	v_add_u32_e32 v34, v33, v11
	v_mov_b32_e32 v35, 0
	v_lshlrev_b64 v[34:35], 1, v[34:35]
	s_waitcnt lgkmcnt(0)
	v_mov_b32_e32 v32, s13
	v_add_co_u32_e64 v34, s[6:7], s12, v34
	v_addc_co_u32_e64 v35, s[6:7], v32, v35, s[6:7]
	global_store_short v[34:35], v31, off
	s_or_b64 exec, exec, s[8:9]
	s_and_saveexec_b64 s[8:9], s[2:3]
	s_cbranch_execz .LBB144_27
.LBB144_68:
	v_add_u32_e32 v31, v33, v12
	v_mov_b32_e32 v32, 0
	v_lshlrev_b64 v[31:32], 1, v[31:32]
	s_waitcnt lgkmcnt(0)
	v_mov_b32_e32 v34, s13
	v_add_co_u32_e64 v31, s[6:7], s12, v31
	v_addc_co_u32_e64 v32, s[6:7], v34, v32, s[6:7]
	global_store_short v[31:32], v30, off
	s_or_b64 exec, exec, s[8:9]
	s_and_saveexec_b64 s[8:9], s[4:5]
	s_cbranch_execnz .LBB144_28
	s_branch .LBB144_29
.LBB144_69:
	v_add_u32_e32 v30, v29, v0
	v_mov_b32_e32 v31, 0
	v_lshlrev_b64 v[30:31], 1, v[30:31]
	s_waitcnt lgkmcnt(0)
	v_mov_b32_e32 v32, s13
	v_add_co_u32_e64 v30, s[6:7], s12, v30
	v_addc_co_u32_e64 v31, s[6:7], v32, v31, s[6:7]
	global_store_short v[30:31], v28, off
	s_or_b64 exec, exec, s[8:9]
	s_and_saveexec_b64 s[8:9], s[0:1]
	s_cbranch_execz .LBB144_32
.LBB144_70:
	v_add_u32_e32 v30, v29, v11
	v_mov_b32_e32 v31, 0
	v_lshlrev_b64 v[30:31], 1, v[30:31]
	s_waitcnt lgkmcnt(0)
	v_mov_b32_e32 v28, s13
	v_add_co_u32_e64 v30, s[6:7], s12, v30
	v_addc_co_u32_e64 v31, s[6:7], v28, v31, s[6:7]
	global_store_short v[30:31], v27, off
	s_or_b64 exec, exec, s[8:9]
	s_and_saveexec_b64 s[8:9], s[2:3]
	s_cbranch_execz .LBB144_33
.LBB144_71:
	v_add_u32_e32 v27, v29, v12
	v_mov_b32_e32 v28, 0
	v_lshlrev_b64 v[27:28], 1, v[27:28]
	s_waitcnt lgkmcnt(0)
	v_mov_b32_e32 v30, s13
	v_add_co_u32_e64 v27, s[6:7], s12, v27
	v_addc_co_u32_e64 v28, s[6:7], v30, v28, s[6:7]
	global_store_short v[27:28], v26, off
	s_or_b64 exec, exec, s[8:9]
	s_and_saveexec_b64 s[8:9], s[4:5]
	s_cbranch_execnz .LBB144_34
	s_branch .LBB144_35
.LBB144_72:
	v_add_u32_e32 v26, v25, v0
	v_mov_b32_e32 v27, 0
	v_lshlrev_b64 v[26:27], 1, v[26:27]
	s_waitcnt lgkmcnt(0)
	v_mov_b32_e32 v28, s13
	v_add_co_u32_e64 v26, s[6:7], s12, v26
	v_addc_co_u32_e64 v27, s[6:7], v28, v27, s[6:7]
	global_store_short v[26:27], v24, off
	s_or_b64 exec, exec, s[8:9]
	s_and_saveexec_b64 s[8:9], s[0:1]
	s_cbranch_execz .LBB144_38
.LBB144_73:
	v_add_u32_e32 v26, v25, v11
	v_mov_b32_e32 v27, 0
	v_lshlrev_b64 v[26:27], 1, v[26:27]
	s_waitcnt lgkmcnt(0)
	v_mov_b32_e32 v24, s13
	v_add_co_u32_e64 v26, s[6:7], s12, v26
	v_addc_co_u32_e64 v27, s[6:7], v24, v27, s[6:7]
	global_store_short v[26:27], v23, off
	s_or_b64 exec, exec, s[8:9]
	s_and_saveexec_b64 s[8:9], s[2:3]
	s_cbranch_execz .LBB144_39
.LBB144_74:
	v_add_u32_e32 v23, v25, v12
	v_mov_b32_e32 v24, 0
	v_lshlrev_b64 v[23:24], 1, v[23:24]
	s_waitcnt lgkmcnt(0)
	v_mov_b32_e32 v26, s13
	v_add_co_u32_e64 v23, s[6:7], s12, v23
	v_addc_co_u32_e64 v24, s[6:7], v26, v24, s[6:7]
	global_store_short v[23:24], v22, off
	s_or_b64 exec, exec, s[8:9]
	s_and_saveexec_b64 s[8:9], s[4:5]
	s_cbranch_execnz .LBB144_40
	s_branch .LBB144_41
.LBB144_75:
	v_add_u32_e32 v22, v21, v0
	v_mov_b32_e32 v23, 0
	v_lshlrev_b64 v[22:23], 1, v[22:23]
	s_waitcnt lgkmcnt(0)
	v_mov_b32_e32 v24, s13
	v_add_co_u32_e64 v22, s[6:7], s12, v22
	v_addc_co_u32_e64 v23, s[6:7], v24, v23, s[6:7]
	global_store_short v[22:23], v20, off
	s_or_b64 exec, exec, s[8:9]
	s_and_saveexec_b64 s[8:9], s[0:1]
	s_cbranch_execz .LBB144_44
.LBB144_76:
	v_add_u32_e32 v22, v21, v11
	v_mov_b32_e32 v23, 0
	v_lshlrev_b64 v[22:23], 1, v[22:23]
	s_waitcnt lgkmcnt(0)
	v_mov_b32_e32 v20, s13
	v_add_co_u32_e64 v22, s[6:7], s12, v22
	v_addc_co_u32_e64 v23, s[6:7], v20, v23, s[6:7]
	global_store_short v[22:23], v19, off
	s_or_b64 exec, exec, s[8:9]
	s_and_saveexec_b64 s[8:9], s[2:3]
	s_cbranch_execz .LBB144_45
.LBB144_77:
	v_add_u32_e32 v19, v21, v12
	v_mov_b32_e32 v20, 0
	v_lshlrev_b64 v[19:20], 1, v[19:20]
	s_waitcnt lgkmcnt(0)
	v_mov_b32_e32 v22, s13
	v_add_co_u32_e64 v19, s[6:7], s12, v19
	v_addc_co_u32_e64 v20, s[6:7], v22, v20, s[6:7]
	global_store_short v[19:20], v18, off
	s_or_b64 exec, exec, s[8:9]
	s_and_saveexec_b64 s[8:9], s[4:5]
	s_cbranch_execnz .LBB144_46
	s_branch .LBB144_47
.LBB144_78:
	v_add_u32_e32 v18, v17, v0
	v_mov_b32_e32 v19, 0
	v_lshlrev_b64 v[18:19], 1, v[18:19]
	s_waitcnt lgkmcnt(0)
	v_mov_b32_e32 v20, s13
	v_add_co_u32_e64 v18, s[6:7], s12, v18
	v_addc_co_u32_e64 v19, s[6:7], v20, v19, s[6:7]
	global_store_short v[18:19], v16, off
	s_or_b64 exec, exec, s[8:9]
	s_and_saveexec_b64 s[8:9], s[0:1]
	s_cbranch_execz .LBB144_50
.LBB144_79:
	v_add_u32_e32 v18, v17, v11
	v_mov_b32_e32 v19, 0
	v_lshlrev_b64 v[18:19], 1, v[18:19]
	s_waitcnt lgkmcnt(0)
	v_mov_b32_e32 v16, s13
	v_add_co_u32_e64 v18, s[6:7], s12, v18
	v_addc_co_u32_e64 v19, s[6:7], v16, v19, s[6:7]
	global_store_short v[18:19], v15, off
	s_or_b64 exec, exec, s[8:9]
	s_and_saveexec_b64 s[8:9], s[2:3]
	s_cbranch_execz .LBB144_51
.LBB144_80:
	v_add_u32_e32 v15, v17, v12
	v_mov_b32_e32 v16, 0
	v_lshlrev_b64 v[15:16], 1, v[15:16]
	s_waitcnt lgkmcnt(0)
	v_mov_b32_e32 v18, s13
	v_add_co_u32_e64 v15, s[6:7], s12, v15
	v_addc_co_u32_e64 v16, s[6:7], v18, v16, s[6:7]
	global_store_short v[15:16], v14, off
	s_or_b64 exec, exec, s[8:9]
	s_and_saveexec_b64 s[8:9], s[4:5]
	s_cbranch_execnz .LBB144_52
	s_branch .LBB144_53
.LBB144_81:
	v_add_u32_e32 v14, v10, v0
	v_mov_b32_e32 v15, 0
	v_lshlrev_b64 v[14:15], 1, v[14:15]
	s_waitcnt lgkmcnt(0)
	v_mov_b32_e32 v16, s13
	v_add_co_u32_e64 v14, s[6:7], s12, v14
	v_addc_co_u32_e64 v15, s[6:7], v16, v15, s[6:7]
	global_store_short v[14:15], v9, off
	s_or_b64 exec, exec, s[8:9]
	s_and_saveexec_b64 s[8:9], s[0:1]
	s_cbranch_execz .LBB144_56
.LBB144_82:
	v_add_u32_e32 v14, v10, v11
	v_mov_b32_e32 v15, 0
	v_lshlrev_b64 v[14:15], 1, v[14:15]
	s_waitcnt lgkmcnt(0)
	v_mov_b32_e32 v9, s13
	v_add_co_u32_e64 v14, s[6:7], s12, v14
	v_addc_co_u32_e64 v15, s[6:7], v9, v15, s[6:7]
	global_store_short v[14:15], v8, off
	s_or_b64 exec, exec, s[8:9]
	s_and_saveexec_b64 s[8:9], s[2:3]
	s_cbranch_execz .LBB144_57
.LBB144_83:
	v_add_u32_e32 v8, v10, v12
	v_mov_b32_e32 v9, 0
	v_lshlrev_b64 v[8:9], 1, v[8:9]
	s_waitcnt lgkmcnt(0)
	v_mov_b32_e32 v14, s13
	v_add_co_u32_e64 v8, s[6:7], s12, v8
	v_addc_co_u32_e64 v9, s[6:7], v14, v9, s[6:7]
	global_store_short v[8:9], v7, off
	s_or_b64 exec, exec, s[8:9]
	s_and_saveexec_b64 s[8:9], s[4:5]
	s_cbranch_execnz .LBB144_58
	s_branch .LBB144_59
.LBB144_84:
	v_add_u32_e32 v6, v1, v0
	v_mov_b32_e32 v7, 0
	v_lshlrev_b64 v[6:7], 1, v[6:7]
	s_waitcnt lgkmcnt(0)
	v_mov_b32_e32 v0, s13
	v_add_co_u32_e32 v6, vcc, s12, v6
	v_addc_co_u32_e32 v7, vcc, v0, v7, vcc
	global_store_short v[6:7], v5, off
	s_or_b64 exec, exec, s[6:7]
	s_and_saveexec_b64 s[6:7], s[0:1]
	s_cbranch_execz .LBB144_62
.LBB144_85:
	v_add_u32_e32 v5, v1, v11
	v_mov_b32_e32 v6, 0
	v_lshlrev_b64 v[5:6], 1, v[5:6]
	s_waitcnt lgkmcnt(0)
	v_mov_b32_e32 v0, s13
	v_add_co_u32_e32 v5, vcc, s12, v5
	v_addc_co_u32_e32 v6, vcc, v0, v6, vcc
	global_store_short v[5:6], v4, off
	s_or_b64 exec, exec, s[6:7]
	s_and_saveexec_b64 s[0:1], s[2:3]
	s_cbranch_execz .LBB144_63
.LBB144_86:
	v_add_u32_e32 v4, v1, v12
	v_mov_b32_e32 v5, 0
	v_lshlrev_b64 v[4:5], 1, v[4:5]
	s_waitcnt lgkmcnt(0)
	v_mov_b32_e32 v0, s13
	v_add_co_u32_e32 v4, vcc, s12, v4
	v_addc_co_u32_e32 v5, vcc, v0, v5, vcc
	global_store_short v[4:5], v3, off
	s_or_b64 exec, exec, s[0:1]
	s_and_b64 exec, exec, s[4:5]
	s_cbranch_execnz .LBB144_64
	s_branch .LBB144_65
	.section	.rodata,"a",@progbits
	.p2align	6, 0x0
	.amdhsa_kernel _ZL12mul_mat_q5_1IN3c104HalfELb1EEvPKvS3_PT_iiiii
		.amdhsa_group_segment_fixed_size 46720
		.amdhsa_private_segment_fixed_size 0
		.amdhsa_kernarg_size 44
		.amdhsa_user_sgpr_count 6
		.amdhsa_user_sgpr_private_segment_buffer 1
		.amdhsa_user_sgpr_dispatch_ptr 0
		.amdhsa_user_sgpr_queue_ptr 0
		.amdhsa_user_sgpr_kernarg_segment_ptr 1
		.amdhsa_user_sgpr_dispatch_id 0
		.amdhsa_user_sgpr_flat_scratch_init 0
		.amdhsa_user_sgpr_private_segment_size 0
		.amdhsa_uses_dynamic_stack 0
		.amdhsa_system_sgpr_private_segment_wavefront_offset 0
		.amdhsa_system_sgpr_workgroup_id_x 1
		.amdhsa_system_sgpr_workgroup_id_y 1
		.amdhsa_system_sgpr_workgroup_id_z 0
		.amdhsa_system_sgpr_workgroup_info 0
		.amdhsa_system_vgpr_workitem_id 1
		.amdhsa_next_free_vgpr 168
		.amdhsa_next_free_sgpr 98
		.amdhsa_reserve_vcc 1
		.amdhsa_reserve_flat_scratch 0
		.amdhsa_float_round_mode_32 0
		.amdhsa_float_round_mode_16_64 0
		.amdhsa_float_denorm_mode_32 3
		.amdhsa_float_denorm_mode_16_64 3
		.amdhsa_dx10_clamp 1
		.amdhsa_ieee_mode 1
		.amdhsa_fp16_overflow 0
		.amdhsa_exception_fp_ieee_invalid_op 0
		.amdhsa_exception_fp_denorm_src 0
		.amdhsa_exception_fp_ieee_div_zero 0
		.amdhsa_exception_fp_ieee_overflow 0
		.amdhsa_exception_fp_ieee_underflow 0
		.amdhsa_exception_fp_ieee_inexact 0
		.amdhsa_exception_int_div_zero 0
	.end_amdhsa_kernel
	.section	.text._ZL12mul_mat_q5_1IN3c104HalfELb1EEvPKvS3_PT_iiiii,"axG",@progbits,_ZL12mul_mat_q5_1IN3c104HalfELb1EEvPKvS3_PT_iiiii,comdat
.Lfunc_end144:
	.size	_ZL12mul_mat_q5_1IN3c104HalfELb1EEvPKvS3_PT_iiiii, .Lfunc_end144-_ZL12mul_mat_q5_1IN3c104HalfELb1EEvPKvS3_PT_iiiii
                                        ; -- End function
	.set _ZL12mul_mat_q5_1IN3c104HalfELb1EEvPKvS3_PT_iiiii.num_vgpr, 168
	.set _ZL12mul_mat_q5_1IN3c104HalfELb1EEvPKvS3_PT_iiiii.num_agpr, 0
	.set _ZL12mul_mat_q5_1IN3c104HalfELb1EEvPKvS3_PT_iiiii.numbered_sgpr, 18
	.set _ZL12mul_mat_q5_1IN3c104HalfELb1EEvPKvS3_PT_iiiii.num_named_barrier, 0
	.set _ZL12mul_mat_q5_1IN3c104HalfELb1EEvPKvS3_PT_iiiii.private_seg_size, 0
	.set _ZL12mul_mat_q5_1IN3c104HalfELb1EEvPKvS3_PT_iiiii.uses_vcc, 1
	.set _ZL12mul_mat_q5_1IN3c104HalfELb1EEvPKvS3_PT_iiiii.uses_flat_scratch, 0
	.set _ZL12mul_mat_q5_1IN3c104HalfELb1EEvPKvS3_PT_iiiii.has_dyn_sized_stack, 0
	.set _ZL12mul_mat_q5_1IN3c104HalfELb1EEvPKvS3_PT_iiiii.has_recursion, 0
	.set _ZL12mul_mat_q5_1IN3c104HalfELb1EEvPKvS3_PT_iiiii.has_indirect_call, 0
	.section	.AMDGPU.csdata,"",@progbits
; Kernel info:
; codeLenInByte = 14964
; TotalNumSgprs: 22
; NumVgprs: 168
; ScratchSize: 0
; MemoryBound: 0
; FloatMode: 240
; IeeeMode: 1
; LDSByteSize: 46720 bytes/workgroup (compile time only)
; SGPRBlocks: 12
; VGPRBlocks: 41
; NumSGPRsForWavesPerEU: 102
; NumVGPRsForWavesPerEU: 168
; Occupancy: 1
; WaveLimiterHint : 0
; COMPUTE_PGM_RSRC2:SCRATCH_EN: 0
; COMPUTE_PGM_RSRC2:USER_SGPR: 6
; COMPUTE_PGM_RSRC2:TRAP_HANDLER: 0
; COMPUTE_PGM_RSRC2:TGID_X_EN: 1
; COMPUTE_PGM_RSRC2:TGID_Y_EN: 1
; COMPUTE_PGM_RSRC2:TGID_Z_EN: 0
; COMPUTE_PGM_RSRC2:TIDIG_COMP_CNT: 1
	.section	.text._ZL12mul_mat_q8_0IN3c104HalfELb0EEvPKvS3_PT_iiiii,"axG",@progbits,_ZL12mul_mat_q8_0IN3c104HalfELb0EEvPKvS3_PT_iiiii,comdat
	.globl	_ZL12mul_mat_q8_0IN3c104HalfELb0EEvPKvS3_PT_iiiii ; -- Begin function _ZL12mul_mat_q8_0IN3c104HalfELb0EEvPKvS3_PT_iiiii
	.p2align	8
	.type	_ZL12mul_mat_q8_0IN3c104HalfELb0EEvPKvS3_PT_iiiii,@function
_ZL12mul_mat_q8_0IN3c104HalfELb0EEvPKvS3_PT_iiiii: ; @_ZL12mul_mat_q8_0IN3c104HalfELb0EEvPKvS3_PT_iiiii
; %bb.0:
	s_mov_b64 s[18:19], s[2:3]
	s_mov_b64 s[16:17], s[0:1]
	s_add_u32 s16, s16, s8
	s_load_dword s14, s[4:5], 0x18
	s_load_dwordx4 s[8:11], s[4:5], 0x20
	s_addc_u32 s17, s17, 0
	v_mov_b32_e32 v37, v1
	s_waitcnt lgkmcnt(0)
	s_lshl_b32 s11, s7, 6
	s_cmp_gt_i32 s14, 31
	v_add_u32_e32 v34, s11, v37
	s_cbranch_scc1 .LBB145_2
; %bb.1:
	v_add_u32_e32 v33, s11, v37
	s_mov_b64 s[0:1], 0
	s_branch .LBB145_3
.LBB145_2:
	s_mov_b64 s[0:1], -1
                                        ; implicit-def: $vgpr33
.LBB145_3:
	s_load_dwordx2 s[12:13], s[4:5], 0x10
	s_lshl_b32 s6, s6, 7
	v_mov_b32_e32 v1, 0
	s_andn2_b64 vcc, exec, s[0:1]
	v_mov_b32_e32 v5, 0
	v_mov_b32_e32 v9, 0
	;; [unrolled: 1-line block ×31, first 2 shown]
	s_cbranch_vccnz .LBB145_9
; %bb.4:
	s_load_dwordx4 s[0:3], s[4:5], 0x0
	s_ashr_i32 s4, s14, 31
	s_lshr_b32 s4, s4, 27
	s_ashr_i32 s5, s9, 31
	s_add_i32 s14, s14, s4
	s_lshr_b32 s5, s5, 27
	s_ashr_i32 s4, s14, 5
	s_add_i32 s5, s9, s5
	s_ashr_i32 s9, s5, 5
	s_mul_i32 s5, s4, s6
	v_mul_lo_u32 v2, s4, v37
	s_mul_hi_i32 s7, s5, 34
	s_mul_i32 s5, s5, 34
	s_waitcnt lgkmcnt(0)
	s_add_u32 s5, s0, s5
	v_lshlrev_b32_e32 v1, 2, v0
	s_movk_i32 s0, 0x84
	s_addc_u32 s7, s1, s7
	v_mad_u32_u24 v53, v37, s0, v1
	s_lshl_b32 s0, s4, 3
	v_add_u32_e32 v75, s0, v2
	v_add_u32_e32 v52, s0, v75
	v_and_b32_e32 v51, 28, v1
	v_add_u32_e32 v1, s0, v52
	buffer_store_dword v1, off, s[16:19], 0 offset:4 ; 4-byte Folded Spill
	v_add_u32_e32 v1, s0, v1
	v_add_u32_e32 v58, s0, v1
	v_add_u32_e32 v59, s0, v58
	v_add_u32_e32 v60, s0, v59
	v_add_u32_e32 v61, s0, v60
	v_add_u32_e32 v62, s0, v61
	v_add_u32_e32 v63, s0, v62
	v_add_u32_e32 v64, s0, v63
	v_add_u32_e32 v65, s0, v64
	v_add_u32_e32 v66, s0, v65
	v_add_u32_e32 v67, s0, v66
	buffer_store_dword v1, off, s[16:19], 0 offset:8 ; 4-byte Folded Spill
	v_add_u32_e32 v1, s0, v67
	buffer_store_dword v2, off, s[16:19], 0 ; 4-byte Folded Spill
	buffer_store_dword v1, off, s[16:19], 0 offset:12 ; 4-byte Folded Spill
	v_lshlrev_b32_e32 v1, 3, v37
	v_lshrrev_b32_e32 v2, 2, v0
	v_add_u32_e32 v5, v2, v1
	v_add_u16_e32 v1, v2, v1
	v_and_b32_e32 v12, 3, v0
	v_lshrrev_b16_e32 v1, 1, v1
	v_and_b32_e32 v1, 0x7fc, v1
	v_lshlrev_b32_e32 v9, 2, v12
	s_movk_i32 s14, 0x6200
	v_add3_u32 v14, v1, v9, s14
	v_add_u32_e32 v1, 64, v5
	v_lshrrev_b32_e32 v2, 1, v1
	v_and_b32_e32 v2, 0xffc, v2
	s_add_i32 s0, s8, -1
	v_add3_u32 v16, v2, v9, s14
	v_lshlrev_b32_e32 v17, 4, v1
	v_cvt_f64_i32_e32 v[1:2], s0
	v_cvt_f64_u32_e32 v[3:4], v34
	v_and_b32_e32 v6, 31, v0
	v_mov_b32_e32 v7, 0x4200
	v_lshl_or_b32 v70, v6, 2, v7
	v_min_f64 v[3:4], v[3:4], v[1:2]
	v_add_u32_e32 v7, 16, v34
	v_mul_lo_u32 v69, s4, v5
	v_lshlrev_b32_e32 v15, 4, v5
	v_and_b32_e32 v10, 63, v5
	v_add_u32_e32 v5, 8, v34
	v_cvt_f64_u32_e32 v[7:8], v7
	v_cvt_f64_u32_e32 v[5:6], v5
	v_cvt_i32_f64_e32 v3, v[3:4]
	v_or_b32_e32 v11, s11, v10
	v_min_f64 v[7:8], v[7:8], v[1:2]
	v_min_f64 v[5:6], v[5:6], v[1:2]
	v_min_i32_e32 v11, s0, v11
	v_mad_u64_u32 v[11:12], s[0:1], v11, s9, v[12:13]
	v_mul_lo_u32 v3, s9, v3
	v_lshl_or_b32 v4, v10, 4, v9
	buffer_store_dword v11, off, s[16:19], 0 offset:16 ; 4-byte Folded Spill
	s_nop 0
	buffer_store_dword v12, off, s[16:19], 0 offset:20 ; 4-byte Folded Spill
	v_add_u32_e32 v4, 0x6a40, v4
	buffer_store_dword v3, off, s[16:19], 0 offset:28 ; 4-byte Folded Spill
	v_cvt_i32_f64_e32 v3, v[7:8]
	buffer_store_dword v4, off, s[16:19], 0 offset:24 ; 4-byte Folded Spill
	v_cvt_i32_f64_e32 v4, v[5:6]
	v_add_u32_e32 v7, 40, v34
	v_mul_lo_u32 v3, s9, v3
	v_cvt_f64_u32_e32 v[7:8], v7
	v_mul_lo_u32 v4, s9, v4
	v_add_u32_e32 v5, 32, v34
	buffer_store_dword v3, off, s[16:19], 0 offset:36 ; 4-byte Folded Spill
	v_add_u32_e32 v3, 24, v34
	buffer_store_dword v4, off, s[16:19], 0 offset:32 ; 4-byte Folded Spill
	v_cvt_f64_u32_e32 v[3:4], v3
	v_add_u32_e32 v9, 48, v34
	v_add_u32_e32 v11, 56, v34
	v_cvt_f64_u32_e32 v[5:6], v5
	v_min_f64 v[3:4], v[3:4], v[1:2]
	v_cvt_f64_u32_e32 v[9:10], v9
	v_cvt_f64_u32_e32 v[11:12], v11
	v_min_f64 v[7:8], v[7:8], v[1:2]
	v_min_f64 v[5:6], v[5:6], v[1:2]
	s_movk_i32 s0, 0x6800
	v_lshrrev_b32_e32 v20, 3, v0
	v_lshlrev_b32_e32 v73, 7, v37
	v_cvt_i32_f64_e32 v13, v[3:4]
	v_min_f64 v[3:4], v[9:10], v[1:2]
	v_min_f64 v[1:2], v[11:12], v[1:2]
	v_cvt_i32_f64_e32 v7, v[7:8]
	v_cvt_i32_f64_e32 v5, v[5:6]
	v_add_u32_e32 v8, 0x60, v0
	v_mov_b32_e32 v9, s3
	v_mul_lo_u32 v78, s9, v7
	v_add_u32_e32 v7, 64, v0
	v_cvt_i32_f64_e32 v3, v[3:4]
	v_cvt_i32_f64_e32 v1, v[1:2]
	v_add_co_u32_e32 v12, vcc, s2, v51
	v_lshrrev_b32_e32 v8, 1, v8
	v_mul_lo_u32 v76, s9, v13
	v_addc_co_u32_e32 v13, vcc, 0, v9, vcc
	v_lshlrev_b32_e32 v9, 4, v0
	v_and_b32_e32 v8, 0xfc, v8
	v_lshrrev_b32_e32 v7, 1, v7
	v_mul_lo_u32 v77, s9, v5
	v_mul_lo_u32 v79, s9, v3
	;; [unrolled: 1-line block ×3, first 2 shown]
	v_add_u32_e32 v1, 32, v0
	v_add3_u32 v50, v9, v8, s0
	v_and_b32_e32 v7, 0xfc, v7
	s_movk_i32 s0, 0x6600
	v_add3_u32 v10, v9, v7, s0
	v_lshrrev_b32_e32 v1, 1, v1
	v_lshlrev_b32_e32 v7, 2, v20
	v_add_u32_e32 v18, 0x400, v73
	v_add_u32_e32 v19, 0x800, v73
	;; [unrolled: 1-line block ×7, first 2 shown]
	v_and_b32_e32 v1, 0xfc, v1
	s_movk_i32 s0, 0x6400
	v_add3_u32 v48, v9, v7, s14
	v_mov_b32_e32 v7, 0x6a40
	v_mov_b32_e32 v49, 0
	v_add3_u32 v1, v9, v1, s0
	v_lshl_add_u32 v91, v37, 4, v7
	s_mov_b32 s9, 0
	v_add_u32_e32 v94, v14, v15
	v_add_u32_e32 v96, v16, v17
	v_add_u32_e32 v98, v70, v18
	v_add_u32_e32 v100, v70, v19
	v_add_u32_e32 v102, v70, v6
	v_add_u32_e32 v104, v70, v5
	v_add_u32_e32 v106, v70, v2
	v_add_u32_e32 v108, v70, v3
	v_add_u32_e32 v110, v70, v4
	v_mov_b32_e32 v103, 0
	v_mov_b32_e32 v97, 0
	v_mov_b32_e32 v92, 0
	v_mov_b32_e32 v89, 0
	v_mov_b32_e32 v85, 0
	v_mov_b32_e32 v84, 0
	v_mov_b32_e32 v82, 0
	v_mov_b32_e32 v117, 0
	v_mov_b32_e32 v114, 0
	v_mov_b32_e32 v111, 0
	v_mov_b32_e32 v105, 0
	v_mov_b32_e32 v99, 0
	v_mov_b32_e32 v93, 0
	v_mov_b32_e32 v90, 0
	v_mov_b32_e32 v87, 0
	v_mov_b32_e32 v122, 0
	v_mov_b32_e32 v120, 0
	v_mov_b32_e32 v118, 0
	v_mov_b32_e32 v115, 0
	v_mov_b32_e32 v112, 0
	v_mov_b32_e32 v107, 0
	v_mov_b32_e32 v101, 0
	v_mov_b32_e32 v95, 0
	v_mov_b32_e32 v125, 0
	v_mov_b32_e32 v124, 0
	v_mov_b32_e32 v123, 0
	v_mov_b32_e32 v121, 0
	v_mov_b32_e32 v119, 0
	v_mov_b32_e32 v116, 0
	v_mov_b32_e32 v113, 0
	v_mov_b32_e32 v109, 0
	buffer_store_dword v34, off, s[16:19], 0 offset:44 ; 4-byte Folded Spill
	buffer_store_dword v37, off, s[16:19], 0 offset:40 ; 4-byte Folded Spill
.LBB145_5:                              ; =>This Loop Header: Depth=1
                                        ;     Child Loop BB145_6 Depth 2
	buffer_load_dword v4, off, s[16:19], 0  ; 4-byte Folded Reload
	buffer_load_dword v11, off, s[16:19], 0 offset:4 ; 4-byte Folded Reload
	s_mul_i32 s0, s9, 34
	s_mul_hi_u32 s1, s9, 34
	s_add_u32 s0, s5, s0
	s_addc_u32 s1, s7, s1
	v_lshrrev_b32_e32 v41, 3, v0
	v_mad_u64_u32 v[2:3], s[14:15], v41, 34, s[0:1]
	v_lshl_add_u32 v33, s4, 6, v69
	v_add_u32_e32 v126, 0x4200, v73
	v_mad_u64_u32 v[6:7], s[14:15], v75, 34, v[2:3]
	v_mad_u64_u32 v[8:9], s[14:15], v52, 34, v[2:3]
	;; [unrolled: 1-line block ×5, first 2 shown]
	v_mov_b32_e32 v127, v91
	v_mov_b32_e32 v88, v48
	;; [unrolled: 1-line block ×5, first 2 shown]
	v_mul_u32_u24_e32 v68, 0x84, v0
	s_waitcnt vmcnt(1)
	v_mad_u64_u32 v[4:5], s[14:15], v4, 34, v[2:3]
	s_waitcnt vmcnt(0)
	v_mad_u64_u32 v[14:15], s[14:15], v11, 34, v[2:3]
	buffer_load_dword v11, off, s[16:19], 0 offset:8 ; 4-byte Folded Reload
	v_add_co_u32_e32 v4, vcc, v4, v51
	v_addc_co_u32_e32 v5, vcc, 0, v5, vcc
	v_add_co_u32_e32 v6, vcc, v6, v51
	v_addc_co_u32_e32 v7, vcc, 0, v7, vcc
	;; [unrolled: 2-line block ×4, first 2 shown]
	s_waitcnt vmcnt(0)
	v_mad_u64_u32 v[14:15], s[14:15], v11, 34, v[2:3]
	v_add_co_u32_e32 v20, vcc, v14, v51
	v_addc_co_u32_e32 v21, vcc, 0, v15, vcc
	v_mad_u64_u32 v[14:15], s[14:15], v59, 34, v[2:3]
	v_add_co_u32_e32 v18, vcc, v18, v51
	v_addc_co_u32_e32 v19, vcc, 0, v19, vcc
	v_add_co_u32_e32 v24, vcc, v14, v51
	v_addc_co_u32_e32 v25, vcc, 0, v15, vcc
	;; [unrolled: 2-line block ×3, first 2 shown]
	global_load_dword v14, v[4:5], off offset:2
	global_load_dword v11, v[6:7], off offset:2
	s_nop 0
	global_load_dword v9, v[8:9], off offset:2
	s_nop 0
	global_load_dword v8, v[16:17], off offset:2
	global_load_dword v7, v[20:21], off offset:2
	;; [unrolled: 1-line block ×5, first 2 shown]
	buffer_load_dword v29, off, s[16:19], 0 offset:12 ; 4-byte Folded Reload
	v_mad_u64_u32 v[17:18], s[14:15], v62, 34, v[2:3]
	v_add_co_u32_e32 v15, vcc, v26, v51
	v_mad_u64_u32 v[19:20], s[14:15], v63, 34, v[2:3]
	v_addc_co_u32_e32 v16, vcc, 0, v27, vcc
	v_add_co_u32_e32 v17, vcc, v17, v51
	v_mad_u64_u32 v[21:22], s[14:15], v64, 34, v[2:3]
	v_addc_co_u32_e32 v18, vcc, 0, v18, vcc
	;; [unrolled: 3-line block ×5, first 2 shown]
	v_add_co_u32_e32 v25, vcc, v25, v51
	v_addc_co_u32_e32 v26, vcc, 0, v26, vcc
	v_add_co_u32_e32 v27, vcc, v27, v51
	v_addc_co_u32_e32 v28, vcc, 0, v28, vcc
	s_waitcnt vmcnt(0)
	v_mad_u64_u32 v[2:3], s[14:15], v29, 34, v[2:3]
	v_and_b32_e32 v29, 3, v0
	v_mad_u64_u32 v[29:30], s[0:1], v29, 34, s[0:1]
	v_add_co_u32_e32 v2, vcc, v2, v51
	v_addc_co_u32_e32 v3, vcc, 0, v3, vcc
	v_mad_u64_u32 v[31:32], s[0:1], v69, 34, v[29:30]
	v_mad_u64_u32 v[29:30], s[0:1], v33, 34, v[29:30]
	global_load_dword v33, v[15:16], off offset:2
	global_load_dword v34, v[17:18], off offset:2
	global_load_dword v35, v[19:20], off offset:2
	global_load_dword v36, v[21:22], off offset:2
	global_load_dword v37, v[23:24], off offset:2
	global_load_dword v38, v[25:26], off offset:2
	global_load_dword v39, v[27:28], off offset:2
	global_load_dword v40, v[2:3], off offset:2
	s_nop 0
	global_load_ushort v31, v[31:32], off
	s_nop 0
	global_load_ushort v32, v[29:30], off
	buffer_load_dword v2, off, s[16:19], 0 offset:16 ; 4-byte Folded Reload
	buffer_load_dword v3, off, s[16:19], 0 offset:20 ; 4-byte Folded Reload
	;; [unrolled: 1-line block ×5, first 2 shown]
	v_add_u32_e32 v29, s9, v41
	v_add_u32_e32 v21, v29, v76
	v_mad_i64_i32 v[21:22], s[0:1], v21, 36, v[12:13]
	v_add_u32_e32 v23, v29, v77
	v_add_u32_e32 v25, v29, v78
	v_add_u32_e32 v27, v29, v79
	v_mad_i64_i32 v[23:24], s[0:1], v23, 36, v[12:13]
	v_mad_i64_i32 v[25:26], s[0:1], v25, 36, v[12:13]
	v_mad_i64_i32 v[27:28], s[0:1], v27, 36, v[12:13]
	s_waitcnt vmcnt(4)
	v_add_u32_e32 v2, s9, v2
	s_waitcnt vmcnt(3)
	v_mad_u64_u32 v[2:3], s[0:1], v2, 36, s[2:3]
	s_waitcnt vmcnt(2)
	v_add_u32_e32 v15, v29, v15
	v_mad_i64_i32 v[15:16], s[0:1], v15, 36, v[12:13]
	s_waitcnt vmcnt(1)
	v_add_u32_e32 v17, v29, v17
	v_mad_i64_i32 v[17:18], s[0:1], v17, 36, v[12:13]
	s_waitcnt vmcnt(0)
	v_add_u32_e32 v19, v29, v19
	v_mad_i64_i32 v[19:20], s[0:1], v19, 36, v[12:13]
	v_add_u32_e32 v29, v29, v80
	v_mad_i64_i32 v[29:30], s[0:1], v29, 36, v[12:13]
	global_load_dword v15, v[15:16], off offset:4
	s_nop 0
	global_load_dword v16, v[17:18], off offset:4
	s_nop 0
	global_load_dword v17, v[19:20], off offset:4
	global_load_dword v18, v[21:22], off offset:4
	s_nop 0
	global_load_dword v19, v[23:24], off offset:4
	s_nop 0
	global_load_dword v2, v[2:3], off
	s_nop 0
	global_load_dword v3, v[25:26], off offset:4
	global_load_dword v20, v[27:28], off offset:4
	;; [unrolled: 1-line block ×3, first 2 shown]
	ds_write_b32 v53, v14
	v_add_u32_e32 v14, 0x420, v53
	ds_write_b32 v14, v11
	v_add_u32_e32 v11, 0x840, v53
	;; [unrolled: 2-line block ×14, first 2 shown]
	ds_write_b32 v4, v39
	v_cvt_f32_f16_e32 v4, v31
	v_cvt_f32_f16_e32 v5, v32
	v_add_u32_e32 v6, 0x3de0, v53
	ds_write_b32 v6, v40
	ds_write_b32 v94, v4
	;; [unrolled: 1-line block ×3, first 2 shown]
	v_add_u32_e32 v4, v70, v73
	s_mov_b32 s0, -8
	s_waitcnt vmcnt(8)
	ds_write_b32 v4, v15
	s_waitcnt vmcnt(7)
	ds_write_b32 v98, v16
	;; [unrolled: 2-line block ×8, first 2 shown]
	buffer_load_dword v3, off, s[16:19], 0 offset:24 ; 4-byte Folded Reload
	v_cvt_f32_f16_e32 v2, v2
	s_waitcnt vmcnt(0)
	ds_write_b32 v3, v2
	s_waitcnt lgkmcnt(0)
	s_barrier
.LBB145_6:                              ;   Parent Loop BB145_5 Depth=1
                                        ; =>  This Inner Loop Header: Depth=2
	ds_read2_b32 v[46:47], v127 offset1:32
	ds_read_b128 v[6:9], v126
	ds_read_b128 v[2:5], v126 offset:16
	ds_read_b32 v71, v88
	ds_read2_b32 v[14:15], v68 offset1:1
	ds_read2_b32 v[16:17], v68 offset0:2 offset1:3
	ds_read2_b32 v[20:21], v68 offset0:4 offset1:5
	;; [unrolled: 1-line block ×3, first 2 shown]
	s_waitcnt lgkmcnt(4)
	v_mul_f32_e32 v18, v46, v71
	s_waitcnt lgkmcnt(3)
	v_dot4_i32_i8 v11, v14, v6, 0
	v_dot4_i32_i8 v11, v15, v7, v11
	s_waitcnt lgkmcnt(2)
	v_dot4_i32_i8 v11, v16, v8, v11
	v_dot4_i32_i8 v11, v17, v9, v11
	;; [unrolled: 3-line block ×4, first 2 shown]
	v_cvt_f32_i32_e32 v11, v11
	v_add_u32_e32 v24, 0x1088, v68
	v_add_u32_e32 v26, 0x1090, v68
	;; [unrolled: 1-line block ×3, first 2 shown]
	v_fmac_f32_e32 v49, v18, v11
	v_add_u32_e32 v11, 0x1080, v68
	ds_read_b32 v72, v86
	ds_read2_b32 v[18:19], v11 offset1:1
	ds_read2_b32 v[24:25], v24 offset1:1
	;; [unrolled: 1-line block ×4, first 2 shown]
	s_waitcnt lgkmcnt(4)
	v_mul_f32_e32 v28, v46, v72
	s_waitcnt lgkmcnt(3)
	v_dot4_i32_i8 v11, v18, v6, 0
	v_dot4_i32_i8 v11, v19, v7, v11
	s_waitcnt lgkmcnt(2)
	v_dot4_i32_i8 v11, v24, v8, v11
	v_dot4_i32_i8 v11, v25, v9, v11
	;; [unrolled: 3-line block ×4, first 2 shown]
	v_cvt_f32_i32_e32 v11, v11
	v_add_u32_e32 v30, 0x2108, v68
	v_mul_f32_e32 v54, v71, v47
	s_add_i32 s0, s0, 8
	v_fmac_f32_e32 v117, v28, v11
	v_add_u32_e32 v11, 0x2100, v68
	ds_read_b32 v74, v83
	ds_read2_b32 v[28:29], v11 offset1:1
	ds_read2_b32 v[36:37], v30 offset1:1
	v_add_u32_e32 v30, 0x2110, v68
	ds_read2_b32 v[40:41], v30 offset1:1
	v_add_u32_e32 v30, 0x2118, v68
	s_waitcnt lgkmcnt(2)
	v_dot4_i32_i8 v11, v28, v6, 0
	v_dot4_i32_i8 v11, v29, v7, v11
	ds_read2_b32 v[44:45], v30 offset1:1
	s_waitcnt lgkmcnt(2)
	v_dot4_i32_i8 v11, v36, v8, v11
	v_dot4_i32_i8 v11, v37, v9, v11
	s_waitcnt lgkmcnt(1)
	v_dot4_i32_i8 v11, v40, v2, v11
	v_dot4_i32_i8 v11, v41, v3, v11
	;; [unrolled: 3-line block ×3, first 2 shown]
	v_cvt_f32_i32_e32 v11, v11
	v_mul_f32_e32 v30, v46, v74
	v_add_u32_e32 v83, 4, v83
	v_add_u32_e32 v86, 4, v86
	v_fmac_f32_e32 v122, v30, v11
	v_add_u32_e32 v30, 0x3180, v68
	ds_read_b32 v11, v81
	ds_read2_b32 v[42:43], v30 offset1:1
	v_add_u32_e32 v81, 4, v81
	v_add_u32_e32 v88, 4, v88
	s_cmp_lt_u32 s0, 24
	s_waitcnt lgkmcnt(0)
	v_dot4_i32_i8 v6, v42, v6, 0
	v_dot4_i32_i8 v6, v43, v7, v6
	v_add_u32_e32 v7, 0x3188, v68
	ds_read2_b32 v[30:31], v7 offset1:1
	v_add_u32_e32 v7, 0x3190, v68
	ds_read2_b32 v[34:35], v7 offset1:1
	s_waitcnt lgkmcnt(1)
	v_dot4_i32_i8 v6, v30, v8, v6
	v_dot4_i32_i8 v6, v31, v9, v6
	s_waitcnt lgkmcnt(0)
	v_dot4_i32_i8 v2, v34, v2, v6
	v_dot4_i32_i8 v2, v35, v3, v2
	v_add_u32_e32 v3, 0x3198, v68
	ds_read2_b32 v[38:39], v3 offset1:1
	v_mul_f32_e32 v3, v46, v11
	v_add_u32_e32 v68, 32, v68
	s_waitcnt lgkmcnt(0)
	v_dot4_i32_i8 v2, v38, v4, v2
	v_dot4_i32_i8 v2, v39, v5, v2
	v_cvt_f32_i32_e32 v2, v2
	v_fmac_f32_e32 v125, v3, v2
	ds_read_b128 v[2:5], v126 offset:1024
	ds_read_b128 v[6:9], v126 offset:1040
	s_waitcnt lgkmcnt(1)
	v_dot4_i32_i8 v46, v14, v2, 0
	v_dot4_i32_i8 v46, v15, v3, v46
	;; [unrolled: 1-line block ×4, first 2 shown]
	s_waitcnt lgkmcnt(0)
	v_dot4_i32_i8 v46, v20, v6, v46
	v_dot4_i32_i8 v46, v21, v7, v46
	;; [unrolled: 1-line block ×4, first 2 shown]
	v_cvt_f32_i32_e32 v46, v46
	v_fmac_f32_e32 v103, v54, v46
	v_dot4_i32_i8 v46, v18, v2, 0
	v_dot4_i32_i8 v46, v19, v3, v46
	;; [unrolled: 1-line block ×8, first 2 shown]
	v_cvt_f32_i32_e32 v46, v46
	v_mul_f32_e32 v54, v72, v47
	v_fmac_f32_e32 v114, v54, v46
	v_dot4_i32_i8 v46, v28, v2, 0
	v_dot4_i32_i8 v2, v42, v2, 0
	;; [unrolled: 1-line block ×16, first 2 shown]
	v_cvt_f32_i32_e32 v46, v46
	v_cvt_f32_i32_e32 v2, v2
	v_mul_f32_e32 v54, v74, v47
	v_mul_f32_e32 v3, v11, v47
	v_fmac_f32_e32 v120, v54, v46
	v_fmac_f32_e32 v124, v3, v2
	ds_read2_b32 v[2:3], v127 offset0:64 offset1:96
	ds_read_b128 v[4:7], v126 offset:2048
	ds_read_b128 v[54:57], v126 offset:2064
	s_waitcnt lgkmcnt(2)
	v_mul_f32_e32 v9, v71, v2
	s_waitcnt lgkmcnt(1)
	v_dot4_i32_i8 v8, v14, v4, 0
	v_dot4_i32_i8 v8, v15, v5, v8
	;; [unrolled: 1-line block ×4, first 2 shown]
	s_waitcnt lgkmcnt(0)
	v_dot4_i32_i8 v8, v20, v54, v8
	v_dot4_i32_i8 v8, v21, v55, v8
	;; [unrolled: 1-line block ×4, first 2 shown]
	v_cvt_f32_i32_e32 v8, v8
	v_fmac_f32_e32 v97, v9, v8
	v_dot4_i32_i8 v8, v18, v4, 0
	v_dot4_i32_i8 v8, v19, v5, v8
	;; [unrolled: 1-line block ×8, first 2 shown]
	v_cvt_f32_i32_e32 v8, v8
	v_mul_f32_e32 v9, v72, v2
	v_fmac_f32_e32 v111, v9, v8
	v_dot4_i32_i8 v8, v28, v4, 0
	v_dot4_i32_i8 v4, v42, v4, 0
	;; [unrolled: 1-line block ×12, first 2 shown]
	v_cvt_f32_i32_e32 v4, v4
	v_dot4_i32_i8 v8, v40, v54, v8
	v_dot4_i32_i8 v8, v41, v55, v8
	;; [unrolled: 1-line block ×3, first 2 shown]
	v_mul_f32_e32 v9, v74, v2
	v_mul_f32_e32 v2, v11, v2
	v_dot4_i32_i8 v8, v45, v57, v8
	v_fmac_f32_e32 v123, v2, v4
	ds_read_b128 v[4:7], v126 offset:3072
	ds_read_b128 v[54:57], v126 offset:3088
	v_cvt_f32_i32_e32 v8, v8
	s_waitcnt lgkmcnt(1)
	v_dot4_i32_i8 v2, v14, v4, 0
	v_dot4_i32_i8 v2, v15, v5, v2
	;; [unrolled: 1-line block ×4, first 2 shown]
	s_waitcnt lgkmcnt(0)
	v_dot4_i32_i8 v2, v20, v54, v2
	v_dot4_i32_i8 v2, v21, v55, v2
	;; [unrolled: 1-line block ×4, first 2 shown]
	v_cvt_f32_i32_e32 v2, v2
	v_fmac_f32_e32 v118, v9, v8
	v_mul_f32_e32 v8, v71, v3
	v_fmac_f32_e32 v92, v8, v2
	v_dot4_i32_i8 v2, v18, v4, 0
	v_dot4_i32_i8 v2, v19, v5, v2
	;; [unrolled: 1-line block ×8, first 2 shown]
	v_cvt_f32_i32_e32 v2, v2
	v_mul_f32_e32 v8, v72, v3
	v_fmac_f32_e32 v105, v8, v2
	v_dot4_i32_i8 v2, v28, v4, 0
	v_dot4_i32_i8 v2, v29, v5, v2
	;; [unrolled: 1-line block ×8, first 2 shown]
	v_cvt_f32_i32_e32 v2, v2
	v_mul_f32_e32 v8, v74, v3
	v_mul_f32_e32 v3, v11, v3
	v_fmac_f32_e32 v115, v8, v2
	v_dot4_i32_i8 v2, v42, v4, 0
	v_dot4_i32_i8 v2, v43, v5, v2
	;; [unrolled: 1-line block ×8, first 2 shown]
	v_cvt_f32_i32_e32 v2, v2
	v_fmac_f32_e32 v121, v3, v2
	ds_read2_b32 v[46:47], v127 offset0:128 offset1:160
	ds_read_b128 v[2:5], v126 offset:4096
	ds_read_b128 v[6:9], v126 offset:4112
	s_waitcnt lgkmcnt(2)
	v_mul_f32_e32 v55, v71, v46
	s_waitcnt lgkmcnt(1)
	v_dot4_i32_i8 v54, v14, v2, 0
	v_dot4_i32_i8 v54, v15, v3, v54
	v_dot4_i32_i8 v54, v16, v4, v54
	v_dot4_i32_i8 v54, v17, v5, v54
	s_waitcnt lgkmcnt(0)
	v_dot4_i32_i8 v54, v20, v6, v54
	v_dot4_i32_i8 v54, v21, v7, v54
	;; [unrolled: 1-line block ×4, first 2 shown]
	v_cvt_f32_i32_e32 v54, v54
	v_fmac_f32_e32 v89, v55, v54
	v_dot4_i32_i8 v54, v18, v2, 0
	v_dot4_i32_i8 v54, v19, v3, v54
	;; [unrolled: 1-line block ×8, first 2 shown]
	v_cvt_f32_i32_e32 v54, v54
	v_mul_f32_e32 v55, v72, v46
	v_fmac_f32_e32 v99, v55, v54
	v_dot4_i32_i8 v54, v28, v2, 0
	v_dot4_i32_i8 v2, v42, v2, 0
	;; [unrolled: 1-line block ×12, first 2 shown]
	v_cvt_f32_i32_e32 v2, v2
	v_dot4_i32_i8 v54, v40, v6, v54
	v_dot4_i32_i8 v54, v41, v7, v54
	;; [unrolled: 1-line block ×3, first 2 shown]
	v_mul_f32_e32 v3, v11, v46
	v_dot4_i32_i8 v54, v45, v9, v54
	v_fmac_f32_e32 v119, v3, v2
	ds_read_b128 v[6:9], v126 offset:5120
	ds_read_b128 v[2:5], v126 offset:5136
	v_mul_f32_e32 v55, v74, v46
	v_cvt_f32_i32_e32 v54, v54
	s_waitcnt lgkmcnt(1)
	v_dot4_i32_i8 v46, v14, v6, 0
	v_dot4_i32_i8 v46, v15, v7, v46
	;; [unrolled: 1-line block ×4, first 2 shown]
	s_waitcnt lgkmcnt(0)
	v_dot4_i32_i8 v46, v20, v2, v46
	v_dot4_i32_i8 v46, v21, v3, v46
	;; [unrolled: 1-line block ×4, first 2 shown]
	v_cvt_f32_i32_e32 v46, v46
	v_fmac_f32_e32 v112, v55, v54
	v_mul_f32_e32 v54, v71, v47
	v_fmac_f32_e32 v85, v54, v46
	v_dot4_i32_i8 v46, v18, v6, 0
	v_dot4_i32_i8 v46, v19, v7, v46
	;; [unrolled: 1-line block ×8, first 2 shown]
	v_cvt_f32_i32_e32 v46, v46
	v_mul_f32_e32 v54, v72, v47
	v_fmac_f32_e32 v93, v54, v46
	v_dot4_i32_i8 v46, v28, v6, 0
	v_dot4_i32_i8 v6, v42, v6, 0
	;; [unrolled: 1-line block ×16, first 2 shown]
	v_cvt_f32_i32_e32 v46, v46
	v_cvt_f32_i32_e32 v2, v2
	v_mul_f32_e32 v54, v74, v47
	v_mul_f32_e32 v3, v11, v47
	v_fmac_f32_e32 v107, v54, v46
	v_fmac_f32_e32 v116, v3, v2
	ds_read2_b32 v[46:47], v127 offset0:192 offset1:224
	ds_read_b128 v[2:5], v126 offset:6144
	ds_read_b128 v[6:9], v126 offset:6160
	v_add_u32_e32 v127, 4, v127
	s_waitcnt lgkmcnt(2)
	v_mul_f32_e32 v55, v71, v46
	s_waitcnt lgkmcnt(1)
	v_dot4_i32_i8 v54, v14, v2, 0
	v_dot4_i32_i8 v54, v15, v3, v54
	;; [unrolled: 1-line block ×4, first 2 shown]
	s_waitcnt lgkmcnt(0)
	v_dot4_i32_i8 v54, v20, v6, v54
	v_dot4_i32_i8 v54, v21, v7, v54
	;; [unrolled: 1-line block ×4, first 2 shown]
	v_cvt_f32_i32_e32 v54, v54
	v_fmac_f32_e32 v84, v55, v54
	v_dot4_i32_i8 v54, v18, v2, 0
	v_dot4_i32_i8 v54, v19, v3, v54
	;; [unrolled: 1-line block ×8, first 2 shown]
	v_cvt_f32_i32_e32 v54, v54
	v_mul_f32_e32 v55, v72, v46
	v_fmac_f32_e32 v90, v55, v54
	v_dot4_i32_i8 v54, v28, v2, 0
	v_dot4_i32_i8 v2, v42, v2, 0
	;; [unrolled: 1-line block ×12, first 2 shown]
	v_cvt_f32_i32_e32 v2, v2
	v_dot4_i32_i8 v54, v40, v6, v54
	v_dot4_i32_i8 v54, v41, v7, v54
	;; [unrolled: 1-line block ×3, first 2 shown]
	v_mul_f32_e32 v3, v11, v46
	v_dot4_i32_i8 v54, v45, v9, v54
	v_fmac_f32_e32 v113, v3, v2
	ds_read_b128 v[6:9], v126 offset:7168
	ds_read_b128 v[2:5], v126 offset:7184
	v_cvt_f32_i32_e32 v54, v54
	v_mul_f32_e32 v55, v74, v46
	v_add_u32_e32 v126, 32, v126
	s_waitcnt lgkmcnt(1)
	v_dot4_i32_i8 v14, v14, v6, 0
	v_dot4_i32_i8 v14, v15, v7, v14
	;; [unrolled: 1-line block ×4, first 2 shown]
	s_waitcnt lgkmcnt(0)
	v_dot4_i32_i8 v14, v20, v2, v14
	v_dot4_i32_i8 v14, v21, v3, v14
	;; [unrolled: 1-line block ×4, first 2 shown]
	v_cvt_f32_i32_e32 v14, v14
	v_mul_f32_e32 v15, v71, v47
	v_fmac_f32_e32 v101, v55, v54
	v_fmac_f32_e32 v82, v15, v14
	v_dot4_i32_i8 v14, v18, v6, 0
	v_dot4_i32_i8 v14, v19, v7, v14
	;; [unrolled: 1-line block ×8, first 2 shown]
	v_cvt_f32_i32_e32 v14, v14
	v_mul_f32_e32 v15, v72, v47
	v_fmac_f32_e32 v87, v15, v14
	v_dot4_i32_i8 v14, v28, v6, 0
	v_dot4_i32_i8 v6, v42, v6, 0
	;; [unrolled: 1-line block ×16, first 2 shown]
	v_cvt_f32_i32_e32 v14, v14
	v_cvt_f32_i32_e32 v2, v2
	v_mul_f32_e32 v15, v74, v47
	v_mul_f32_e32 v3, v11, v47
	v_fmac_f32_e32 v95, v15, v14
	v_fmac_f32_e32 v109, v3, v2
	s_cbranch_scc1 .LBB145_6
; %bb.7:                                ;   in Loop: Header=BB145_5 Depth=1
	s_add_i32 s9, s9, 4
	s_cmp_ge_i32 s9, s4
	s_barrier
	s_cbranch_scc0 .LBB145_5
; %bb.8:
	buffer_load_dword v33, off, s[16:19], 0 offset:44 ; 4-byte Folded Reload
	buffer_load_dword v37, off, s[16:19], 0 offset:40 ; 4-byte Folded Reload
	v_cvt_f16_f32_e32 v10, v49
	v_cvt_f16_f32_e32 v11, v117
	;; [unrolled: 1-line block ×32, first 2 shown]
.LBB145_9:
	s_waitcnt vmcnt(1)
	v_cmp_gt_u32_e32 vcc, s8, v33
	s_and_saveexec_b64 s[0:1], vcc
	s_cbranch_execz .LBB145_60
; %bb.10:
	v_mul_lo_u32 v33, v33, s10
	v_add_u32_e32 v0, s6, v0
	v_cmp_gt_u32_e32 vcc, s10, v0
	s_and_saveexec_b64 s[2:3], vcc
	s_cbranch_execz .LBB145_12
; %bb.11:
	v_add_u32_e32 v34, v0, v33
	v_mov_b32_e32 v35, 0
	v_lshlrev_b64 v[34:35], 1, v[34:35]
	s_waitcnt lgkmcnt(0)
	v_mov_b32_e32 v36, s13
	v_add_co_u32_e64 v34, s[0:1], s12, v34
	v_addc_co_u32_e64 v35, s[0:1], v36, v35, s[0:1]
	global_store_short v[34:35], v10, off
.LBB145_12:
	s_or_b64 exec, exec, s[2:3]
	v_add_u32_e32 v10, 32, v0
	v_cmp_gt_u32_e64 s[0:1], s10, v10
	s_and_saveexec_b64 s[4:5], s[0:1]
	s_cbranch_execz .LBB145_14
; %bb.13:
	v_add_u32_e32 v34, v10, v33
	v_mov_b32_e32 v35, 0
	v_lshlrev_b64 v[34:35], 1, v[34:35]
	s_waitcnt lgkmcnt(0)
	v_mov_b32_e32 v36, s13
	v_add_co_u32_e64 v34, s[2:3], s12, v34
	v_addc_co_u32_e64 v35, s[2:3], v36, v35, s[2:3]
	global_store_short v[34:35], v11, off
.LBB145_14:
	s_or_b64 exec, exec, s[4:5]
	v_add_u32_e32 v11, 64, v0
	v_cmp_gt_u32_e64 s[2:3], s10, v11
	s_and_saveexec_b64 s[6:7], s[2:3]
	;; [unrolled: 15-line block ×3, first 2 shown]
	s_cbranch_execz .LBB145_18
; %bb.17:
	v_add_u32_e32 v33, v12, v33
	v_mov_b32_e32 v34, 0
	v_lshlrev_b64 v[33:34], 1, v[33:34]
	s_waitcnt lgkmcnt(0)
	v_mov_b32_e32 v35, s13
	v_add_co_u32_e64 v33, s[6:7], s12, v33
	v_addc_co_u32_e64 v34, s[6:7], v35, v34, s[6:7]
	global_store_short v[33:34], v32, off
.LBB145_18:
	s_or_b64 exec, exec, s[14:15]
	s_waitcnt vmcnt(0)
	v_add3_u32 v32, v37, s11, 8
	v_cmp_gt_u32_e64 s[6:7], s8, v32
	s_and_b64 exec, exec, s[6:7]
	s_cbranch_execz .LBB145_60
; %bb.19:
	v_mul_lo_u32 v32, v32, s10
	s_and_saveexec_b64 s[14:15], vcc
	s_cbranch_execnz .LBB145_61
; %bb.20:
	s_or_b64 exec, exec, s[14:15]
	s_and_saveexec_b64 s[14:15], s[0:1]
	s_cbranch_execnz .LBB145_62
.LBB145_21:
	s_or_b64 exec, exec, s[14:15]
	s_and_saveexec_b64 s[14:15], s[2:3]
	s_cbranch_execnz .LBB145_63
.LBB145_22:
	s_or_b64 exec, exec, s[14:15]
	s_and_saveexec_b64 s[14:15], s[4:5]
	s_cbranch_execz .LBB145_24
.LBB145_23:
	v_add_u32_e32 v29, v32, v12
	v_mov_b32_e32 v30, 0
	v_lshlrev_b64 v[29:30], 1, v[29:30]
	s_waitcnt lgkmcnt(0)
	v_mov_b32_e32 v31, s13
	v_add_co_u32_e64 v29, s[6:7], s12, v29
	v_addc_co_u32_e64 v30, s[6:7], v31, v30, s[6:7]
	global_store_short v[29:30], v28, off
.LBB145_24:
	s_or_b64 exec, exec, s[14:15]
	v_add3_u32 v28, v37, s11, 16
	v_cmp_gt_u32_e64 s[6:7], s8, v28
	s_and_b64 exec, exec, s[6:7]
	s_cbranch_execz .LBB145_60
; %bb.25:
	v_mul_lo_u32 v28, v28, s10
	s_and_saveexec_b64 s[14:15], vcc
	s_cbranch_execnz .LBB145_64
; %bb.26:
	s_or_b64 exec, exec, s[14:15]
	s_and_saveexec_b64 s[14:15], s[0:1]
	s_cbranch_execnz .LBB145_65
.LBB145_27:
	s_or_b64 exec, exec, s[14:15]
	s_and_saveexec_b64 s[14:15], s[2:3]
	s_cbranch_execnz .LBB145_66
.LBB145_28:
	s_or_b64 exec, exec, s[14:15]
	s_and_saveexec_b64 s[14:15], s[4:5]
	s_cbranch_execz .LBB145_30
.LBB145_29:
	v_add_u32_e32 v25, v28, v12
	v_mov_b32_e32 v26, 0
	v_lshlrev_b64 v[25:26], 1, v[25:26]
	s_waitcnt lgkmcnt(0)
	v_mov_b32_e32 v27, s13
	v_add_co_u32_e64 v25, s[6:7], s12, v25
	v_addc_co_u32_e64 v26, s[6:7], v27, v26, s[6:7]
	global_store_short v[25:26], v24, off
.LBB145_30:
	s_or_b64 exec, exec, s[14:15]
	v_add3_u32 v24, v37, s11, 24
	v_cmp_gt_u32_e64 s[6:7], s8, v24
	s_and_b64 exec, exec, s[6:7]
	s_cbranch_execz .LBB145_60
; %bb.31:
	v_mul_lo_u32 v24, v24, s10
	s_and_saveexec_b64 s[14:15], vcc
	s_cbranch_execnz .LBB145_67
; %bb.32:
	s_or_b64 exec, exec, s[14:15]
	s_and_saveexec_b64 s[14:15], s[0:1]
	s_cbranch_execnz .LBB145_68
.LBB145_33:
	s_or_b64 exec, exec, s[14:15]
	s_and_saveexec_b64 s[14:15], s[2:3]
	s_cbranch_execnz .LBB145_69
.LBB145_34:
	s_or_b64 exec, exec, s[14:15]
	s_and_saveexec_b64 s[14:15], s[4:5]
	s_cbranch_execz .LBB145_36
.LBB145_35:
	v_add_u32_e32 v21, v24, v12
	v_mov_b32_e32 v22, 0
	v_lshlrev_b64 v[21:22], 1, v[21:22]
	s_waitcnt lgkmcnt(0)
	v_mov_b32_e32 v23, s13
	v_add_co_u32_e64 v21, s[6:7], s12, v21
	v_addc_co_u32_e64 v22, s[6:7], v23, v22, s[6:7]
	global_store_short v[21:22], v20, off
.LBB145_36:
	s_or_b64 exec, exec, s[14:15]
	v_add3_u32 v20, v37, s11, 32
	v_cmp_gt_u32_e64 s[6:7], s8, v20
	s_and_b64 exec, exec, s[6:7]
	s_cbranch_execz .LBB145_60
; %bb.37:
	v_mul_lo_u32 v20, v20, s10
	s_and_saveexec_b64 s[14:15], vcc
	s_cbranch_execnz .LBB145_70
; %bb.38:
	s_or_b64 exec, exec, s[14:15]
	s_and_saveexec_b64 s[14:15], s[0:1]
	s_cbranch_execnz .LBB145_71
.LBB145_39:
	s_or_b64 exec, exec, s[14:15]
	s_and_saveexec_b64 s[14:15], s[2:3]
	s_cbranch_execnz .LBB145_72
.LBB145_40:
	s_or_b64 exec, exec, s[14:15]
	s_and_saveexec_b64 s[14:15], s[4:5]
	s_cbranch_execz .LBB145_42
.LBB145_41:
	v_add_u32_e32 v17, v20, v12
	v_mov_b32_e32 v18, 0
	v_lshlrev_b64 v[17:18], 1, v[17:18]
	s_waitcnt lgkmcnt(0)
	v_mov_b32_e32 v19, s13
	v_add_co_u32_e64 v17, s[6:7], s12, v17
	v_addc_co_u32_e64 v18, s[6:7], v19, v18, s[6:7]
	global_store_short v[17:18], v16, off
.LBB145_42:
	s_or_b64 exec, exec, s[14:15]
	v_add3_u32 v16, v37, s11, 40
	v_cmp_gt_u32_e64 s[6:7], s8, v16
	s_and_b64 exec, exec, s[6:7]
	s_cbranch_execz .LBB145_60
; %bb.43:
	v_mul_lo_u32 v16, v16, s10
	s_and_saveexec_b64 s[14:15], vcc
	s_cbranch_execnz .LBB145_73
; %bb.44:
	s_or_b64 exec, exec, s[14:15]
	s_and_saveexec_b64 s[14:15], s[0:1]
	s_cbranch_execnz .LBB145_74
.LBB145_45:
	s_or_b64 exec, exec, s[14:15]
	s_and_saveexec_b64 s[14:15], s[2:3]
	s_cbranch_execnz .LBB145_75
.LBB145_46:
	s_or_b64 exec, exec, s[14:15]
	s_and_saveexec_b64 s[14:15], s[4:5]
	s_cbranch_execz .LBB145_48
.LBB145_47:
	v_add_u32_e32 v13, v16, v12
	v_mov_b32_e32 v14, 0
	v_lshlrev_b64 v[13:14], 1, v[13:14]
	s_waitcnt lgkmcnt(0)
	v_mov_b32_e32 v15, s13
	v_add_co_u32_e64 v13, s[6:7], s12, v13
	v_addc_co_u32_e64 v14, s[6:7], v15, v14, s[6:7]
	global_store_short v[13:14], v9, off
.LBB145_48:
	s_or_b64 exec, exec, s[14:15]
	v_add3_u32 v9, v37, s11, 48
	v_cmp_gt_u32_e64 s[6:7], s8, v9
	s_and_b64 exec, exec, s[6:7]
	s_cbranch_execz .LBB145_60
; %bb.49:
	v_mul_lo_u32 v9, v9, s10
	s_and_saveexec_b64 s[14:15], vcc
	s_cbranch_execnz .LBB145_76
; %bb.50:
	s_or_b64 exec, exec, s[14:15]
	s_and_saveexec_b64 s[14:15], s[0:1]
	s_cbranch_execnz .LBB145_77
.LBB145_51:
	s_or_b64 exec, exec, s[14:15]
	s_and_saveexec_b64 s[14:15], s[2:3]
	s_cbranch_execnz .LBB145_78
.LBB145_52:
	s_or_b64 exec, exec, s[14:15]
	s_and_saveexec_b64 s[14:15], s[4:5]
	s_cbranch_execz .LBB145_54
.LBB145_53:
	v_add_u32_e32 v6, v9, v12
	v_mov_b32_e32 v7, 0
	v_lshlrev_b64 v[6:7], 1, v[6:7]
	s_waitcnt lgkmcnt(0)
	v_mov_b32_e32 v8, s13
	v_add_co_u32_e64 v6, s[6:7], s12, v6
	v_addc_co_u32_e64 v7, s[6:7], v8, v7, s[6:7]
	global_store_short v[6:7], v5, off
.LBB145_54:
	s_or_b64 exec, exec, s[14:15]
	v_add3_u32 v5, v37, s11, 56
	v_cmp_gt_u32_e64 s[6:7], s8, v5
	s_and_b64 exec, exec, s[6:7]
	s_cbranch_execz .LBB145_60
; %bb.55:
	v_mul_lo_u32 v5, v5, s10
	s_and_saveexec_b64 s[6:7], vcc
	s_cbranch_execnz .LBB145_79
; %bb.56:
	s_or_b64 exec, exec, s[6:7]
	s_and_saveexec_b64 s[6:7], s[0:1]
	s_cbranch_execnz .LBB145_80
.LBB145_57:
	s_or_b64 exec, exec, s[6:7]
	s_and_saveexec_b64 s[0:1], s[2:3]
	s_cbranch_execnz .LBB145_81
.LBB145_58:
	s_or_b64 exec, exec, s[0:1]
	s_and_b64 exec, exec, s[4:5]
	s_cbranch_execz .LBB145_60
.LBB145_59:
	v_add_u32_e32 v2, v5, v12
	v_mov_b32_e32 v3, 0
	v_lshlrev_b64 v[2:3], 1, v[2:3]
	s_waitcnt lgkmcnt(0)
	v_mov_b32_e32 v0, s13
	v_add_co_u32_e32 v2, vcc, s12, v2
	v_addc_co_u32_e32 v3, vcc, v0, v3, vcc
	global_store_short v[2:3], v1, off
.LBB145_60:
	s_endpgm
.LBB145_61:
	v_add_u32_e32 v33, v32, v0
	v_mov_b32_e32 v34, 0
	v_lshlrev_b64 v[33:34], 1, v[33:34]
	s_waitcnt lgkmcnt(0)
	v_mov_b32_e32 v35, s13
	v_add_co_u32_e64 v33, s[6:7], s12, v33
	v_addc_co_u32_e64 v34, s[6:7], v35, v34, s[6:7]
	global_store_short v[33:34], v31, off
	s_or_b64 exec, exec, s[14:15]
	s_and_saveexec_b64 s[14:15], s[0:1]
	s_cbranch_execz .LBB145_21
.LBB145_62:
	v_add_u32_e32 v33, v32, v10
	v_mov_b32_e32 v34, 0
	v_lshlrev_b64 v[33:34], 1, v[33:34]
	s_waitcnt lgkmcnt(0)
	v_mov_b32_e32 v31, s13
	v_add_co_u32_e64 v33, s[6:7], s12, v33
	v_addc_co_u32_e64 v34, s[6:7], v31, v34, s[6:7]
	global_store_short v[33:34], v30, off
	s_or_b64 exec, exec, s[14:15]
	s_and_saveexec_b64 s[14:15], s[2:3]
	s_cbranch_execz .LBB145_22
.LBB145_63:
	v_add_u32_e32 v30, v32, v11
	v_mov_b32_e32 v31, 0
	v_lshlrev_b64 v[30:31], 1, v[30:31]
	s_waitcnt lgkmcnt(0)
	v_mov_b32_e32 v33, s13
	v_add_co_u32_e64 v30, s[6:7], s12, v30
	v_addc_co_u32_e64 v31, s[6:7], v33, v31, s[6:7]
	global_store_short v[30:31], v29, off
	s_or_b64 exec, exec, s[14:15]
	s_and_saveexec_b64 s[14:15], s[4:5]
	s_cbranch_execnz .LBB145_23
	s_branch .LBB145_24
.LBB145_64:
	v_add_u32_e32 v29, v28, v0
	v_mov_b32_e32 v30, 0
	v_lshlrev_b64 v[29:30], 1, v[29:30]
	s_waitcnt lgkmcnt(0)
	v_mov_b32_e32 v31, s13
	v_add_co_u32_e64 v29, s[6:7], s12, v29
	v_addc_co_u32_e64 v30, s[6:7], v31, v30, s[6:7]
	global_store_short v[29:30], v27, off
	s_or_b64 exec, exec, s[14:15]
	s_and_saveexec_b64 s[14:15], s[0:1]
	s_cbranch_execz .LBB145_27
.LBB145_65:
	v_add_u32_e32 v29, v28, v10
	v_mov_b32_e32 v30, 0
	v_lshlrev_b64 v[29:30], 1, v[29:30]
	s_waitcnt lgkmcnt(0)
	v_mov_b32_e32 v27, s13
	v_add_co_u32_e64 v29, s[6:7], s12, v29
	v_addc_co_u32_e64 v30, s[6:7], v27, v30, s[6:7]
	global_store_short v[29:30], v26, off
	s_or_b64 exec, exec, s[14:15]
	s_and_saveexec_b64 s[14:15], s[2:3]
	s_cbranch_execz .LBB145_28
.LBB145_66:
	v_add_u32_e32 v26, v28, v11
	v_mov_b32_e32 v27, 0
	v_lshlrev_b64 v[26:27], 1, v[26:27]
	s_waitcnt lgkmcnt(0)
	v_mov_b32_e32 v29, s13
	v_add_co_u32_e64 v26, s[6:7], s12, v26
	v_addc_co_u32_e64 v27, s[6:7], v29, v27, s[6:7]
	global_store_short v[26:27], v25, off
	s_or_b64 exec, exec, s[14:15]
	s_and_saveexec_b64 s[14:15], s[4:5]
	s_cbranch_execnz .LBB145_29
	s_branch .LBB145_30
.LBB145_67:
	v_add_u32_e32 v25, v24, v0
	v_mov_b32_e32 v26, 0
	v_lshlrev_b64 v[25:26], 1, v[25:26]
	s_waitcnt lgkmcnt(0)
	v_mov_b32_e32 v27, s13
	v_add_co_u32_e64 v25, s[6:7], s12, v25
	v_addc_co_u32_e64 v26, s[6:7], v27, v26, s[6:7]
	global_store_short v[25:26], v23, off
	s_or_b64 exec, exec, s[14:15]
	s_and_saveexec_b64 s[14:15], s[0:1]
	s_cbranch_execz .LBB145_33
.LBB145_68:
	v_add_u32_e32 v25, v24, v10
	v_mov_b32_e32 v26, 0
	v_lshlrev_b64 v[25:26], 1, v[25:26]
	s_waitcnt lgkmcnt(0)
	v_mov_b32_e32 v23, s13
	v_add_co_u32_e64 v25, s[6:7], s12, v25
	v_addc_co_u32_e64 v26, s[6:7], v23, v26, s[6:7]
	global_store_short v[25:26], v22, off
	s_or_b64 exec, exec, s[14:15]
	s_and_saveexec_b64 s[14:15], s[2:3]
	s_cbranch_execz .LBB145_34
.LBB145_69:
	v_add_u32_e32 v22, v24, v11
	v_mov_b32_e32 v23, 0
	v_lshlrev_b64 v[22:23], 1, v[22:23]
	s_waitcnt lgkmcnt(0)
	v_mov_b32_e32 v25, s13
	v_add_co_u32_e64 v22, s[6:7], s12, v22
	v_addc_co_u32_e64 v23, s[6:7], v25, v23, s[6:7]
	global_store_short v[22:23], v21, off
	s_or_b64 exec, exec, s[14:15]
	s_and_saveexec_b64 s[14:15], s[4:5]
	s_cbranch_execnz .LBB145_35
	s_branch .LBB145_36
.LBB145_70:
	v_add_u32_e32 v21, v20, v0
	v_mov_b32_e32 v22, 0
	v_lshlrev_b64 v[21:22], 1, v[21:22]
	s_waitcnt lgkmcnt(0)
	v_mov_b32_e32 v23, s13
	v_add_co_u32_e64 v21, s[6:7], s12, v21
	v_addc_co_u32_e64 v22, s[6:7], v23, v22, s[6:7]
	global_store_short v[21:22], v19, off
	s_or_b64 exec, exec, s[14:15]
	s_and_saveexec_b64 s[14:15], s[0:1]
	s_cbranch_execz .LBB145_39
.LBB145_71:
	v_add_u32_e32 v21, v20, v10
	v_mov_b32_e32 v22, 0
	v_lshlrev_b64 v[21:22], 1, v[21:22]
	s_waitcnt lgkmcnt(0)
	v_mov_b32_e32 v19, s13
	v_add_co_u32_e64 v21, s[6:7], s12, v21
	v_addc_co_u32_e64 v22, s[6:7], v19, v22, s[6:7]
	global_store_short v[21:22], v18, off
	s_or_b64 exec, exec, s[14:15]
	s_and_saveexec_b64 s[14:15], s[2:3]
	s_cbranch_execz .LBB145_40
.LBB145_72:
	v_add_u32_e32 v18, v20, v11
	v_mov_b32_e32 v19, 0
	v_lshlrev_b64 v[18:19], 1, v[18:19]
	s_waitcnt lgkmcnt(0)
	v_mov_b32_e32 v21, s13
	v_add_co_u32_e64 v18, s[6:7], s12, v18
	v_addc_co_u32_e64 v19, s[6:7], v21, v19, s[6:7]
	global_store_short v[18:19], v17, off
	s_or_b64 exec, exec, s[14:15]
	s_and_saveexec_b64 s[14:15], s[4:5]
	s_cbranch_execnz .LBB145_41
	s_branch .LBB145_42
.LBB145_73:
	v_add_u32_e32 v17, v16, v0
	v_mov_b32_e32 v18, 0
	v_lshlrev_b64 v[17:18], 1, v[17:18]
	s_waitcnt lgkmcnt(0)
	v_mov_b32_e32 v19, s13
	v_add_co_u32_e64 v17, s[6:7], s12, v17
	v_addc_co_u32_e64 v18, s[6:7], v19, v18, s[6:7]
	global_store_short v[17:18], v15, off
	s_or_b64 exec, exec, s[14:15]
	s_and_saveexec_b64 s[14:15], s[0:1]
	s_cbranch_execz .LBB145_45
.LBB145_74:
	v_add_u32_e32 v17, v16, v10
	v_mov_b32_e32 v18, 0
	v_lshlrev_b64 v[17:18], 1, v[17:18]
	s_waitcnt lgkmcnt(0)
	v_mov_b32_e32 v15, s13
	v_add_co_u32_e64 v17, s[6:7], s12, v17
	v_addc_co_u32_e64 v18, s[6:7], v15, v18, s[6:7]
	global_store_short v[17:18], v14, off
	s_or_b64 exec, exec, s[14:15]
	s_and_saveexec_b64 s[14:15], s[2:3]
	s_cbranch_execz .LBB145_46
.LBB145_75:
	v_add_u32_e32 v14, v16, v11
	v_mov_b32_e32 v15, 0
	v_lshlrev_b64 v[14:15], 1, v[14:15]
	s_waitcnt lgkmcnt(0)
	v_mov_b32_e32 v17, s13
	v_add_co_u32_e64 v14, s[6:7], s12, v14
	v_addc_co_u32_e64 v15, s[6:7], v17, v15, s[6:7]
	global_store_short v[14:15], v13, off
	s_or_b64 exec, exec, s[14:15]
	s_and_saveexec_b64 s[14:15], s[4:5]
	s_cbranch_execnz .LBB145_47
	s_branch .LBB145_48
.LBB145_76:
	v_add_u32_e32 v13, v9, v0
	v_mov_b32_e32 v14, 0
	v_lshlrev_b64 v[13:14], 1, v[13:14]
	s_waitcnt lgkmcnt(0)
	v_mov_b32_e32 v15, s13
	v_add_co_u32_e64 v13, s[6:7], s12, v13
	v_addc_co_u32_e64 v14, s[6:7], v15, v14, s[6:7]
	global_store_short v[13:14], v8, off
	s_or_b64 exec, exec, s[14:15]
	s_and_saveexec_b64 s[14:15], s[0:1]
	s_cbranch_execz .LBB145_51
.LBB145_77:
	v_add_u32_e32 v13, v9, v10
	v_mov_b32_e32 v14, 0
	v_lshlrev_b64 v[13:14], 1, v[13:14]
	s_waitcnt lgkmcnt(0)
	v_mov_b32_e32 v8, s13
	v_add_co_u32_e64 v13, s[6:7], s12, v13
	v_addc_co_u32_e64 v14, s[6:7], v8, v14, s[6:7]
	global_store_short v[13:14], v7, off
	s_or_b64 exec, exec, s[14:15]
	s_and_saveexec_b64 s[14:15], s[2:3]
	s_cbranch_execz .LBB145_52
.LBB145_78:
	v_add_u32_e32 v7, v9, v11
	v_mov_b32_e32 v8, 0
	v_lshlrev_b64 v[7:8], 1, v[7:8]
	s_waitcnt lgkmcnt(0)
	v_mov_b32_e32 v13, s13
	v_add_co_u32_e64 v7, s[6:7], s12, v7
	v_addc_co_u32_e64 v8, s[6:7], v13, v8, s[6:7]
	global_store_short v[7:8], v6, off
	s_or_b64 exec, exec, s[14:15]
	s_and_saveexec_b64 s[14:15], s[4:5]
	s_cbranch_execnz .LBB145_53
	s_branch .LBB145_54
.LBB145_79:
	v_add_u32_e32 v6, v5, v0
	v_mov_b32_e32 v7, 0
	v_lshlrev_b64 v[6:7], 1, v[6:7]
	s_waitcnt lgkmcnt(0)
	v_mov_b32_e32 v0, s13
	v_add_co_u32_e32 v6, vcc, s12, v6
	v_addc_co_u32_e32 v7, vcc, v0, v7, vcc
	global_store_short v[6:7], v4, off
	s_or_b64 exec, exec, s[6:7]
	s_and_saveexec_b64 s[6:7], s[0:1]
	s_cbranch_execz .LBB145_57
.LBB145_80:
	v_add_u32_e32 v6, v5, v10
	v_mov_b32_e32 v7, 0
	v_lshlrev_b64 v[6:7], 1, v[6:7]
	s_waitcnt lgkmcnt(0)
	v_mov_b32_e32 v0, s13
	v_add_co_u32_e32 v6, vcc, s12, v6
	v_addc_co_u32_e32 v7, vcc, v0, v7, vcc
	global_store_short v[6:7], v3, off
	s_or_b64 exec, exec, s[6:7]
	s_and_saveexec_b64 s[0:1], s[2:3]
	s_cbranch_execz .LBB145_58
.LBB145_81:
	v_add_u32_e32 v3, v5, v11
	v_mov_b32_e32 v4, 0
	v_lshlrev_b64 v[3:4], 1, v[3:4]
	s_waitcnt lgkmcnt(0)
	v_mov_b32_e32 v0, s13
	v_add_co_u32_e32 v3, vcc, s12, v3
	v_addc_co_u32_e32 v4, vcc, v0, v4, vcc
	global_store_short v[3:4], v2, off
	s_or_b64 exec, exec, s[0:1]
	s_and_b64 exec, exec, s[4:5]
	s_cbranch_execnz .LBB145_59
	s_branch .LBB145_60
	.section	.rodata,"a",@progbits
	.p2align	6, 0x0
	.amdhsa_kernel _ZL12mul_mat_q8_0IN3c104HalfELb0EEvPKvS3_PT_iiiii
		.amdhsa_group_segment_fixed_size 28224
		.amdhsa_private_segment_fixed_size 52
		.amdhsa_kernarg_size 44
		.amdhsa_user_sgpr_count 6
		.amdhsa_user_sgpr_private_segment_buffer 1
		.amdhsa_user_sgpr_dispatch_ptr 0
		.amdhsa_user_sgpr_queue_ptr 0
		.amdhsa_user_sgpr_kernarg_segment_ptr 1
		.amdhsa_user_sgpr_dispatch_id 0
		.amdhsa_user_sgpr_flat_scratch_init 0
		.amdhsa_user_sgpr_private_segment_size 0
		.amdhsa_uses_dynamic_stack 0
		.amdhsa_system_sgpr_private_segment_wavefront_offset 1
		.amdhsa_system_sgpr_workgroup_id_x 1
		.amdhsa_system_sgpr_workgroup_id_y 1
		.amdhsa_system_sgpr_workgroup_id_z 0
		.amdhsa_system_sgpr_workgroup_info 0
		.amdhsa_system_vgpr_workitem_id 1
		.amdhsa_next_free_vgpr 128
		.amdhsa_next_free_sgpr 98
		.amdhsa_reserve_vcc 1
		.amdhsa_reserve_flat_scratch 0
		.amdhsa_float_round_mode_32 0
		.amdhsa_float_round_mode_16_64 0
		.amdhsa_float_denorm_mode_32 3
		.amdhsa_float_denorm_mode_16_64 3
		.amdhsa_dx10_clamp 1
		.amdhsa_ieee_mode 1
		.amdhsa_fp16_overflow 0
		.amdhsa_exception_fp_ieee_invalid_op 0
		.amdhsa_exception_fp_denorm_src 0
		.amdhsa_exception_fp_ieee_div_zero 0
		.amdhsa_exception_fp_ieee_overflow 0
		.amdhsa_exception_fp_ieee_underflow 0
		.amdhsa_exception_fp_ieee_inexact 0
		.amdhsa_exception_int_div_zero 0
	.end_amdhsa_kernel
	.section	.text._ZL12mul_mat_q8_0IN3c104HalfELb0EEvPKvS3_PT_iiiii,"axG",@progbits,_ZL12mul_mat_q8_0IN3c104HalfELb0EEvPKvS3_PT_iiiii,comdat
.Lfunc_end145:
	.size	_ZL12mul_mat_q8_0IN3c104HalfELb0EEvPKvS3_PT_iiiii, .Lfunc_end145-_ZL12mul_mat_q8_0IN3c104HalfELb0EEvPKvS3_PT_iiiii
                                        ; -- End function
	.set _ZL12mul_mat_q8_0IN3c104HalfELb0EEvPKvS3_PT_iiiii.num_vgpr, 128
	.set _ZL12mul_mat_q8_0IN3c104HalfELb0EEvPKvS3_PT_iiiii.num_agpr, 0
	.set _ZL12mul_mat_q8_0IN3c104HalfELb0EEvPKvS3_PT_iiiii.numbered_sgpr, 20
	.set _ZL12mul_mat_q8_0IN3c104HalfELb0EEvPKvS3_PT_iiiii.num_named_barrier, 0
	.set _ZL12mul_mat_q8_0IN3c104HalfELb0EEvPKvS3_PT_iiiii.private_seg_size, 52
	.set _ZL12mul_mat_q8_0IN3c104HalfELb0EEvPKvS3_PT_iiiii.uses_vcc, 1
	.set _ZL12mul_mat_q8_0IN3c104HalfELb0EEvPKvS3_PT_iiiii.uses_flat_scratch, 0
	.set _ZL12mul_mat_q8_0IN3c104HalfELb0EEvPKvS3_PT_iiiii.has_dyn_sized_stack, 0
	.set _ZL12mul_mat_q8_0IN3c104HalfELb0EEvPKvS3_PT_iiiii.has_recursion, 0
	.set _ZL12mul_mat_q8_0IN3c104HalfELb0EEvPKvS3_PT_iiiii.has_indirect_call, 0
	.section	.AMDGPU.csdata,"",@progbits
; Kernel info:
; codeLenInByte = 8104
; TotalNumSgprs: 24
; NumVgprs: 128
; ScratchSize: 52
; MemoryBound: 0
; FloatMode: 240
; IeeeMode: 1
; LDSByteSize: 28224 bytes/workgroup (compile time only)
; SGPRBlocks: 12
; VGPRBlocks: 31
; NumSGPRsForWavesPerEU: 102
; NumVGPRsForWavesPerEU: 128
; Occupancy: 2
; WaveLimiterHint : 0
; COMPUTE_PGM_RSRC2:SCRATCH_EN: 1
; COMPUTE_PGM_RSRC2:USER_SGPR: 6
; COMPUTE_PGM_RSRC2:TRAP_HANDLER: 0
; COMPUTE_PGM_RSRC2:TGID_X_EN: 1
; COMPUTE_PGM_RSRC2:TGID_Y_EN: 1
; COMPUTE_PGM_RSRC2:TGID_Z_EN: 0
; COMPUTE_PGM_RSRC2:TIDIG_COMP_CNT: 1
	.section	.text._ZL12mul_mat_q8_0IN3c104HalfELb1EEvPKvS3_PT_iiiii,"axG",@progbits,_ZL12mul_mat_q8_0IN3c104HalfELb1EEvPKvS3_PT_iiiii,comdat
	.globl	_ZL12mul_mat_q8_0IN3c104HalfELb1EEvPKvS3_PT_iiiii ; -- Begin function _ZL12mul_mat_q8_0IN3c104HalfELb1EEvPKvS3_PT_iiiii
	.p2align	8
	.type	_ZL12mul_mat_q8_0IN3c104HalfELb1EEvPKvS3_PT_iiiii,@function
_ZL12mul_mat_q8_0IN3c104HalfELb1EEvPKvS3_PT_iiiii: ; @_ZL12mul_mat_q8_0IN3c104HalfELb1EEvPKvS3_PT_iiiii
; %bb.0:
	s_mov_b64 s[22:23], s[2:3]
	s_mov_b64 s[20:21], s[0:1]
	s_add_u32 s20, s20, s8
	s_load_dwordx4 s[8:11], s[4:5], 0x18
	s_load_dword s14, s[4:5], 0x28
	s_addc_u32 s21, s21, 0
	v_mov_b32_e32 v37, v1
	s_lshl_b32 s15, s7, 6
	s_waitcnt lgkmcnt(0)
	s_cmp_gt_i32 s8, 31
	v_add_u32_e32 v38, s15, v37
	s_cbranch_scc1 .LBB146_2
; %bb.1:
	v_add_u32_e32 v10, s15, v37
	s_mov_b64 s[0:1], 0
	s_branch .LBB146_3
.LBB146_2:
	s_mov_b64 s[0:1], -1
                                        ; implicit-def: $vgpr10
.LBB146_3:
	s_load_dwordx2 s[12:13], s[4:5], 0x10
	s_lshl_b32 s6, s6, 7
	v_mov_b32_e32 v1, 0
	s_andn2_b64 vcc, exec, s[0:1]
	v_mov_b32_e32 v5, 0
	v_mov_b32_e32 v9, 0
	v_mov_b32_e32 v16, 0
	v_mov_b32_e32 v20, 0
	v_mov_b32_e32 v24, 0
	v_mov_b32_e32 v29, 0
	v_mov_b32_e32 v33, 0
	v_mov_b32_e32 v2, 0
	v_mov_b32_e32 v6, 0
	v_mov_b32_e32 v13, 0
	v_mov_b32_e32 v17, 0
	v_mov_b32_e32 v21, 0
	v_mov_b32_e32 v25, 0
	v_mov_b32_e32 v30, 0
	v_mov_b32_e32 v34, 0
	v_mov_b32_e32 v3, 0
	v_mov_b32_e32 v7, 0
	v_mov_b32_e32 v14, 0
	v_mov_b32_e32 v18, 0
	v_mov_b32_e32 v22, 0
	v_mov_b32_e32 v27, 0
	v_mov_b32_e32 v31, 0
	v_mov_b32_e32 v35, 0
	v_mov_b32_e32 v4, 0
	v_mov_b32_e32 v8, 0
	v_mov_b32_e32 v15, 0
	v_mov_b32_e32 v19, 0
	v_mov_b32_e32 v23, 0
	v_mov_b32_e32 v28, 0
	v_mov_b32_e32 v32, 0
	v_mov_b32_e32 v36, 0
	s_cbranch_vccnz .LBB146_9
; %bb.4:
	s_load_dwordx4 s[0:3], s[4:5], 0x0
	s_ashr_i32 s4, s8, 31
	s_lshr_b32 s4, s4, 27
	s_ashr_i32 s5, s11, 31
	s_add_i32 s4, s8, s4
	s_lshr_b32 s5, s5, 27
	s_ashr_i32 s4, s4, 5
	s_add_i32 s5, s11, s5
	s_ashr_i32 s8, s5, 5
	s_mul_i32 s5, s4, s6
	s_mul_hi_i32 s7, s5, 34
	s_mul_i32 s5, s5, 34
	s_waitcnt lgkmcnt(0)
	s_add_u32 s5, s0, s5
	s_addc_u32 s7, s1, s7
	s_not_b32 s0, s6
	s_add_i32 s9, s9, s0
	v_min_i32_e32 v2, s9, v37
	v_mul_lo_u32 v3, v2, s4
	v_lshlrev_b32_e32 v1, 2, v0
	s_movk_i32 s11, 0x84
	v_add_u32_e32 v9, 8, v37
	buffer_store_dword v3, off, s[20:23], 0 ; 4-byte Folded Spill
	v_mad_u64_u32 v[2:3], s[0:1], v2, s11, v[1:2]
	buffer_store_dword v2, off, s[20:23], 0 offset:4 ; 4-byte Folded Spill
	s_nop 0
	buffer_store_dword v3, off, s[20:23], 0 offset:8 ; 4-byte Folded Spill
	v_min_i32_e32 v2, s9, v9
	v_mul_lo_u32 v3, v2, s4
	v_add_u32_e32 v10, 16, v37
	v_add_u32_e32 v13, 24, v37
	;; [unrolled: 1-line block ×3, first 2 shown]
	buffer_store_dword v3, off, s[20:23], 0 offset:12 ; 4-byte Folded Spill
	v_mad_u64_u32 v[2:3], s[0:1], v2, s11, v[1:2]
	buffer_store_dword v2, off, s[20:23], 0 offset:16 ; 4-byte Folded Spill
	s_nop 0
	buffer_store_dword v3, off, s[20:23], 0 offset:20 ; 4-byte Folded Spill
	v_min_i32_e32 v2, s9, v10
	v_mul_lo_u32 v3, v2, s4
	v_add_u32_e32 v15, 40, v37
	v_add_u32_e32 v16, 48, v37
	;; [unrolled: 1-line block ×3, first 2 shown]
	buffer_store_dword v3, off, s[20:23], 0 offset:24 ; 4-byte Folded Spill
	v_mad_u64_u32 v[2:3], s[0:1], v2, s11, v[1:2]
	buffer_store_dword v2, off, s[20:23], 0 offset:28 ; 4-byte Folded Spill
	s_nop 0
	buffer_store_dword v3, off, s[20:23], 0 offset:32 ; 4-byte Folded Spill
	v_min_i32_e32 v2, s9, v13
	v_mul_lo_u32 v3, v2, s4
	v_and_b32_e32 v67, 28, v1
	v_and_b32_e32 v23, 3, v0
	v_lshlrev_b32_e32 v11, 2, v23
	buffer_store_dword v3, off, s[20:23], 0 offset:36 ; 4-byte Folded Spill
	v_mad_u64_u32 v[2:3], s[0:1], v2, s11, v[1:2]
	buffer_store_dword v2, off, s[20:23], 0 offset:40 ; 4-byte Folded Spill
	s_nop 0
	buffer_store_dword v3, off, s[20:23], 0 offset:44 ; 4-byte Folded Spill
	v_min_i32_e32 v2, s9, v14
	v_mul_lo_u32 v3, v2, s4
	v_and_b32_e32 v6, 31, v0
	v_mov_b32_e32 v7, 0x4200
	v_lshl_or_b32 v86, v6, 2, v7
	buffer_store_dword v3, off, s[20:23], 0 offset:48 ; 4-byte Folded Spill
	v_mad_u64_u32 v[2:3], s[0:1], v2, s11, v[1:2]
	buffer_store_dword v2, off, s[20:23], 0 offset:52 ; 4-byte Folded Spill
	s_nop 0
	buffer_store_dword v3, off, s[20:23], 0 offset:56 ; 4-byte Folded Spill
	v_min_i32_e32 v2, s9, v15
	v_mul_lo_u32 v3, v2, s4
	v_add_u32_e32 v7, 16, v38
	v_cvt_f64_u32_e32 v[7:8], v7
	v_mov_b32_e32 v79, v23
	buffer_store_dword v3, off, s[20:23], 0 offset:60 ; 4-byte Folded Spill
	v_mad_u64_u32 v[2:3], s[0:1], v2, s11, v[1:2]
	buffer_store_dword v2, off, s[20:23], 0 offset:64 ; 4-byte Folded Spill
	s_nop 0
	buffer_store_dword v3, off, s[20:23], 0 offset:68 ; 4-byte Folded Spill
	v_min_i32_e32 v2, s9, v16
	v_mul_lo_u32 v3, v2, s4
	v_lshrrev_b32_e32 v30, 3, v0
	v_mov_b32_e32 v65, 0
	v_lshlrev_b32_e32 v89, 7, v37
	buffer_store_dword v3, off, s[20:23], 0 offset:72 ; 4-byte Folded Spill
	v_mad_u64_u32 v[2:3], s[0:1], v2, s11, v[1:2]
	buffer_store_dword v2, off, s[20:23], 0 offset:76 ; 4-byte Folded Spill
	s_nop 0
	buffer_store_dword v3, off, s[20:23], 0 offset:80 ; 4-byte Folded Spill
	v_min_i32_e32 v2, s9, v17
	v_mul_lo_u32 v3, v2, s4
	v_mov_b32_e32 v119, 0
	v_mov_b32_e32 v113, 0
	v_mov_b32_e32 v108, 0
	buffer_store_dword v3, off, s[20:23], 0 offset:84 ; 4-byte Folded Spill
	v_mad_u64_u32 v[2:3], s[0:1], v2, s11, v[1:2]
	buffer_store_dword v2, off, s[20:23], 0 offset:88 ; 4-byte Folded Spill
	s_nop 0
	buffer_store_dword v3, off, s[20:23], 0 offset:92 ; 4-byte Folded Spill
	v_add_u32_e32 v2, 64, v37
	v_min_i32_e32 v2, s9, v2
	v_mul_lo_u32 v3, v2, s4
	v_mov_b32_e32 v105, 0
	v_mov_b32_e32 v101, 0
	v_mov_b32_e32 v100, 0
	buffer_store_dword v3, off, s[20:23], 0 offset:96 ; 4-byte Folded Spill
	v_mad_u64_u32 v[2:3], s[0:1], v2, s11, v[1:2]
	buffer_store_dword v2, off, s[20:23], 0 offset:100 ; 4-byte Folded Spill
	s_nop 0
	buffer_store_dword v3, off, s[20:23], 0 offset:104 ; 4-byte Folded Spill
	v_add_u32_e32 v2, 0x48, v37
	;; [unrolled: 11-line block ×5, first 2 shown]
	v_min_i32_e32 v2, s9, v2
	v_mul_lo_u32 v3, v2, s4
	v_mad_u64_u32 v[80:81], s[0:1], v2, s11, v[1:2]
	v_add_u32_e32 v2, 0x68, v37
	v_min_i32_e32 v2, s9, v2
	buffer_store_dword v3, off, s[20:23], 0 offset:144 ; 4-byte Folded Spill
	v_mul_lo_u32 v3, v2, s4
	v_mov_b32_e32 v81, v30
	v_mov_b32_e32 v70, 0
	;; [unrolled: 1-line block ×3, first 2 shown]
	buffer_store_dword v3, off, s[20:23], 0 offset:148 ; 4-byte Folded Spill
	v_mad_u64_u32 v[2:3], s[0:1], v2, s11, v[1:2]
	buffer_store_dword v2, off, s[20:23], 0 offset:152 ; 4-byte Folded Spill
	s_nop 0
	buffer_store_dword v3, off, s[20:23], 0 offset:156 ; 4-byte Folded Spill
	v_add_u32_e32 v2, 0x70, v37
	v_min_i32_e32 v2, s9, v2
	v_mul_lo_u32 v82, v2, s4
	v_mad_u64_u32 v[24:25], s[0:1], v2, s11, v[1:2]
	v_add_u32_e32 v2, 0x78, v37
	v_min_i32_e32 v2, s9, v2
	v_mad_u64_u32 v[25:26], s[0:1], v2, s11, v[1:2]
	v_lshrrev_b32_e32 v1, 2, v0
	v_lshl_add_u32 v5, v37, 3, v1
	v_min_i32_e32 v1, s9, v5
	v_mul_lo_u32 v83, v2, s4
	v_ashrrev_i32_e32 v2, 31, v1
	v_lshrrev_b32_e32 v2, 29, v2
	v_add_u32_e32 v2, v1, v2
	v_mul_lo_u32 v84, v1, s4
	v_ashrrev_i32_e32 v2, 3, v2
	v_lshlrev_b32_e32 v19, 4, v1
	v_add_u32_e32 v1, 64, v5
	v_lshlrev_b32_e32 v2, 2, v2
	s_movk_i32 s11, 0x6200
	v_min_i32_e32 v1, s9, v1
	v_add3_u32 v18, v2, v11, s11
	v_ashrrev_i32_e32 v2, 31, v1
	v_lshrrev_b32_e32 v2, 29, v2
	v_add_u32_e32 v2, v1, v2
	v_ashrrev_i32_e32 v2, 3, v2
	v_lshlrev_b32_e32 v2, 2, v2
	s_add_i32 s0, s10, -1
	v_mul_lo_u32 v85, v1, s4
	v_add3_u32 v20, v2, v11, s11
	v_lshlrev_b32_e32 v21, 4, v1
	v_cvt_f64_i32_e32 v[1:2], s0
	v_cvt_f64_u32_e32 v[3:4], v38
	v_and_b32_e32 v12, 63, v5
	v_add_u32_e32 v5, 8, v38
	v_cvt_f64_u32_e32 v[5:6], v5
	v_min_f64 v[3:4], v[3:4], v[1:2]
	v_min_f64 v[7:8], v[7:8], v[1:2]
	v_or_b32_e32 v22, s15, v12
	v_min_f64 v[5:6], v[5:6], v[1:2]
	v_min_i32_e32 v22, s0, v22
	v_mad_u64_u32 v[27:28], s[0:1], v22, s8, v[23:24]
	v_lshlrev_b32_e32 v22, 7, v9
	v_cvt_i32_f64_e32 v3, v[3:4]
	v_lshl_or_b32 v4, v12, 4, v11
	v_add_u32_e32 v87, 0x6a40, v4
	v_cvt_i32_f64_e32 v4, v[5:6]
	v_mul_lo_u32 v88, s8, v3
	v_cvt_i32_f64_e32 v3, v[7:8]
	v_add_u32_e32 v7, 40, v38
	v_mul_lo_u32 v90, s8, v4
	v_cvt_f64_u32_e32 v[7:8], v7
	v_mul_lo_u32 v91, s8, v3
	v_add_u32_e32 v3, 24, v38
	v_cvt_f64_u32_e32 v[3:4], v3
	v_add_u32_e32 v5, 32, v38
	v_add_u32_e32 v9, 48, v38
	;; [unrolled: 1-line block ×3, first 2 shown]
	v_min_f64 v[3:4], v[3:4], v[1:2]
	v_cvt_f64_u32_e32 v[5:6], v5
	v_lshlrev_b32_e32 v23, 7, v10
	v_cvt_f64_u32_e32 v[9:10], v9
	v_cvt_f64_u32_e32 v[11:12], v11
	v_min_f64 v[7:8], v[7:8], v[1:2]
	v_min_f64 v[5:6], v[5:6], v[1:2]
	v_add_co_u32_e32 v28, vcc, s2, v67
	v_cvt_i32_f64_e32 v26, v[3:4]
	v_min_f64 v[3:4], v[9:10], v[1:2]
	v_min_f64 v[1:2], v[11:12], v[1:2]
	v_mov_b32_e32 v9, s3
	v_cvt_i32_f64_e32 v7, v[7:8]
	v_cvt_i32_f64_e32 v5, v[5:6]
	v_add_u32_e32 v8, 0x60, v0
	v_lshrrev_b32_e32 v8, 1, v8
	v_mul_lo_u32 v94, s8, v7
	v_cvt_i32_f64_e32 v3, v[3:4]
	v_cvt_i32_f64_e32 v1, v[1:2]
	v_add_u32_e32 v7, 64, v0
	v_add_u32_e32 v4, 32, v0
	v_addc_co_u32_e32 v29, vcc, 0, v9, vcc
	v_lshlrev_b32_e32 v9, 4, v0
	v_and_b32_e32 v8, 0xfc, v8
	s_movk_i32 s0, 0x6800
	v_lshrrev_b32_e32 v7, 1, v7
	v_mul_lo_u32 v96, s8, v1
	v_lshlrev_b32_e32 v1, 7, v17
	v_add3_u32 v17, v9, v8, s0
	v_and_b32_e32 v7, 0xfc, v7
	s_movk_i32 s0, 0x6600
	v_lshrrev_b32_e32 v4, 1, v4
	v_mul_lo_u32 v92, s8, v26
	v_mul_lo_u32 v93, s8, v5
	;; [unrolled: 1-line block ×3, first 2 shown]
	v_add3_u32 v75, v9, v7, s0
	v_and_b32_e32 v4, 0xfc, v4
	s_movk_i32 s0, 0x6400
	v_lshlrev_b32_e32 v3, 7, v16
	v_add3_u32 v16, v9, v4, s0
	v_lshlrev_b32_e32 v4, 2, v30
	v_lshlrev_b32_e32 v6, 7, v13
	;; [unrolled: 1-line block ×4, first 2 shown]
	v_add3_u32 v74, v9, v4, s11
	v_mov_b32_e32 v4, 0x6a40
	v_lshl_add_u32 v15, v37, 4, v4
	s_mov_b32 s8, 0
	v_add_u32_e32 v110, v18, v19
	v_add_u32_e32 v112, v20, v21
	;; [unrolled: 1-line block ×9, first 2 shown]
	v_mov_b32_e32 v10, 0
	v_mov_b32_e32 v1, 0
	;; [unrolled: 1-line block ×14, first 2 shown]
	buffer_store_dword v38, off, s[20:23], 0 offset:160 ; 4-byte Folded Spill
	buffer_store_dword v37, off, s[20:23], 0 offset:164 ; 4-byte Folded Spill
.LBB146_5:                              ; =>This Loop Header: Depth=1
                                        ;     Child Loop BB146_6 Depth 2
	buffer_load_dword v4, off, s[20:23], 0  ; 4-byte Folded Reload
	s_mul_i32 s0, s8, 34
	s_mul_hi_u32 s1, s8, 34
	s_add_u32 s0, s5, s0
	s_addc_u32 s1, s7, s1
	v_mov_b32_e32 v6, v81
	v_mad_u64_u32 v[2:3], s[16:17], v6, 34, s[0:1]
	v_add_u32_e32 v73, 0x4200, v89
	v_mov_b32_e32 v107, v15
	v_mov_b32_e32 v104, v74
	;; [unrolled: 1-line block ×5, first 2 shown]
	v_mul_u32_u24_e32 v76, 0x84, v0
	s_waitcnt vmcnt(0)
	v_mad_i64_i32 v[4:5], s[16:17], v4, 34, v[2:3]
	v_add_co_u32_e32 v4, vcc, v4, v67
	v_addc_co_u32_e32 v5, vcc, 0, v5, vcc
	global_load_dword v4, v[4:5], off offset:2
	s_nop 0
	buffer_load_dword v7, off, s[20:23], 0 offset:4 ; 4-byte Folded Reload
	buffer_load_dword v8, off, s[20:23], 0 offset:8 ; 4-byte Folded Reload
	s_waitcnt vmcnt(1)
	ds_write_b32 v7, v4
	buffer_load_dword v4, off, s[20:23], 0 offset:12 ; 4-byte Folded Reload
	s_waitcnt vmcnt(0)
	v_mad_i64_i32 v[4:5], s[16:17], v4, 34, v[2:3]
	v_add_co_u32_e32 v4, vcc, v4, v67
	v_addc_co_u32_e32 v5, vcc, 0, v5, vcc
	global_load_dword v4, v[4:5], off offset:2
	s_nop 0
	buffer_load_dword v7, off, s[20:23], 0 offset:16 ; 4-byte Folded Reload
	buffer_load_dword v8, off, s[20:23], 0 offset:20 ; 4-byte Folded Reload
	s_waitcnt vmcnt(1)
	ds_write_b32 v7, v4
	buffer_load_dword v4, off, s[20:23], 0 offset:24 ; 4-byte Folded Reload
	s_waitcnt vmcnt(0)
	v_mad_i64_i32 v[4:5], s[16:17], v4, 34, v[2:3]
	v_add_co_u32_e32 v4, vcc, v4, v67
	v_addc_co_u32_e32 v5, vcc, 0, v5, vcc
	global_load_dword v4, v[4:5], off offset:2
	s_nop 0
	buffer_load_dword v7, off, s[20:23], 0 offset:28 ; 4-byte Folded Reload
	buffer_load_dword v8, off, s[20:23], 0 offset:32 ; 4-byte Folded Reload
	s_waitcnt vmcnt(1)
	ds_write_b32 v7, v4
	buffer_load_dword v4, off, s[20:23], 0 offset:36 ; 4-byte Folded Reload
	s_waitcnt vmcnt(0)
	v_mad_i64_i32 v[4:5], s[16:17], v4, 34, v[2:3]
	v_add_co_u32_e32 v4, vcc, v4, v67
	v_addc_co_u32_e32 v5, vcc, 0, v5, vcc
	global_load_dword v4, v[4:5], off offset:2
	s_nop 0
	buffer_load_dword v7, off, s[20:23], 0 offset:40 ; 4-byte Folded Reload
	buffer_load_dword v8, off, s[20:23], 0 offset:44 ; 4-byte Folded Reload
	s_waitcnt vmcnt(1)
	ds_write_b32 v7, v4
	buffer_load_dword v4, off, s[20:23], 0 offset:48 ; 4-byte Folded Reload
	s_waitcnt vmcnt(0)
	v_mad_i64_i32 v[4:5], s[16:17], v4, 34, v[2:3]
	v_add_co_u32_e32 v4, vcc, v4, v67
	v_addc_co_u32_e32 v5, vcc, 0, v5, vcc
	global_load_dword v4, v[4:5], off offset:2
	s_nop 0
	buffer_load_dword v7, off, s[20:23], 0 offset:52 ; 4-byte Folded Reload
	buffer_load_dword v8, off, s[20:23], 0 offset:56 ; 4-byte Folded Reload
	s_waitcnt vmcnt(1)
	ds_write_b32 v7, v4
	buffer_load_dword v4, off, s[20:23], 0 offset:60 ; 4-byte Folded Reload
	s_waitcnt vmcnt(0)
	v_mad_i64_i32 v[4:5], s[16:17], v4, 34, v[2:3]
	v_add_co_u32_e32 v4, vcc, v4, v67
	v_addc_co_u32_e32 v5, vcc, 0, v5, vcc
	global_load_dword v4, v[4:5], off offset:2
	s_nop 0
	buffer_load_dword v7, off, s[20:23], 0 offset:64 ; 4-byte Folded Reload
	buffer_load_dword v8, off, s[20:23], 0 offset:68 ; 4-byte Folded Reload
	s_waitcnt vmcnt(1)
	ds_write_b32 v7, v4
	buffer_load_dword v4, off, s[20:23], 0 offset:72 ; 4-byte Folded Reload
	s_waitcnt vmcnt(0)
	v_mad_i64_i32 v[4:5], s[16:17], v4, 34, v[2:3]
	v_add_co_u32_e32 v4, vcc, v4, v67
	v_addc_co_u32_e32 v5, vcc, 0, v5, vcc
	global_load_dword v4, v[4:5], off offset:2
	s_nop 0
	buffer_load_dword v7, off, s[20:23], 0 offset:76 ; 4-byte Folded Reload
	buffer_load_dword v8, off, s[20:23], 0 offset:80 ; 4-byte Folded Reload
	s_waitcnt vmcnt(1)
	ds_write_b32 v7, v4
	buffer_load_dword v4, off, s[20:23], 0 offset:84 ; 4-byte Folded Reload
	s_waitcnt vmcnt(0)
	v_mad_i64_i32 v[4:5], s[16:17], v4, 34, v[2:3]
	v_add_co_u32_e32 v4, vcc, v4, v67
	v_addc_co_u32_e32 v5, vcc, 0, v5, vcc
	global_load_dword v4, v[4:5], off offset:2
	s_nop 0
	buffer_load_dword v7, off, s[20:23], 0 offset:88 ; 4-byte Folded Reload
	buffer_load_dword v8, off, s[20:23], 0 offset:92 ; 4-byte Folded Reload
	s_waitcnt vmcnt(1)
	ds_write_b32 v7, v4
	buffer_load_dword v4, off, s[20:23], 0 offset:96 ; 4-byte Folded Reload
	s_waitcnt vmcnt(0)
	v_mad_i64_i32 v[4:5], s[16:17], v4, 34, v[2:3]
	v_add_co_u32_e32 v4, vcc, v4, v67
	v_addc_co_u32_e32 v5, vcc, 0, v5, vcc
	global_load_dword v4, v[4:5], off offset:2
	s_nop 0
	buffer_load_dword v7, off, s[20:23], 0 offset:100 ; 4-byte Folded Reload
	buffer_load_dword v8, off, s[20:23], 0 offset:104 ; 4-byte Folded Reload
	s_waitcnt vmcnt(1)
	ds_write_b32 v7, v4
	buffer_load_dword v4, off, s[20:23], 0 offset:108 ; 4-byte Folded Reload
	s_waitcnt vmcnt(0)
	v_mad_i64_i32 v[4:5], s[16:17], v4, 34, v[2:3]
	v_add_co_u32_e32 v4, vcc, v4, v67
	v_addc_co_u32_e32 v5, vcc, 0, v5, vcc
	global_load_dword v4, v[4:5], off offset:2
	s_nop 0
	buffer_load_dword v7, off, s[20:23], 0 offset:112 ; 4-byte Folded Reload
	buffer_load_dword v8, off, s[20:23], 0 offset:116 ; 4-byte Folded Reload
	s_waitcnt vmcnt(1)
	ds_write_b32 v7, v4
	buffer_load_dword v4, off, s[20:23], 0 offset:120 ; 4-byte Folded Reload
	s_waitcnt vmcnt(0)
	v_mad_i64_i32 v[4:5], s[16:17], v4, 34, v[2:3]
	v_add_co_u32_e32 v4, vcc, v4, v67
	v_addc_co_u32_e32 v5, vcc, 0, v5, vcc
	global_load_dword v4, v[4:5], off offset:2
	s_nop 0
	buffer_load_dword v7, off, s[20:23], 0 offset:124 ; 4-byte Folded Reload
	buffer_load_dword v8, off, s[20:23], 0 offset:128 ; 4-byte Folded Reload
	s_waitcnt vmcnt(1)
	ds_write_b32 v7, v4
	buffer_load_dword v4, off, s[20:23], 0 offset:132 ; 4-byte Folded Reload
	s_waitcnt vmcnt(0)
	v_mad_i64_i32 v[4:5], s[16:17], v4, 34, v[2:3]
	v_add_co_u32_e32 v4, vcc, v4, v67
	v_addc_co_u32_e32 v5, vcc, 0, v5, vcc
	global_load_dword v4, v[4:5], off offset:2
	s_nop 0
	buffer_load_dword v7, off, s[20:23], 0 offset:136 ; 4-byte Folded Reload
	buffer_load_dword v8, off, s[20:23], 0 offset:140 ; 4-byte Folded Reload
	s_waitcnt vmcnt(1)
	ds_write_b32 v7, v4
	buffer_load_dword v4, off, s[20:23], 0 offset:144 ; 4-byte Folded Reload
	s_waitcnt vmcnt(0)
	v_mad_i64_i32 v[4:5], s[16:17], v4, 34, v[2:3]
	v_add_co_u32_e32 v4, vcc, v4, v67
	v_addc_co_u32_e32 v5, vcc, 0, v5, vcc
	global_load_dword v4, v[4:5], off offset:2
	s_waitcnt vmcnt(0)
	ds_write_b32 v80, v4
	buffer_load_dword v4, off, s[20:23], 0 offset:148 ; 4-byte Folded Reload
	s_waitcnt vmcnt(0)
	v_mad_i64_i32 v[4:5], s[16:17], v4, 34, v[2:3]
	v_add_co_u32_e32 v4, vcc, v4, v67
	v_addc_co_u32_e32 v5, vcc, 0, v5, vcc
	global_load_dword v4, v[4:5], off offset:2
	s_nop 0
	buffer_load_dword v7, off, s[20:23], 0 offset:152 ; 4-byte Folded Reload
	buffer_load_dword v8, off, s[20:23], 0 offset:156 ; 4-byte Folded Reload
	s_waitcnt vmcnt(1)
	ds_write_b32 v7, v4
	v_mad_i64_i32 v[4:5], s[16:17], v82, 34, v[2:3]
	v_mad_i64_i32 v[2:3], s[16:17], v83, 34, v[2:3]
	v_add_co_u32_e32 v4, vcc, v4, v67
	v_addc_co_u32_e32 v5, vcc, 0, v5, vcc
	v_add_co_u32_e32 v2, vcc, v2, v67
	v_addc_co_u32_e32 v3, vcc, 0, v3, vcc
	global_load_dword v4, v[4:5], off offset:2
	s_nop 0
	global_load_dword v2, v[2:3], off offset:2
	s_waitcnt vmcnt(1)
	ds_write_b32 v24, v4
	s_waitcnt vmcnt(0)
	ds_write_b32 v25, v2
	v_mad_u64_u32 v[2:3], s[0:1], v79, 34, s[0:1]
	v_mad_i64_i32 v[4:5], s[0:1], v84, 34, v[2:3]
	v_mad_i64_i32 v[2:3], s[0:1], v85, 34, v[2:3]
	global_load_ushort v4, v[4:5], off
	s_nop 0
	global_load_ushort v2, v[2:3], off
	s_waitcnt vmcnt(1)
	v_cvt_f32_f16_e32 v4, v4
	s_waitcnt vmcnt(0)
	v_cvt_f32_f16_e32 v2, v2
	ds_write_b32 v110, v4
	v_add_u32_e32 v4, s8, v6
	ds_write_b32 v112, v2
	v_add_u32_e32 v2, s8, v27
	v_mad_u64_u32 v[2:3], s[0:1], v2, 36, s[2:3]
	global_load_dword v5, v[2:3], off
	v_add_u32_e32 v2, v4, v88
	v_mad_i64_i32 v[2:3], s[0:1], v2, 36, v[28:29]
	global_load_dword v2, v[2:3], off offset:4
	v_add_u32_e32 v3, v86, v89
	s_waitcnt vmcnt(0)
	ds_write_b32 v3, v2
	v_add_u32_e32 v2, v4, v90
	v_mad_i64_i32 v[2:3], s[0:1], v2, 36, v[28:29]
	global_load_dword v2, v[2:3], off offset:4
	s_waitcnt vmcnt(0)
	ds_write_b32 v114, v2
	v_add_u32_e32 v2, v4, v91
	v_mad_i64_i32 v[2:3], s[0:1], v2, 36, v[28:29]
	global_load_dword v2, v[2:3], off offset:4
	;; [unrolled: 5-line block ×6, first 2 shown]
	s_waitcnt vmcnt(0)
	ds_write_b32 v124, v2
	v_add_u32_e32 v2, v4, v96
	v_mad_i64_i32 v[2:3], s[0:1], v2, 36, v[28:29]
	s_mov_b32 s0, -8
	global_load_dword v2, v[2:3], off offset:4
	s_waitcnt vmcnt(0)
	ds_write_b32 v126, v2
	v_cvt_f32_f16_e32 v2, v5
	ds_write_b32 v87, v2
	s_waitcnt lgkmcnt(0)
	s_barrier
.LBB146_6:                              ;   Parent Loop BB146_5 Depth=1
                                        ; =>  This Inner Loop Header: Depth=2
	ds_read2_b32 v[62:63], v107 offset1:32
	ds_read_b128 v[6:9], v73
	ds_read_b128 v[2:5], v73 offset:16
	ds_read_b32 v77, v104
	ds_read2_b32 v[30:31], v76 offset1:1
	ds_read2_b32 v[32:33], v76 offset0:2 offset1:3
	ds_read2_b32 v[36:37], v76 offset0:4 offset1:5
	;; [unrolled: 1-line block ×3, first 2 shown]
	s_waitcnt lgkmcnt(4)
	v_mul_f32_e32 v19, v62, v77
	s_waitcnt lgkmcnt(3)
	v_dot4_i32_i8 v18, v30, v6, 0
	v_dot4_i32_i8 v18, v31, v7, v18
	s_waitcnt lgkmcnt(2)
	v_dot4_i32_i8 v18, v32, v8, v18
	v_dot4_i32_i8 v18, v33, v9, v18
	;; [unrolled: 3-line block ×4, first 2 shown]
	v_cvt_f32_i32_e32 v18, v18
	v_add_u32_e32 v20, 0x1088, v76
	v_mul_f32_e32 v21, v77, v63
	s_add_i32 s0, s0, 8
	v_fmac_f32_e32 v65, v19, v18
	v_add_u32_e32 v18, 0x1080, v76
	ds_read_b32 v19, v102
	ds_read2_b32 v[34:35], v18 offset1:1
	ds_read2_b32 v[40:41], v20 offset1:1
	v_add_u32_e32 v20, 0x1090, v76
	ds_read2_b32 v[42:43], v20 offset1:1
	v_add_u32_e32 v20, 0x1098, v76
	s_waitcnt lgkmcnt(2)
	v_dot4_i32_i8 v18, v34, v6, 0
	v_dot4_i32_i8 v18, v35, v7, v18
	ds_read2_b32 v[48:49], v20 offset1:1
	s_waitcnt lgkmcnt(2)
	v_dot4_i32_i8 v18, v40, v8, v18
	v_dot4_i32_i8 v18, v41, v9, v18
	s_waitcnt lgkmcnt(1)
	v_dot4_i32_i8 v18, v42, v2, v18
	v_dot4_i32_i8 v18, v43, v3, v18
	;; [unrolled: 3-line block ×3, first 2 shown]
	v_cvt_f32_i32_e32 v18, v18
	v_mul_f32_e32 v20, v62, v19
	v_add_u32_e32 v102, 4, v102
	v_add_u32_e32 v104, 4, v104
	v_fmac_f32_e32 v10, v20, v18
	v_add_u32_e32 v18, 0x2100, v76
	ds_read_b32 v78, v99
	ds_read2_b32 v[44:45], v18 offset1:1
	v_add_u32_e32 v20, 0x2108, v76
	ds_read2_b32 v[52:53], v20 offset1:1
	v_add_u32_e32 v20, 0x2110, v76
	ds_read2_b32 v[56:57], v20 offset1:1
	s_waitcnt lgkmcnt(2)
	v_dot4_i32_i8 v18, v44, v6, 0
	v_add_u32_e32 v20, 0x2118, v76
	v_dot4_i32_i8 v18, v45, v7, v18
	ds_read2_b32 v[60:61], v20 offset1:1
	s_waitcnt lgkmcnt(2)
	v_dot4_i32_i8 v18, v52, v8, v18
	v_dot4_i32_i8 v18, v53, v9, v18
	s_waitcnt lgkmcnt(1)
	v_dot4_i32_i8 v18, v56, v2, v18
	v_dot4_i32_i8 v18, v57, v3, v18
	;; [unrolled: 3-line block ×3, first 2 shown]
	v_cvt_f32_i32_e32 v18, v18
	v_mul_f32_e32 v20, v62, v78
	v_add_u32_e32 v99, 4, v99
	s_cmp_lt_u32 s0, 24
	v_fmac_f32_e32 v71, v20, v18
	v_add_u32_e32 v20, 0x3180, v76
	ds_read_b32 v18, v97
	ds_read2_b32 v[58:59], v20 offset1:1
	v_add_u32_e32 v97, 4, v97
	s_waitcnt lgkmcnt(0)
	v_dot4_i32_i8 v6, v58, v6, 0
	v_dot4_i32_i8 v6, v59, v7, v6
	v_add_u32_e32 v7, 0x3188, v76
	ds_read2_b32 v[46:47], v7 offset1:1
	v_add_u32_e32 v7, 0x3190, v76
	ds_read2_b32 v[50:51], v7 offset1:1
	s_waitcnt lgkmcnt(1)
	v_dot4_i32_i8 v6, v46, v8, v6
	v_dot4_i32_i8 v6, v47, v9, v6
	s_waitcnt lgkmcnt(0)
	v_dot4_i32_i8 v2, v50, v2, v6
	v_dot4_i32_i8 v2, v51, v3, v2
	v_add_u32_e32 v3, 0x3198, v76
	ds_read2_b32 v[54:55], v3 offset1:1
	v_mul_f32_e32 v3, v62, v18
	v_add_u32_e32 v76, 32, v76
	s_waitcnt lgkmcnt(0)
	v_dot4_i32_i8 v2, v54, v4, v2
	v_dot4_i32_i8 v2, v55, v5, v2
	v_cvt_f32_i32_e32 v2, v2
	v_fmac_f32_e32 v14, v3, v2
	ds_read_b128 v[2:5], v73 offset:1024
	ds_read_b128 v[6:9], v73 offset:1040
	s_waitcnt lgkmcnt(1)
	v_dot4_i32_i8 v20, v30, v2, 0
	v_dot4_i32_i8 v20, v31, v3, v20
	;; [unrolled: 1-line block ×4, first 2 shown]
	s_waitcnt lgkmcnt(0)
	v_dot4_i32_i8 v20, v36, v6, v20
	v_dot4_i32_i8 v20, v37, v7, v20
	;; [unrolled: 1-line block ×4, first 2 shown]
	v_cvt_f32_i32_e32 v20, v20
	v_fmac_f32_e32 v119, v21, v20
	v_dot4_i32_i8 v20, v34, v2, 0
	v_dot4_i32_i8 v20, v35, v3, v20
	;; [unrolled: 1-line block ×8, first 2 shown]
	v_cvt_f32_i32_e32 v20, v20
	v_mul_f32_e32 v21, v19, v63
	v_fmac_f32_e32 v66, v21, v20
	v_dot4_i32_i8 v20, v44, v2, 0
	v_dot4_i32_i8 v2, v58, v2, 0
	;; [unrolled: 1-line block ×16, first 2 shown]
	v_cvt_f32_i32_e32 v20, v20
	v_cvt_f32_i32_e32 v2, v2
	v_mul_f32_e32 v21, v78, v63
	v_mul_f32_e32 v3, v18, v63
	v_fmac_f32_e32 v70, v21, v20
	v_fmac_f32_e32 v72, v3, v2
	ds_read2_b32 v[2:3], v107 offset0:64 offset1:96
	ds_read_b128 v[4:7], v73 offset:2048
	ds_read_b128 v[20:23], v73 offset:2064
	s_waitcnt lgkmcnt(2)
	v_mul_f32_e32 v9, v77, v2
	s_waitcnt lgkmcnt(1)
	v_dot4_i32_i8 v8, v30, v4, 0
	v_dot4_i32_i8 v8, v31, v5, v8
	;; [unrolled: 1-line block ×4, first 2 shown]
	s_waitcnt lgkmcnt(0)
	v_dot4_i32_i8 v8, v36, v20, v8
	v_dot4_i32_i8 v8, v37, v21, v8
	;; [unrolled: 1-line block ×4, first 2 shown]
	v_cvt_f32_i32_e32 v8, v8
	v_fmac_f32_e32 v113, v9, v8
	v_dot4_i32_i8 v8, v34, v4, 0
	v_dot4_i32_i8 v8, v35, v5, v8
	;; [unrolled: 1-line block ×8, first 2 shown]
	v_cvt_f32_i32_e32 v8, v8
	v_mul_f32_e32 v9, v19, v2
	v_fmac_f32_e32 v127, v9, v8
	v_dot4_i32_i8 v8, v44, v4, 0
	v_dot4_i32_i8 v4, v58, v4, 0
	;; [unrolled: 1-line block ×12, first 2 shown]
	v_cvt_f32_i32_e32 v4, v4
	v_dot4_i32_i8 v8, v56, v20, v8
	v_dot4_i32_i8 v8, v57, v21, v8
	;; [unrolled: 1-line block ×3, first 2 shown]
	v_mul_f32_e32 v9, v78, v2
	v_mul_f32_e32 v2, v18, v2
	v_dot4_i32_i8 v8, v61, v23, v8
	v_fmac_f32_e32 v13, v2, v4
	ds_read_b128 v[4:7], v73 offset:3072
	ds_read_b128 v[20:23], v73 offset:3088
	v_cvt_f32_i32_e32 v8, v8
	s_waitcnt lgkmcnt(1)
	v_dot4_i32_i8 v2, v30, v4, 0
	v_dot4_i32_i8 v2, v31, v5, v2
	v_dot4_i32_i8 v2, v32, v6, v2
	v_dot4_i32_i8 v2, v33, v7, v2
	s_waitcnt lgkmcnt(0)
	v_dot4_i32_i8 v2, v36, v20, v2
	v_dot4_i32_i8 v2, v37, v21, v2
	;; [unrolled: 1-line block ×4, first 2 shown]
	v_cvt_f32_i32_e32 v2, v2
	v_fmac_f32_e32 v69, v9, v8
	v_mul_f32_e32 v8, v77, v3
	v_fmac_f32_e32 v108, v8, v2
	v_dot4_i32_i8 v2, v34, v4, 0
	v_dot4_i32_i8 v2, v35, v5, v2
	;; [unrolled: 1-line block ×8, first 2 shown]
	v_cvt_f32_i32_e32 v2, v2
	v_mul_f32_e32 v8, v19, v3
	v_fmac_f32_e32 v121, v8, v2
	v_dot4_i32_i8 v2, v44, v4, 0
	v_dot4_i32_i8 v2, v45, v5, v2
	;; [unrolled: 1-line block ×8, first 2 shown]
	v_cvt_f32_i32_e32 v2, v2
	v_mul_f32_e32 v8, v78, v3
	v_mul_f32_e32 v3, v18, v3
	v_fmac_f32_e32 v1, v8, v2
	v_dot4_i32_i8 v2, v58, v4, 0
	v_dot4_i32_i8 v2, v59, v5, v2
	;; [unrolled: 1-line block ×8, first 2 shown]
	v_cvt_f32_i32_e32 v2, v2
	v_fmac_f32_e32 v12, v3, v2
	ds_read2_b32 v[62:63], v107 offset0:128 offset1:160
	ds_read_b128 v[2:5], v73 offset:4096
	ds_read_b128 v[6:9], v73 offset:4112
	s_waitcnt lgkmcnt(2)
	v_mul_f32_e32 v21, v77, v62
	s_waitcnt lgkmcnt(1)
	v_dot4_i32_i8 v20, v30, v2, 0
	v_dot4_i32_i8 v20, v31, v3, v20
	;; [unrolled: 1-line block ×4, first 2 shown]
	s_waitcnt lgkmcnt(0)
	v_dot4_i32_i8 v20, v36, v6, v20
	v_dot4_i32_i8 v20, v37, v7, v20
	v_dot4_i32_i8 v20, v38, v8, v20
	v_dot4_i32_i8 v20, v39, v9, v20
	v_cvt_f32_i32_e32 v20, v20
	v_fmac_f32_e32 v105, v21, v20
	v_dot4_i32_i8 v20, v34, v2, 0
	v_dot4_i32_i8 v20, v35, v3, v20
	v_dot4_i32_i8 v20, v40, v4, v20
	v_dot4_i32_i8 v20, v41, v5, v20
	v_dot4_i32_i8 v20, v42, v6, v20
	v_dot4_i32_i8 v20, v43, v7, v20
	v_dot4_i32_i8 v20, v48, v8, v20
	v_dot4_i32_i8 v20, v49, v9, v20
	v_cvt_f32_i32_e32 v20, v20
	v_mul_f32_e32 v21, v19, v62
	v_fmac_f32_e32 v115, v21, v20
	v_dot4_i32_i8 v20, v44, v2, 0
	v_dot4_i32_i8 v2, v58, v2, 0
	;; [unrolled: 1-line block ×13, first 2 shown]
	v_cvt_f32_i32_e32 v2, v2
	v_dot4_i32_i8 v20, v57, v7, v20
	v_dot4_i32_i8 v20, v60, v8, v20
	;; [unrolled: 1-line block ×3, first 2 shown]
	v_mul_f32_e32 v3, v18, v62
	v_cvt_f32_i32_e32 v20, v20
	v_fmac_f32_e32 v11, v3, v2
	ds_read_b128 v[6:9], v73 offset:5120
	ds_read_b128 v[2:5], v73 offset:5136
	v_mul_f32_e32 v21, v78, v62
	v_fmac_f32_e32 v64, v21, v20
	v_mul_f32_e32 v21, v77, v63
	s_waitcnt lgkmcnt(1)
	v_dot4_i32_i8 v20, v30, v6, 0
	v_dot4_i32_i8 v20, v31, v7, v20
	;; [unrolled: 1-line block ×4, first 2 shown]
	s_waitcnt lgkmcnt(0)
	v_dot4_i32_i8 v20, v36, v2, v20
	v_dot4_i32_i8 v20, v37, v3, v20
	;; [unrolled: 1-line block ×4, first 2 shown]
	v_cvt_f32_i32_e32 v20, v20
	v_fmac_f32_e32 v101, v21, v20
	v_dot4_i32_i8 v20, v34, v6, 0
	v_dot4_i32_i8 v20, v35, v7, v20
	;; [unrolled: 1-line block ×8, first 2 shown]
	v_cvt_f32_i32_e32 v20, v20
	v_mul_f32_e32 v21, v19, v63
	v_fmac_f32_e32 v109, v21, v20
	v_dot4_i32_i8 v20, v44, v6, 0
	v_dot4_i32_i8 v6, v58, v6, 0
	;; [unrolled: 1-line block ×13, first 2 shown]
	v_cvt_f32_i32_e32 v2, v2
	v_dot4_i32_i8 v20, v57, v3, v20
	v_dot4_i32_i8 v20, v60, v4, v20
	v_dot4_i32_i8 v20, v61, v5, v20
	v_mul_f32_e32 v3, v18, v63
	v_mul_f32_e32 v21, v78, v63
	v_cvt_f32_i32_e32 v20, v20
	v_fmac_f32_e32 v68, v3, v2
	ds_read2_b32 v[62:63], v107 offset0:192 offset1:224
	ds_read_b128 v[2:5], v73 offset:6144
	ds_read_b128 v[6:9], v73 offset:6160
	v_add_u32_e32 v107, 4, v107
	v_fmac_f32_e32 v123, v21, v20
	s_waitcnt lgkmcnt(2)
	v_mul_f32_e32 v21, v77, v62
	s_waitcnt lgkmcnt(1)
	v_dot4_i32_i8 v20, v30, v2, 0
	v_dot4_i32_i8 v20, v31, v3, v20
	;; [unrolled: 1-line block ×4, first 2 shown]
	s_waitcnt lgkmcnt(0)
	v_dot4_i32_i8 v20, v36, v6, v20
	v_dot4_i32_i8 v20, v37, v7, v20
	;; [unrolled: 1-line block ×4, first 2 shown]
	v_cvt_f32_i32_e32 v20, v20
	v_fmac_f32_e32 v100, v21, v20
	v_dot4_i32_i8 v20, v34, v2, 0
	v_dot4_i32_i8 v20, v35, v3, v20
	;; [unrolled: 1-line block ×8, first 2 shown]
	v_cvt_f32_i32_e32 v20, v20
	v_mul_f32_e32 v21, v19, v62
	v_mul_f32_e32 v19, v19, v63
	v_fmac_f32_e32 v106, v21, v20
	v_dot4_i32_i8 v20, v44, v2, 0
	v_dot4_i32_i8 v2, v58, v2, 0
	;; [unrolled: 1-line block ×13, first 2 shown]
	v_cvt_f32_i32_e32 v2, v2
	v_dot4_i32_i8 v20, v57, v7, v20
	v_dot4_i32_i8 v20, v60, v8, v20
	;; [unrolled: 1-line block ×3, first 2 shown]
	v_mul_f32_e32 v3, v18, v62
	v_cvt_f32_i32_e32 v20, v20
	v_fmac_f32_e32 v26, v3, v2
	ds_read_b128 v[6:9], v73 offset:7168
	ds_read_b128 v[2:5], v73 offset:7184
	v_mul_f32_e32 v21, v78, v62
	v_fmac_f32_e32 v117, v21, v20
	v_mul_f32_e32 v21, v77, v63
	s_waitcnt lgkmcnt(1)
	v_dot4_i32_i8 v20, v30, v6, 0
	v_dot4_i32_i8 v20, v31, v7, v20
	;; [unrolled: 1-line block ×4, first 2 shown]
	s_waitcnt lgkmcnt(0)
	v_dot4_i32_i8 v20, v36, v2, v20
	v_dot4_i32_i8 v20, v37, v3, v20
	;; [unrolled: 1-line block ×4, first 2 shown]
	v_cvt_f32_i32_e32 v20, v20
	v_add_u32_e32 v73, 32, v73
	v_fmac_f32_e32 v98, v21, v20
	v_dot4_i32_i8 v20, v34, v6, 0
	v_dot4_i32_i8 v20, v35, v7, v20
	;; [unrolled: 1-line block ×8, first 2 shown]
	v_cvt_f32_i32_e32 v20, v20
	v_fmac_f32_e32 v103, v19, v20
	v_dot4_i32_i8 v19, v44, v6, 0
	v_dot4_i32_i8 v6, v58, v6, 0
	v_dot4_i32_i8 v19, v45, v7, v19
	v_dot4_i32_i8 v6, v59, v7, v6
	v_dot4_i32_i8 v19, v52, v8, v19
	v_dot4_i32_i8 v6, v46, v8, v6
	v_dot4_i32_i8 v19, v53, v9, v19
	v_dot4_i32_i8 v6, v47, v9, v6
	v_dot4_i32_i8 v19, v56, v2, v19
	v_dot4_i32_i8 v2, v50, v2, v6
	v_dot4_i32_i8 v19, v57, v3, v19
	v_dot4_i32_i8 v2, v51, v3, v2
	v_dot4_i32_i8 v19, v60, v4, v19
	v_dot4_i32_i8 v2, v54, v4, v2
	v_dot4_i32_i8 v19, v61, v5, v19
	v_dot4_i32_i8 v2, v55, v5, v2
	v_cvt_f32_i32_e32 v19, v19
	v_cvt_f32_i32_e32 v2, v2
	v_mul_f32_e32 v20, v78, v63
	v_mul_f32_e32 v3, v18, v63
	v_fmac_f32_e32 v111, v20, v19
	v_fmac_f32_e32 v125, v3, v2
	s_cbranch_scc1 .LBB146_6
; %bb.7:                                ;   in Loop: Header=BB146_5 Depth=1
	s_add_i32 s8, s8, 4
	s_cmp_ge_i32 s8, s4
	s_barrier
	s_cbranch_scc0 .LBB146_5
; %bb.8:
	v_cvt_f16_f32_e32 v35, v10
	buffer_load_dword v10, off, s[20:23], 0 offset:160 ; 4-byte Folded Reload
	buffer_load_dword v37, off, s[20:23], 0 offset:164 ; 4-byte Folded Reload
	v_cvt_f16_f32_e32 v36, v65
	v_cvt_f16_f32_e32 v34, v71
	;; [unrolled: 1-line block ×31, first 2 shown]
.LBB146_9:
	s_waitcnt vmcnt(1)
	v_cmp_gt_u32_e32 vcc, s10, v10
	s_and_saveexec_b64 s[0:1], vcc
	s_cbranch_execz .LBB146_60
; %bb.10:
	v_mul_lo_u32 v26, v10, s14
	v_add_u32_e32 v0, s6, v0
	v_cmp_gt_u32_e32 vcc, s14, v0
	s_and_saveexec_b64 s[2:3], vcc
	s_cbranch_execz .LBB146_12
; %bb.11:
	v_add_u32_e32 v10, v0, v26
	v_mov_b32_e32 v11, 0
	v_lshlrev_b64 v[10:11], 1, v[10:11]
	s_waitcnt lgkmcnt(0)
	v_mov_b32_e32 v12, s13
	v_add_co_u32_e64 v10, s[0:1], s12, v10
	v_addc_co_u32_e64 v11, s[0:1], v12, v11, s[0:1]
	global_store_short v[10:11], v36, off
.LBB146_12:
	s_or_b64 exec, exec, s[2:3]
	v_add_u32_e32 v10, 32, v0
	v_cmp_gt_u32_e64 s[0:1], s14, v10
	s_and_saveexec_b64 s[4:5], s[0:1]
	s_cbranch_execz .LBB146_14
; %bb.13:
	v_add_u32_e32 v11, v10, v26
	v_mov_b32_e32 v12, 0
	v_lshlrev_b64 v[11:12], 1, v[11:12]
	s_waitcnt lgkmcnt(0)
	v_mov_b32_e32 v36, s13
	v_add_co_u32_e64 v11, s[2:3], s12, v11
	v_addc_co_u32_e64 v12, s[2:3], v36, v12, s[2:3]
	global_store_short v[11:12], v35, off
.LBB146_14:
	s_or_b64 exec, exec, s[4:5]
	v_add_u32_e32 v11, 64, v0
	v_cmp_gt_u32_e64 s[2:3], s14, v11
	s_and_saveexec_b64 s[6:7], s[2:3]
	;; [unrolled: 15-line block ×3, first 2 shown]
	s_cbranch_execz .LBB146_18
; %bb.17:
	v_add_u32_e32 v34, v12, v26
	v_mov_b32_e32 v35, 0
	v_lshlrev_b64 v[34:35], 1, v[34:35]
	s_waitcnt lgkmcnt(0)
	v_mov_b32_e32 v26, s13
	v_add_co_u32_e64 v34, s[6:7], s12, v34
	v_addc_co_u32_e64 v35, s[6:7], v26, v35, s[6:7]
	global_store_short v[34:35], v33, off
.LBB146_18:
	s_or_b64 exec, exec, s[8:9]
	s_waitcnt vmcnt(0)
	v_add3_u32 v26, v37, s15, 8
	v_cmp_gt_u32_e64 s[6:7], s10, v26
	s_and_b64 exec, exec, s[6:7]
	s_cbranch_execz .LBB146_60
; %bb.19:
	v_mul_lo_u32 v26, v26, s14
	s_and_saveexec_b64 s[8:9], vcc
	s_cbranch_execnz .LBB146_61
; %bb.20:
	s_or_b64 exec, exec, s[8:9]
	s_and_saveexec_b64 s[8:9], s[0:1]
	s_cbranch_execnz .LBB146_62
.LBB146_21:
	s_or_b64 exec, exec, s[8:9]
	s_and_saveexec_b64 s[8:9], s[2:3]
	s_cbranch_execnz .LBB146_63
.LBB146_22:
	s_or_b64 exec, exec, s[8:9]
	s_and_saveexec_b64 s[8:9], s[4:5]
	s_cbranch_execz .LBB146_24
.LBB146_23:
	v_add_u32_e32 v30, v26, v12
	v_mov_b32_e32 v31, 0
	v_lshlrev_b64 v[30:31], 1, v[30:31]
	s_waitcnt lgkmcnt(0)
	v_mov_b32_e32 v26, s13
	v_add_co_u32_e64 v30, s[6:7], s12, v30
	v_addc_co_u32_e64 v31, s[6:7], v26, v31, s[6:7]
	global_store_short v[30:31], v29, off
.LBB146_24:
	s_or_b64 exec, exec, s[8:9]
	v_add3_u32 v26, v37, s15, 16
	v_cmp_gt_u32_e64 s[6:7], s10, v26
	s_and_b64 exec, exec, s[6:7]
	s_cbranch_execz .LBB146_60
; %bb.25:
	v_mul_lo_u32 v26, v26, s14
	s_and_saveexec_b64 s[8:9], vcc
	s_cbranch_execnz .LBB146_64
; %bb.26:
	s_or_b64 exec, exec, s[8:9]
	s_and_saveexec_b64 s[8:9], s[0:1]
	s_cbranch_execnz .LBB146_65
.LBB146_27:
	s_or_b64 exec, exec, s[8:9]
	s_and_saveexec_b64 s[8:9], s[2:3]
	s_cbranch_execnz .LBB146_66
.LBB146_28:
	s_or_b64 exec, exec, s[8:9]
	s_and_saveexec_b64 s[8:9], s[4:5]
	s_cbranch_execz .LBB146_30
.LBB146_29:
	v_add_u32_e32 v25, v26, v12
	v_mov_b32_e32 v26, 0
	v_lshlrev_b64 v[25:26], 1, v[25:26]
	s_waitcnt lgkmcnt(0)
	v_mov_b32_e32 v27, s13
	v_add_co_u32_e64 v25, s[6:7], s12, v25
	v_addc_co_u32_e64 v26, s[6:7], v27, v26, s[6:7]
	global_store_short v[25:26], v24, off
.LBB146_30:
	s_or_b64 exec, exec, s[8:9]
	v_add3_u32 v24, v37, s15, 24
	v_cmp_gt_u32_e64 s[6:7], s10, v24
	s_and_b64 exec, exec, s[6:7]
	s_cbranch_execz .LBB146_60
; %bb.31:
	v_mul_lo_u32 v24, v24, s14
	s_and_saveexec_b64 s[8:9], vcc
	s_cbranch_execnz .LBB146_67
; %bb.32:
	s_or_b64 exec, exec, s[8:9]
	s_and_saveexec_b64 s[8:9], s[0:1]
	s_cbranch_execnz .LBB146_68
.LBB146_33:
	s_or_b64 exec, exec, s[8:9]
	s_and_saveexec_b64 s[8:9], s[2:3]
	s_cbranch_execnz .LBB146_69
.LBB146_34:
	s_or_b64 exec, exec, s[8:9]
	s_and_saveexec_b64 s[8:9], s[4:5]
	s_cbranch_execz .LBB146_36
.LBB146_35:
	v_add_u32_e32 v21, v24, v12
	v_mov_b32_e32 v22, 0
	v_lshlrev_b64 v[21:22], 1, v[21:22]
	s_waitcnt lgkmcnt(0)
	v_mov_b32_e32 v23, s13
	v_add_co_u32_e64 v21, s[6:7], s12, v21
	v_addc_co_u32_e64 v22, s[6:7], v23, v22, s[6:7]
	global_store_short v[21:22], v20, off
.LBB146_36:
	s_or_b64 exec, exec, s[8:9]
	v_add3_u32 v20, v37, s15, 32
	v_cmp_gt_u32_e64 s[6:7], s10, v20
	s_and_b64 exec, exec, s[6:7]
	s_cbranch_execz .LBB146_60
; %bb.37:
	v_mul_lo_u32 v20, v20, s14
	s_and_saveexec_b64 s[8:9], vcc
	s_cbranch_execnz .LBB146_70
; %bb.38:
	s_or_b64 exec, exec, s[8:9]
	s_and_saveexec_b64 s[8:9], s[0:1]
	s_cbranch_execnz .LBB146_71
.LBB146_39:
	s_or_b64 exec, exec, s[8:9]
	s_and_saveexec_b64 s[8:9], s[2:3]
	s_cbranch_execnz .LBB146_72
.LBB146_40:
	s_or_b64 exec, exec, s[8:9]
	s_and_saveexec_b64 s[8:9], s[4:5]
	s_cbranch_execz .LBB146_42
.LBB146_41:
	v_add_u32_e32 v17, v20, v12
	v_mov_b32_e32 v18, 0
	v_lshlrev_b64 v[17:18], 1, v[17:18]
	s_waitcnt lgkmcnt(0)
	v_mov_b32_e32 v19, s13
	v_add_co_u32_e64 v17, s[6:7], s12, v17
	v_addc_co_u32_e64 v18, s[6:7], v19, v18, s[6:7]
	global_store_short v[17:18], v16, off
.LBB146_42:
	s_or_b64 exec, exec, s[8:9]
	v_add3_u32 v16, v37, s15, 40
	v_cmp_gt_u32_e64 s[6:7], s10, v16
	s_and_b64 exec, exec, s[6:7]
	s_cbranch_execz .LBB146_60
; %bb.43:
	v_mul_lo_u32 v16, v16, s14
	s_and_saveexec_b64 s[8:9], vcc
	s_cbranch_execnz .LBB146_73
; %bb.44:
	s_or_b64 exec, exec, s[8:9]
	s_and_saveexec_b64 s[8:9], s[0:1]
	s_cbranch_execnz .LBB146_74
.LBB146_45:
	s_or_b64 exec, exec, s[8:9]
	s_and_saveexec_b64 s[8:9], s[2:3]
	s_cbranch_execnz .LBB146_75
.LBB146_46:
	s_or_b64 exec, exec, s[8:9]
	s_and_saveexec_b64 s[8:9], s[4:5]
	s_cbranch_execz .LBB146_48
.LBB146_47:
	v_add_u32_e32 v13, v16, v12
	v_mov_b32_e32 v14, 0
	v_lshlrev_b64 v[13:14], 1, v[13:14]
	s_waitcnt lgkmcnt(0)
	v_mov_b32_e32 v15, s13
	v_add_co_u32_e64 v13, s[6:7], s12, v13
	v_addc_co_u32_e64 v14, s[6:7], v15, v14, s[6:7]
	global_store_short v[13:14], v9, off
.LBB146_48:
	s_or_b64 exec, exec, s[8:9]
	v_add3_u32 v9, v37, s15, 48
	v_cmp_gt_u32_e64 s[6:7], s10, v9
	s_and_b64 exec, exec, s[6:7]
	s_cbranch_execz .LBB146_60
; %bb.49:
	v_mul_lo_u32 v9, v9, s14
	s_and_saveexec_b64 s[8:9], vcc
	s_cbranch_execnz .LBB146_76
; %bb.50:
	s_or_b64 exec, exec, s[8:9]
	s_and_saveexec_b64 s[8:9], s[0:1]
	s_cbranch_execnz .LBB146_77
.LBB146_51:
	s_or_b64 exec, exec, s[8:9]
	s_and_saveexec_b64 s[8:9], s[2:3]
	s_cbranch_execnz .LBB146_78
.LBB146_52:
	s_or_b64 exec, exec, s[8:9]
	s_and_saveexec_b64 s[8:9], s[4:5]
	s_cbranch_execz .LBB146_54
.LBB146_53:
	v_add_u32_e32 v6, v9, v12
	v_mov_b32_e32 v7, 0
	v_lshlrev_b64 v[6:7], 1, v[6:7]
	s_waitcnt lgkmcnt(0)
	v_mov_b32_e32 v8, s13
	v_add_co_u32_e64 v6, s[6:7], s12, v6
	v_addc_co_u32_e64 v7, s[6:7], v8, v7, s[6:7]
	global_store_short v[6:7], v5, off
.LBB146_54:
	s_or_b64 exec, exec, s[8:9]
	v_add3_u32 v5, v37, s15, 56
	v_cmp_gt_u32_e64 s[6:7], s10, v5
	s_and_b64 exec, exec, s[6:7]
	s_cbranch_execz .LBB146_60
; %bb.55:
	v_mul_lo_u32 v5, v5, s14
	s_and_saveexec_b64 s[6:7], vcc
	s_cbranch_execnz .LBB146_79
; %bb.56:
	s_or_b64 exec, exec, s[6:7]
	s_and_saveexec_b64 s[6:7], s[0:1]
	s_cbranch_execnz .LBB146_80
.LBB146_57:
	s_or_b64 exec, exec, s[6:7]
	s_and_saveexec_b64 s[0:1], s[2:3]
	s_cbranch_execnz .LBB146_81
.LBB146_58:
	s_or_b64 exec, exec, s[0:1]
	s_and_b64 exec, exec, s[4:5]
	s_cbranch_execz .LBB146_60
.LBB146_59:
	v_add_u32_e32 v2, v5, v12
	v_mov_b32_e32 v3, 0
	v_lshlrev_b64 v[2:3], 1, v[2:3]
	s_waitcnt lgkmcnt(0)
	v_mov_b32_e32 v0, s13
	v_add_co_u32_e32 v2, vcc, s12, v2
	v_addc_co_u32_e32 v3, vcc, v0, v3, vcc
	global_store_short v[2:3], v1, off
.LBB146_60:
	s_endpgm
.LBB146_61:
	v_add_u32_e32 v33, v26, v0
	v_mov_b32_e32 v34, 0
	v_lshlrev_b64 v[33:34], 1, v[33:34]
	s_waitcnt lgkmcnt(0)
	v_mov_b32_e32 v35, s13
	v_add_co_u32_e64 v33, s[6:7], s12, v33
	v_addc_co_u32_e64 v34, s[6:7], v35, v34, s[6:7]
	global_store_short v[33:34], v32, off
	s_or_b64 exec, exec, s[8:9]
	s_and_saveexec_b64 s[8:9], s[0:1]
	s_cbranch_execz .LBB146_21
.LBB146_62:
	v_add_u32_e32 v32, v26, v10
	v_mov_b32_e32 v33, 0
	v_lshlrev_b64 v[32:33], 1, v[32:33]
	s_waitcnt lgkmcnt(0)
	v_mov_b32_e32 v34, s13
	v_add_co_u32_e64 v32, s[6:7], s12, v32
	v_addc_co_u32_e64 v33, s[6:7], v34, v33, s[6:7]
	global_store_short v[32:33], v31, off
	s_or_b64 exec, exec, s[8:9]
	s_and_saveexec_b64 s[8:9], s[2:3]
	s_cbranch_execz .LBB146_22
.LBB146_63:
	v_add_u32_e32 v31, v26, v11
	v_mov_b32_e32 v32, 0
	v_lshlrev_b64 v[31:32], 1, v[31:32]
	s_waitcnt lgkmcnt(0)
	v_mov_b32_e32 v33, s13
	v_add_co_u32_e64 v31, s[6:7], s12, v31
	v_addc_co_u32_e64 v32, s[6:7], v33, v32, s[6:7]
	global_store_short v[31:32], v30, off
	s_or_b64 exec, exec, s[8:9]
	s_and_saveexec_b64 s[8:9], s[4:5]
	s_cbranch_execnz .LBB146_23
	s_branch .LBB146_24
.LBB146_64:
	v_add_u32_e32 v29, v26, v0
	v_mov_b32_e32 v30, 0
	v_lshlrev_b64 v[29:30], 1, v[29:30]
	s_waitcnt lgkmcnt(0)
	v_mov_b32_e32 v31, s13
	v_add_co_u32_e64 v29, s[6:7], s12, v29
	v_addc_co_u32_e64 v30, s[6:7], v31, v30, s[6:7]
	global_store_short v[29:30], v28, off
	s_or_b64 exec, exec, s[8:9]
	s_and_saveexec_b64 s[8:9], s[0:1]
	s_cbranch_execz .LBB146_27
.LBB146_65:
	v_add_u32_e32 v28, v26, v10
	v_mov_b32_e32 v29, 0
	v_lshlrev_b64 v[28:29], 1, v[28:29]
	s_waitcnt lgkmcnt(0)
	v_mov_b32_e32 v30, s13
	v_add_co_u32_e64 v28, s[6:7], s12, v28
	v_addc_co_u32_e64 v29, s[6:7], v30, v29, s[6:7]
	global_store_short v[28:29], v27, off
	s_or_b64 exec, exec, s[8:9]
	s_and_saveexec_b64 s[8:9], s[2:3]
	s_cbranch_execz .LBB146_28
.LBB146_66:
	v_add_u32_e32 v27, v26, v11
	v_mov_b32_e32 v28, 0
	v_lshlrev_b64 v[27:28], 1, v[27:28]
	s_waitcnt lgkmcnt(0)
	v_mov_b32_e32 v29, s13
	v_add_co_u32_e64 v27, s[6:7], s12, v27
	v_addc_co_u32_e64 v28, s[6:7], v29, v28, s[6:7]
	global_store_short v[27:28], v25, off
	s_or_b64 exec, exec, s[8:9]
	s_and_saveexec_b64 s[8:9], s[4:5]
	s_cbranch_execnz .LBB146_29
	s_branch .LBB146_30
.LBB146_67:
	v_add_u32_e32 v25, v24, v0
	v_mov_b32_e32 v26, 0
	v_lshlrev_b64 v[25:26], 1, v[25:26]
	s_waitcnt lgkmcnt(0)
	v_mov_b32_e32 v27, s13
	v_add_co_u32_e64 v25, s[6:7], s12, v25
	v_addc_co_u32_e64 v26, s[6:7], v27, v26, s[6:7]
	global_store_short v[25:26], v23, off
	s_or_b64 exec, exec, s[8:9]
	s_and_saveexec_b64 s[8:9], s[0:1]
	s_cbranch_execz .LBB146_33
.LBB146_68:
	v_add_u32_e32 v25, v24, v10
	v_mov_b32_e32 v26, 0
	v_lshlrev_b64 v[25:26], 1, v[25:26]
	s_waitcnt lgkmcnt(0)
	v_mov_b32_e32 v23, s13
	v_add_co_u32_e64 v25, s[6:7], s12, v25
	v_addc_co_u32_e64 v26, s[6:7], v23, v26, s[6:7]
	global_store_short v[25:26], v22, off
	s_or_b64 exec, exec, s[8:9]
	s_and_saveexec_b64 s[8:9], s[2:3]
	s_cbranch_execz .LBB146_34
.LBB146_69:
	v_add_u32_e32 v22, v24, v11
	v_mov_b32_e32 v23, 0
	v_lshlrev_b64 v[22:23], 1, v[22:23]
	s_waitcnt lgkmcnt(0)
	v_mov_b32_e32 v25, s13
	v_add_co_u32_e64 v22, s[6:7], s12, v22
	v_addc_co_u32_e64 v23, s[6:7], v25, v23, s[6:7]
	global_store_short v[22:23], v21, off
	s_or_b64 exec, exec, s[8:9]
	s_and_saveexec_b64 s[8:9], s[4:5]
	s_cbranch_execnz .LBB146_35
	s_branch .LBB146_36
.LBB146_70:
	v_add_u32_e32 v21, v20, v0
	v_mov_b32_e32 v22, 0
	v_lshlrev_b64 v[21:22], 1, v[21:22]
	s_waitcnt lgkmcnt(0)
	v_mov_b32_e32 v23, s13
	v_add_co_u32_e64 v21, s[6:7], s12, v21
	v_addc_co_u32_e64 v22, s[6:7], v23, v22, s[6:7]
	global_store_short v[21:22], v19, off
	s_or_b64 exec, exec, s[8:9]
	s_and_saveexec_b64 s[8:9], s[0:1]
	s_cbranch_execz .LBB146_39
.LBB146_71:
	v_add_u32_e32 v21, v20, v10
	v_mov_b32_e32 v22, 0
	v_lshlrev_b64 v[21:22], 1, v[21:22]
	s_waitcnt lgkmcnt(0)
	v_mov_b32_e32 v19, s13
	v_add_co_u32_e64 v21, s[6:7], s12, v21
	v_addc_co_u32_e64 v22, s[6:7], v19, v22, s[6:7]
	global_store_short v[21:22], v18, off
	s_or_b64 exec, exec, s[8:9]
	s_and_saveexec_b64 s[8:9], s[2:3]
	s_cbranch_execz .LBB146_40
.LBB146_72:
	v_add_u32_e32 v18, v20, v11
	v_mov_b32_e32 v19, 0
	v_lshlrev_b64 v[18:19], 1, v[18:19]
	s_waitcnt lgkmcnt(0)
	v_mov_b32_e32 v21, s13
	v_add_co_u32_e64 v18, s[6:7], s12, v18
	v_addc_co_u32_e64 v19, s[6:7], v21, v19, s[6:7]
	global_store_short v[18:19], v17, off
	s_or_b64 exec, exec, s[8:9]
	s_and_saveexec_b64 s[8:9], s[4:5]
	s_cbranch_execnz .LBB146_41
	s_branch .LBB146_42
.LBB146_73:
	v_add_u32_e32 v17, v16, v0
	v_mov_b32_e32 v18, 0
	v_lshlrev_b64 v[17:18], 1, v[17:18]
	s_waitcnt lgkmcnt(0)
	v_mov_b32_e32 v19, s13
	v_add_co_u32_e64 v17, s[6:7], s12, v17
	v_addc_co_u32_e64 v18, s[6:7], v19, v18, s[6:7]
	global_store_short v[17:18], v15, off
	s_or_b64 exec, exec, s[8:9]
	s_and_saveexec_b64 s[8:9], s[0:1]
	s_cbranch_execz .LBB146_45
.LBB146_74:
	v_add_u32_e32 v17, v16, v10
	v_mov_b32_e32 v18, 0
	v_lshlrev_b64 v[17:18], 1, v[17:18]
	s_waitcnt lgkmcnt(0)
	v_mov_b32_e32 v15, s13
	v_add_co_u32_e64 v17, s[6:7], s12, v17
	v_addc_co_u32_e64 v18, s[6:7], v15, v18, s[6:7]
	global_store_short v[17:18], v14, off
	s_or_b64 exec, exec, s[8:9]
	s_and_saveexec_b64 s[8:9], s[2:3]
	s_cbranch_execz .LBB146_46
.LBB146_75:
	v_add_u32_e32 v14, v16, v11
	v_mov_b32_e32 v15, 0
	v_lshlrev_b64 v[14:15], 1, v[14:15]
	s_waitcnt lgkmcnt(0)
	v_mov_b32_e32 v17, s13
	v_add_co_u32_e64 v14, s[6:7], s12, v14
	v_addc_co_u32_e64 v15, s[6:7], v17, v15, s[6:7]
	global_store_short v[14:15], v13, off
	s_or_b64 exec, exec, s[8:9]
	s_and_saveexec_b64 s[8:9], s[4:5]
	s_cbranch_execnz .LBB146_47
	s_branch .LBB146_48
.LBB146_76:
	v_add_u32_e32 v13, v9, v0
	v_mov_b32_e32 v14, 0
	v_lshlrev_b64 v[13:14], 1, v[13:14]
	s_waitcnt lgkmcnt(0)
	v_mov_b32_e32 v15, s13
	v_add_co_u32_e64 v13, s[6:7], s12, v13
	v_addc_co_u32_e64 v14, s[6:7], v15, v14, s[6:7]
	global_store_short v[13:14], v8, off
	s_or_b64 exec, exec, s[8:9]
	s_and_saveexec_b64 s[8:9], s[0:1]
	s_cbranch_execz .LBB146_51
.LBB146_77:
	v_add_u32_e32 v13, v9, v10
	v_mov_b32_e32 v14, 0
	v_lshlrev_b64 v[13:14], 1, v[13:14]
	s_waitcnt lgkmcnt(0)
	v_mov_b32_e32 v8, s13
	v_add_co_u32_e64 v13, s[6:7], s12, v13
	v_addc_co_u32_e64 v14, s[6:7], v8, v14, s[6:7]
	global_store_short v[13:14], v7, off
	s_or_b64 exec, exec, s[8:9]
	s_and_saveexec_b64 s[8:9], s[2:3]
	s_cbranch_execz .LBB146_52
.LBB146_78:
	v_add_u32_e32 v7, v9, v11
	v_mov_b32_e32 v8, 0
	v_lshlrev_b64 v[7:8], 1, v[7:8]
	s_waitcnt lgkmcnt(0)
	v_mov_b32_e32 v13, s13
	v_add_co_u32_e64 v7, s[6:7], s12, v7
	v_addc_co_u32_e64 v8, s[6:7], v13, v8, s[6:7]
	global_store_short v[7:8], v6, off
	s_or_b64 exec, exec, s[8:9]
	s_and_saveexec_b64 s[8:9], s[4:5]
	s_cbranch_execnz .LBB146_53
	s_branch .LBB146_54
.LBB146_79:
	v_add_u32_e32 v6, v5, v0
	v_mov_b32_e32 v7, 0
	v_lshlrev_b64 v[6:7], 1, v[6:7]
	s_waitcnt lgkmcnt(0)
	v_mov_b32_e32 v0, s13
	v_add_co_u32_e32 v6, vcc, s12, v6
	v_addc_co_u32_e32 v7, vcc, v0, v7, vcc
	global_store_short v[6:7], v4, off
	s_or_b64 exec, exec, s[6:7]
	s_and_saveexec_b64 s[6:7], s[0:1]
	s_cbranch_execz .LBB146_57
.LBB146_80:
	v_add_u32_e32 v6, v5, v10
	v_mov_b32_e32 v7, 0
	v_lshlrev_b64 v[6:7], 1, v[6:7]
	s_waitcnt lgkmcnt(0)
	v_mov_b32_e32 v0, s13
	v_add_co_u32_e32 v6, vcc, s12, v6
	v_addc_co_u32_e32 v7, vcc, v0, v7, vcc
	global_store_short v[6:7], v3, off
	s_or_b64 exec, exec, s[6:7]
	s_and_saveexec_b64 s[0:1], s[2:3]
	s_cbranch_execz .LBB146_58
.LBB146_81:
	v_add_u32_e32 v3, v5, v11
	v_mov_b32_e32 v4, 0
	v_lshlrev_b64 v[3:4], 1, v[3:4]
	s_waitcnt lgkmcnt(0)
	v_mov_b32_e32 v0, s13
	v_add_co_u32_e32 v3, vcc, s12, v3
	v_addc_co_u32_e32 v4, vcc, v0, v4, vcc
	global_store_short v[3:4], v2, off
	s_or_b64 exec, exec, s[0:1]
	s_and_b64 exec, exec, s[4:5]
	s_cbranch_execnz .LBB146_59
	s_branch .LBB146_60
	.section	.rodata,"a",@progbits
	.p2align	6, 0x0
	.amdhsa_kernel _ZL12mul_mat_q8_0IN3c104HalfELb1EEvPKvS3_PT_iiiii
		.amdhsa_group_segment_fixed_size 28224
		.amdhsa_private_segment_fixed_size 172
		.amdhsa_kernarg_size 44
		.amdhsa_user_sgpr_count 6
		.amdhsa_user_sgpr_private_segment_buffer 1
		.amdhsa_user_sgpr_dispatch_ptr 0
		.amdhsa_user_sgpr_queue_ptr 0
		.amdhsa_user_sgpr_kernarg_segment_ptr 1
		.amdhsa_user_sgpr_dispatch_id 0
		.amdhsa_user_sgpr_flat_scratch_init 0
		.amdhsa_user_sgpr_private_segment_size 0
		.amdhsa_uses_dynamic_stack 0
		.amdhsa_system_sgpr_private_segment_wavefront_offset 1
		.amdhsa_system_sgpr_workgroup_id_x 1
		.amdhsa_system_sgpr_workgroup_id_y 1
		.amdhsa_system_sgpr_workgroup_id_z 0
		.amdhsa_system_sgpr_workgroup_info 0
		.amdhsa_system_vgpr_workitem_id 1
		.amdhsa_next_free_vgpr 128
		.amdhsa_next_free_sgpr 98
		.amdhsa_reserve_vcc 1
		.amdhsa_reserve_flat_scratch 0
		.amdhsa_float_round_mode_32 0
		.amdhsa_float_round_mode_16_64 0
		.amdhsa_float_denorm_mode_32 3
		.amdhsa_float_denorm_mode_16_64 3
		.amdhsa_dx10_clamp 1
		.amdhsa_ieee_mode 1
		.amdhsa_fp16_overflow 0
		.amdhsa_exception_fp_ieee_invalid_op 0
		.amdhsa_exception_fp_denorm_src 0
		.amdhsa_exception_fp_ieee_div_zero 0
		.amdhsa_exception_fp_ieee_overflow 0
		.amdhsa_exception_fp_ieee_underflow 0
		.amdhsa_exception_fp_ieee_inexact 0
		.amdhsa_exception_int_div_zero 0
	.end_amdhsa_kernel
	.section	.text._ZL12mul_mat_q8_0IN3c104HalfELb1EEvPKvS3_PT_iiiii,"axG",@progbits,_ZL12mul_mat_q8_0IN3c104HalfELb1EEvPKvS3_PT_iiiii,comdat
.Lfunc_end146:
	.size	_ZL12mul_mat_q8_0IN3c104HalfELb1EEvPKvS3_PT_iiiii, .Lfunc_end146-_ZL12mul_mat_q8_0IN3c104HalfELb1EEvPKvS3_PT_iiiii
                                        ; -- End function
	.set _ZL12mul_mat_q8_0IN3c104HalfELb1EEvPKvS3_PT_iiiii.num_vgpr, 128
	.set _ZL12mul_mat_q8_0IN3c104HalfELb1EEvPKvS3_PT_iiiii.num_agpr, 0
	.set _ZL12mul_mat_q8_0IN3c104HalfELb1EEvPKvS3_PT_iiiii.numbered_sgpr, 24
	.set _ZL12mul_mat_q8_0IN3c104HalfELb1EEvPKvS3_PT_iiiii.num_named_barrier, 0
	.set _ZL12mul_mat_q8_0IN3c104HalfELb1EEvPKvS3_PT_iiiii.private_seg_size, 172
	.set _ZL12mul_mat_q8_0IN3c104HalfELb1EEvPKvS3_PT_iiiii.uses_vcc, 1
	.set _ZL12mul_mat_q8_0IN3c104HalfELb1EEvPKvS3_PT_iiiii.uses_flat_scratch, 0
	.set _ZL12mul_mat_q8_0IN3c104HalfELb1EEvPKvS3_PT_iiiii.has_dyn_sized_stack, 0
	.set _ZL12mul_mat_q8_0IN3c104HalfELb1EEvPKvS3_PT_iiiii.has_recursion, 0
	.set _ZL12mul_mat_q8_0IN3c104HalfELb1EEvPKvS3_PT_iiiii.has_indirect_call, 0
	.section	.AMDGPU.csdata,"",@progbits
; Kernel info:
; codeLenInByte = 8952
; TotalNumSgprs: 28
; NumVgprs: 128
; ScratchSize: 172
; MemoryBound: 0
; FloatMode: 240
; IeeeMode: 1
; LDSByteSize: 28224 bytes/workgroup (compile time only)
; SGPRBlocks: 12
; VGPRBlocks: 31
; NumSGPRsForWavesPerEU: 102
; NumVGPRsForWavesPerEU: 128
; Occupancy: 2
; WaveLimiterHint : 0
; COMPUTE_PGM_RSRC2:SCRATCH_EN: 1
; COMPUTE_PGM_RSRC2:USER_SGPR: 6
; COMPUTE_PGM_RSRC2:TRAP_HANDLER: 0
; COMPUTE_PGM_RSRC2:TGID_X_EN: 1
; COMPUTE_PGM_RSRC2:TGID_Y_EN: 1
; COMPUTE_PGM_RSRC2:TGID_Z_EN: 0
; COMPUTE_PGM_RSRC2:TIDIG_COMP_CNT: 1
	.section	.text._ZL12mul_mat_q2_KIN3c104HalfELb0EEvPKvS3_PT_iiiii,"axG",@progbits,_ZL12mul_mat_q2_KIN3c104HalfELb0EEvPKvS3_PT_iiiii,comdat
	.globl	_ZL12mul_mat_q2_KIN3c104HalfELb0EEvPKvS3_PT_iiiii ; -- Begin function _ZL12mul_mat_q2_KIN3c104HalfELb0EEvPKvS3_PT_iiiii
	.p2align	8
	.type	_ZL12mul_mat_q2_KIN3c104HalfELb0EEvPKvS3_PT_iiiii,@function
_ZL12mul_mat_q2_KIN3c104HalfELb0EEvPKvS3_PT_iiiii: ; @_ZL12mul_mat_q2_KIN3c104HalfELb0EEvPKvS3_PT_iiiii
; %bb.0:
	s_mov_b64 s[22:23], s[2:3]
	s_mov_b64 s[20:21], s[0:1]
	s_add_u32 s20, s20, s8
	s_load_dword s14, s[4:5], 0x18
	s_load_dwordx4 s[8:11], s[4:5], 0x20
	s_addc_u32 s21, s21, 0
	v_mov_b32_e32 v45, v1
	s_waitcnt lgkmcnt(0)
	s_lshl_b32 s11, s7, 6
	v_mov_b32_e32 v30, v0
	s_cmpk_gt_i32 s14, 0xff
	v_add_u32_e32 v25, s11, v45
	s_cbranch_scc1 .LBB147_2
; %bb.1:
	v_add_u32_e32 v4, s11, v45
	s_mov_b64 s[0:1], 0
	s_branch .LBB147_3
.LBB147_2:
	s_mov_b64 s[0:1], -1
                                        ; implicit-def: $vgpr4
.LBB147_3:
	s_load_dwordx2 s[12:13], s[4:5], 0x10
	s_lshl_b32 s6, s6, 7
	s_mov_b32 s7, 0
	v_mov_b32_e32 v0, 0
	s_andn2_b64 vcc, exec, s[0:1]
	v_mov_b32_e32 v8, 0
	v_mov_b32_e32 v12, 0
	;; [unrolled: 1-line block ×15, first 2 shown]
	s_cbranch_vccnz .LBB147_18
; %bb.4:
	s_load_dwordx4 s[0:3], s[4:5], 0x0
	s_ashr_i32 s4, s14, 31
	s_lshr_b32 s4, s4, 24
	s_add_i32 s14, s14, s4
	s_ashr_i32 s5, s9, 31
	s_ashr_i32 s4, s14, 8
	s_lshr_b32 s5, s5, 27
	s_add_i32 s5, s9, s5
	s_mul_i32 s14, s4, s6
	s_ashr_i32 s9, s5, 5
	s_mul_hi_i32 s15, s14, 0x54
	s_mulk_i32 s14, 0x54
	v_lshlrev_b32_e32 v2, 2, v30
	s_waitcnt lgkmcnt(0)
	s_add_u32 s0, s0, s14
	v_and_b32_e32 v0, 60, v2
	s_movk_i32 s14, 0x84
	s_addc_u32 s1, s1, s15
	buffer_store_dword v0, off, s[20:23], 0 offset:136 ; 4-byte Folded Spill
	v_mad_u32_u24 v0, v45, s14, v2
	s_lshl_b32 s14, s4, 3
	buffer_store_dword v0, off, s[20:23], 0 offset:140 ; 4-byte Folded Spill
	v_mov_b32_e32 v0, s14
	v_mad_i32_i24 v0, s4, v45, v0
	buffer_store_dword v0, off, s[20:23], 0 offset:144 ; 4-byte Folded Spill
	v_add_u32_e32 v0, s14, v0
	buffer_store_dword v0, off, s[20:23], 0 offset:148 ; 4-byte Folded Spill
	v_add_u32_e32 v0, s14, v0
	;; [unrolled: 2-line block ×14, first 2 shown]
	buffer_store_dword v0, off, s[20:23], 0 offset:200 ; 4-byte Folded Spill
	v_lshlrev_b32_e32 v13, 4, v45
	v_lshrrev_b32_e32 v0, 1, v30
	v_add_u32_e32 v0, v0, v13
	v_and_b32_e32 v1, 0x7f, v0
	v_and_b32_e32 v3, 1, v30
	v_mul_i32_i24_e32 v4, s4, v1
	buffer_store_dword v4, off, s[20:23], 0 offset:208 ; 4-byte Folded Spill
	buffer_store_dword v3, off, s[20:23], 0 offset:204 ; 4-byte Folded Spill
	v_lshlrev_b32_e32 v3, 2, v3
	v_lshrrev_b32_e32 v0, 2, v0
	v_lshl_or_b32 v1, v1, 3, v3
	v_and_b32_e32 v0, 28, v0
	s_movk_i32 s14, 0x7280
	v_add3_u32 v0, v1, v0, s14
	v_and_b32_e32 v1, 7, v30
	v_cmp_lt_u32_e32 vcc, 3, v1
	buffer_store_dword v0, off, s[20:23], 0 offset:212 ; 4-byte Folded Spill
	v_lshrrev_b32_e32 v0, 3, v30
	v_cndmask_b32_e64 v3, 0, 1, vcc
	buffer_store_dword v0, off, s[20:23], 0 offset:216 ; 4-byte Folded Spill
	v_lshl_add_u32 v0, v45, 2, v0
	buffer_store_dword v3, off, s[20:23], 0 offset:220 ; 4-byte Folded Spill
	v_and_b32_e32 v3, 12, v2
	buffer_store_dword v3, off, s[20:23], 0 offset:224 ; 4-byte Folded Spill
	v_mul_i32_i24_e32 v3, s4, v0
	s_lshl_b32 s15, s4, 5
	buffer_store_dword v3, off, s[20:23], 0 offset:228 ; 4-byte Folded Spill
	v_and_b32_e32 v3, 0x7fc, v0
	v_lshlrev_b32_e32 v1, 2, v1
	s_movk_i32 s14, 0x6200
	v_mov_b32_e32 v4, s15
	v_add3_u32 v14, v3, v1, s14
	v_add_u32_e32 v3, 32, v0
	v_mad_i32_i24 v5, s4, v0, v4
	v_and_b32_e32 v4, 0xffc, v3
	v_lshlrev_b32_e32 v17, 5, v3
	v_add_u32_e32 v3, 64, v0
	buffer_store_dword v5, off, s[20:23], 0 offset:232 ; 4-byte Folded Spill
	v_add_u32_e32 v5, s15, v5
	v_lshlrev_b32_e32 v15, 5, v0
	v_add3_u32 v16, v4, v1, s14
	v_and_b32_e32 v4, 0xffc, v3
	v_lshlrev_b32_e32 v19, 5, v3
	v_add_u32_e32 v0, 0x60, v0
	v_add_u32_e32 v3, s15, v5
	buffer_store_dword v3, off, s[20:23], 0 offset:240 ; 4-byte Folded Spill
	v_and_b32_e32 v3, 0xffc, v0
	v_add3_u32 v20, v3, v1, s14
	v_and_b32_e32 v3, 31, v30
	v_and_b32_e32 v22, 28, v2
	v_mov_b32_e32 v2, 0x4200
	v_add3_u32 v18, v4, v1, s14
	s_add_i32 s14, s8, -1
	v_lshl_or_b32 v31, v3, 2, v2
	v_lshrrev_b32_e32 v2, 2, v30
	v_lshlrev_b32_e32 v21, 5, v0
	v_cvt_f64_i32_e32 v[0:1], s14
	v_lshl_add_u32 v4, v45, 3, v2
	v_cvt_f64_u32_e32 v[2:3], v25
	buffer_store_dword v5, off, s[20:23], 0 offset:236 ; 4-byte Folded Spill
	v_add_u32_e32 v5, 8, v25
	v_cvt_f64_u32_e32 v[5:6], v5
	v_min_f64 v[2:3], v[2:3], v[0:1]
	v_add_u32_e32 v7, 16, v25
	v_cvt_f64_u32_e32 v[7:8], v7
	v_min_f64 v[5:6], v[5:6], v[0:1]
	v_and_b32_e32 v9, 63, v4
	v_or_b32_e32 v11, s11, v9
	v_min_f64 v[7:8], v[7:8], v[0:1]
	v_and_b32_e32 v4, 3, v30
	v_cvt_i32_f64_e32 v2, v[2:3]
	v_min_i32_e32 v11, s14, v11
	v_add_u32_e32 v26, 0x60, v30
	v_mad_u64_u32 v[11:12], s[14:15], v11, s9, v[4:5]
	v_mul_lo_u32 v2, s9, v2
	v_lshlrev_b32_e32 v4, 2, v4
	v_lshl_or_b32 v3, v9, 4, v4
	buffer_store_dword v11, off, s[20:23], 0 offset:248 ; 4-byte Folded Spill
	s_nop 0
	buffer_store_dword v12, off, s[20:23], 0 offset:252 ; 4-byte Folded Spill
	v_add_u32_e32 v3, 0x76a0, v3
	buffer_store_dword v2, off, s[20:23], 0 offset:40 ; 4-byte Folded Spill
	v_cvt_i32_f64_e32 v2, v[7:8]
	buffer_store_dword v3, off, s[20:23], 0 offset:36 ; 4-byte Folded Spill
	v_cvt_i32_f64_e32 v3, v[5:6]
	v_add_u32_e32 v6, 40, v25
	v_mul_lo_u32 v2, s9, v2
	v_cvt_f64_u32_e32 v[6:7], v6
	v_mul_lo_u32 v3, s9, v3
	v_add_u32_e32 v4, 32, v25
	buffer_store_dword v2, off, s[20:23], 0 offset:48 ; 4-byte Folded Spill
	v_add_u32_e32 v2, 24, v25
	buffer_store_dword v3, off, s[20:23], 0 offset:44 ; 4-byte Folded Spill
	v_cvt_f64_u32_e32 v[2:3], v2
	v_add_u32_e32 v8, 48, v25
	v_add_u32_e32 v11, 56, v25
	v_cvt_f64_u32_e32 v[4:5], v4
	v_min_f64 v[2:3], v[2:3], v[0:1]
	v_cvt_f64_u32_e32 v[8:9], v8
	v_cvt_f64_u32_e32 v[11:12], v11
	v_min_f64 v[6:7], v[6:7], v[0:1]
	v_min_f64 v[4:5], v[4:5], v[0:1]
	buffer_store_dword v25, off, s[20:23], 0 offset:292 ; 4-byte Folded Spill
	v_add_co_u32_e32 v33, vcc, s2, v22
	v_cvt_i32_f64_e32 v25, v[2:3]
	v_min_f64 v[2:3], v[8:9], v[0:1]
	v_min_f64 v[0:1], v[11:12], v[0:1]
	v_cvt_i32_f64_e32 v6, v[6:7]
	v_cvt_i32_f64_e32 v4, v[4:5]
	v_add_u32_e32 v7, 32, v30
	v_add_u32_e32 v11, 64, v30
	v_lshrrev_b32_e32 v29, 3, v7
	v_mul_lo_u32 v5, s9, v25
	v_cvt_i32_f64_e32 v2, v[2:3]
	v_cvt_i32_f64_e32 v0, v[0:1]
	v_mul_lo_u32 v3, s9, v6
	v_mul_lo_u32 v4, s9, v4
	;; [unrolled: 1-line block ×4, first 2 shown]
	buffer_store_dword v29, off, s[20:23], 0 offset:260 ; 4-byte Folded Spill
	v_lshrrev_b32_e32 v29, 3, v11
	buffer_store_dword v29, off, s[20:23], 0 offset:280 ; 4-byte Folded Spill
	v_lshrrev_b32_e32 v29, 3, v26
	buffer_store_dword v3, off, s[20:23], 0 offset:60 ; 4-byte Folded Spill
	v_mul_u32_u24_e32 v3, 33, v30
	buffer_store_dword v29, off, s[20:23], 0 offset:284 ; 4-byte Folded Spill
	v_mov_b32_e32 v29, s3
	v_lshlrev_b32_e32 v32, 7, v45
	v_addc_co_u32_e32 v34, vcc, 0, v29, vcc
	v_lshlrev_b32_e32 v117, 2, v3
	v_add_u32_e32 v3, 0x76a0, v13
	buffer_store_dword v5, off, s[20:23], 0 offset:52 ; 4-byte Folded Spill
	buffer_store_dword v4, off, s[20:23], 0 offset:56 ; 4-byte Folded Spill
	;; [unrolled: 1-line block ×5, first 2 shown]
	s_nop 0
	buffer_store_dword v34, off, s[20:23], 0 offset:76 ; 4-byte Folded Spill
	buffer_store_dword v3, off, s[20:23], 0 offset:80 ; 4-byte Folded Spill
	;; [unrolled: 1-line block ×3, first 2 shown]
	v_add_u32_e32 v3, 0x4200, v32
	v_lshlrev_b32_e32 v8, 1, v7
	v_lshrrev_b32_e32 v9, 4, v7
	buffer_store_dword v3, off, s[20:23], 0 offset:84 ; 4-byte Folded Spill
	v_lshlrev_b32_e32 v3, 5, v30
	v_and_b32_e32 v7, 0x1fc, v7
	v_add_u32_e32 v7, v3, v7
	buffer_store_dword v7, off, s[20:23], 0 offset:12 ; 4-byte Folded Spill
	v_and_b32_e32 v7, 0x1fc, v11
	v_add_u32_e32 v7, v3, v7
	v_and_b32_e32 v13, 0xfc, v30
	buffer_store_dword v7, off, s[20:23], 0 offset:16 ; 4-byte Folded Spill
	v_and_b32_e32 v7, 0x1fc, v26
	v_add_u32_e32 v126, v3, v13
	v_add_u32_e32 v118, v3, v7
	;; [unrolled: 1-line block ×3, first 2 shown]
	buffer_store_dword v3, off, s[20:23], 0 offset:264 ; 4-byte Folded Spill
	v_add_u32_e32 v3, v16, v17
	buffer_store_dword v3, off, s[20:23], 0 offset:268 ; 4-byte Folded Spill
	v_add_u32_e32 v3, v18, v19
	v_add_u32_e32 v23, 0x400, v32
	buffer_store_dword v3, off, s[20:23], 0 offset:272 ; 4-byte Folded Spill
	v_add_u32_e32 v3, v20, v21
	;; [unrolled: 3-line block ×3, first 2 shown]
	v_add_u32_e32 v5, 0xc00, v32
	v_add_u32_e32 v1, 0x1400, v32
	buffer_store_dword v3, off, s[20:23], 0 offset:88 ; 4-byte Folded Spill
	v_add_u32_e32 v3, v31, v24
	v_mov_b32_e32 v10, 0
	v_add_u32_e32 v4, 0x1000, v32
	v_add_u32_e32 v2, 0x1800, v32
	buffer_store_dword v3, off, s[20:23], 0 offset:92 ; 4-byte Folded Spill
	v_add_u32_e32 v3, v31, v5
	v_add_u32_e32 v1, v31, v1
	;; [unrolled: 1-line block ×3, first 2 shown]
	v_lshlrev_b32_e32 v12, 1, v11
	v_lshrrev_b32_e32 v25, 4, v11
	v_lshlrev_b32_e32 v27, 1, v26
	v_lshrrev_b32_e32 v28, 4, v26
	v_mov_b32_e32 v11, v10
	buffer_store_dword v3, off, s[20:23], 0 offset:96 ; 4-byte Folded Spill
	v_add_u32_e32 v3, v31, v4
	buffer_store_dword v1, off, s[20:23], 0 offset:104 ; 4-byte Folded Spill
	v_add_u32_e32 v1, v31, v2
	v_lshrrev_b32_e32 v52, 4, v30
	v_lshlrev_b32_e32 v6, 1, v30
	buffer_store_dword v30, off, s[20:23], 0 offset:288 ; 4-byte Folded Spill
	buffer_store_dword v3, off, s[20:23], 0 offset:100 ; 4-byte Folded Spill
	;; [unrolled: 1-line block ×4, first 2 shown]
	v_add_u32_e32 v0, v31, v0
	v_lshlrev_b32_e32 v120, 2, v25
	v_lshlrev_b32_e32 v58, 2, v28
	;; [unrolled: 1-line block ×3, first 2 shown]
	v_mov_b32_e32 v32, v11
	v_mov_b32_e32 v24, v11
	;; [unrolled: 1-line block ×15, first 2 shown]
	s_movk_i32 s5, 0x54
	s_mov_b32 s9, 0x1010101
	v_lshlrev_b32_e32 v124, 2, v6
	v_lshlrev_b32_e32 v125, 2, v9
	;; [unrolled: 1-line block ×4, first 2 shown]
	v_mov_b32_e32 v91, 4
	v_mov_b32_e32 v31, v10
	;; [unrolled: 1-line block ×16, first 2 shown]
	buffer_store_dword v0, off, s[20:23], 0 offset:112 ; 4-byte Folded Spill
	buffer_store_dword v45, off, s[20:23], 0 offset:132 ; 4-byte Folded Spill
	;; [unrolled: 1-line block ×8, first 2 shown]
	buffer_store_dword v50, off, s[20:23], 0 ; 4-byte Folded Spill
	buffer_store_dword v115, off, s[20:23], 0 offset:4 ; 4-byte Folded Spill
	buffer_store_dword v58, off, s[20:23], 0 offset:8 ; 4-byte Folded Spill
	s_branch .LBB147_7
.LBB147_5:                              ;   in Loop: Header=BB147_7 Depth=1
	buffer_load_dword v52, off, s[20:23], 0 offset:32 ; 4-byte Folded Reload
.LBB147_6:                              ;   in Loop: Header=BB147_7 Depth=1
	buffer_load_dword v45, off, s[20:23], 0 offset:132 ; 4-byte Folded Reload
	buffer_load_dword v118, off, s[20:23], 0 offset:128 ; 4-byte Folded Reload
	;; [unrolled: 1-line block ×6, first 2 shown]
	s_add_i32 s7, s7, 2
	s_cmp_ge_i32 s7, s4
	s_cbranch_scc1 .LBB147_17
.LBB147_7:                              ; =>This Loop Header: Depth=1
                                        ;     Child Loop BB147_8 Depth 2
                                        ;     Child Loop BB147_10 Depth 2
	;; [unrolled: 1-line block ×4, first 2 shown]
	buffer_load_dword v6, off, s[20:23], 0 offset:136 ; 4-byte Folded Reload
	buffer_load_dword v7, off, s[20:23], 0 offset:140 ; 4-byte Folded Reload
	s_mul_i32 s14, s7, 0x54
	s_mul_hi_u32 s15, s7, 0x54
	s_add_u32 s14, s0, s14
	s_addc_u32 s15, s1, s15
	v_mov_b32_e32 v2, s14
	v_mov_b32_e32 v3, s15
	s_waitcnt vmcnt(8)
	v_mad_u64_u32 v[4:5], s[14:15], v52, s5, v[2:3]
	s_waitcnt vmcnt(7)
	v_mul_i32_i24_e32 v0, s4, v45
	v_mad_u64_u32 v[0:1], s[14:15], v0, s5, v[4:5]
	s_waitcnt vmcnt(1)
	v_add_co_u32_e32 v0, vcc, v0, v6
	v_addc_co_u32_e32 v1, vcc, 0, v1, vcc
	global_load_dword v0, v[0:1], off offset:16
	s_waitcnt vmcnt(0)
	ds_write_b32 v7, v0
	buffer_load_dword v0, off, s[20:23], 0 offset:144 ; 4-byte Folded Reload
	s_waitcnt vmcnt(0)
	v_mad_u64_u32 v[0:1], s[14:15], v0, s5, v[4:5]
	v_add_co_u32_e32 v0, vcc, v0, v6
	v_addc_co_u32_e32 v1, vcc, 0, v1, vcc
	global_load_dword v0, v[0:1], off offset:16
	v_add_u32_e32 v1, 0x420, v7
	s_waitcnt vmcnt(0)
	ds_write_b32 v1, v0
	buffer_load_dword v0, off, s[20:23], 0 offset:148 ; 4-byte Folded Reload
	s_waitcnt vmcnt(0)
	v_mad_u64_u32 v[0:1], s[14:15], v0, s5, v[4:5]
	v_add_co_u32_e32 v0, vcc, v0, v6
	v_addc_co_u32_e32 v1, vcc, 0, v1, vcc
	global_load_dword v0, v[0:1], off offset:16
	v_add_u32_e32 v1, 0x840, v7
	;; [unrolled: 9-line block ×14, first 2 shown]
	s_waitcnt vmcnt(0)
	ds_write_b32 v1, v0
	buffer_load_dword v0, off, s[20:23], 0 offset:200 ; 4-byte Folded Reload
	s_waitcnt vmcnt(0)
	v_mad_u64_u32 v[0:1], s[14:15], v0, s5, v[4:5]
	buffer_load_dword v4, off, s[20:23], 0 offset:204 ; 4-byte Folded Reload
	v_add_co_u32_e32 v0, vcc, v0, v6
	v_addc_co_u32_e32 v1, vcc, 0, v1, vcc
	global_load_dword v0, v[0:1], off offset:16
	v_add_u32_e32 v1, 0x3de0, v7
	s_waitcnt vmcnt(0)
	ds_write_b32 v1, v0
	buffer_load_dword v0, off, s[20:23], 0 offset:208 ; 4-byte Folded Reload
	s_waitcnt vmcnt(0)
	v_mad_u64_u32 v[0:1], s[14:15], v0, s5, v[2:3]
	v_mad_u64_u32 v[0:1], s[14:15], v4, s5, v[0:1]
	global_load_dword v0, v[0:1], off offset:80
	s_nop 0
	buffer_load_dword v1, off, s[20:23], 0 offset:212 ; 4-byte Folded Reload
	s_waitcnt vmcnt(0)
	ds_write_b32 v1, v0
	buffer_load_dword v0, off, s[20:23], 0 offset:220 ; 4-byte Folded Reload
	s_waitcnt vmcnt(0)
	v_mad_u64_u32 v[0:1], s[14:15], v0, s5, v[2:3]
	buffer_load_dword v2, off, s[20:23], 0 offset:224 ; 4-byte Folded Reload
	s_waitcnt vmcnt(0)
	v_add_co_u32_e32 v0, vcc, v0, v2
	buffer_load_dword v2, off, s[20:23], 0 offset:228 ; 4-byte Folded Reload
	v_addc_co_u32_e32 v1, vcc, 0, v1, vcc
	s_waitcnt vmcnt(0)
	v_mad_u64_u32 v[2:3], s[14:15], v2, s5, v[0:1]
	global_load_dword v2, v[2:3], off
	s_nop 0
	buffer_load_dword v3, off, s[20:23], 0 offset:264 ; 4-byte Folded Reload
	s_waitcnt vmcnt(0)
	ds_write_b32 v3, v2
	buffer_load_dword v2, off, s[20:23], 0 offset:232 ; 4-byte Folded Reload
	s_waitcnt vmcnt(0)
	v_mad_u64_u32 v[2:3], s[14:15], v2, s5, v[0:1]
	global_load_dword v2, v[2:3], off
	s_nop 0
	buffer_load_dword v3, off, s[20:23], 0 offset:268 ; 4-byte Folded Reload
	s_waitcnt vmcnt(0)
	ds_write_b32 v3, v2
	buffer_load_dword v2, off, s[20:23], 0 offset:236 ; 4-byte Folded Reload
	;; [unrolled: 8-line block ×3, first 2 shown]
	s_waitcnt vmcnt(0)
	v_mad_u64_u32 v[0:1], s[14:15], v2, s5, v[0:1]
	s_lshl_b32 s14, s7, 3
	s_mov_b32 s15, 0
	global_load_dword v0, v[0:1], off
	s_nop 0
	buffer_load_dword v1, off, s[20:23], 0 offset:276 ; 4-byte Folded Reload
	s_waitcnt vmcnt(0)
	ds_write_b32 v1, v0
	buffer_load_dword v0, off, s[20:23], 0 offset:248 ; 4-byte Folded Reload
	buffer_load_dword v1, off, s[20:23], 0 offset:252 ; 4-byte Folded Reload
	s_waitcnt vmcnt(1)
	v_add_u32_e32 v6, s14, v0
	buffer_load_dword v0, off, s[20:23], 0 offset:216 ; 4-byte Folded Reload
	s_waitcnt vmcnt(0)
	v_add_u32_e32 v2, s14, v0
	buffer_load_dword v0, off, s[20:23], 0 offset:40 ; 4-byte Folded Reload
	buffer_load_dword v4, off, s[20:23], 0 offset:72 ; 4-byte Folded Reload
	;; [unrolled: 1-line block ×3, first 2 shown]
	s_waitcnt vmcnt(2)
	v_add_u32_e32 v0, v2, v0
	s_waitcnt vmcnt(0)
	v_mad_i64_i32 v[0:1], s[16:17], v0, 36, v[4:5]
	global_load_dword v0, v[0:1], off offset:4
	s_nop 0
	buffer_load_dword v1, off, s[20:23], 0 offset:244 ; 4-byte Folded Reload
	buffer_load_dword v3, off, s[20:23], 0 offset:256 ; 4-byte Folded Reload
	s_waitcnt vmcnt(0)
	v_add_u32_e32 v1, v1, v3
	ds_write_b32 v1, v0
	buffer_load_dword v0, off, s[20:23], 0 offset:44 ; 4-byte Folded Reload
	s_waitcnt vmcnt(0)
	v_add_u32_e32 v0, v2, v0
	buffer_store_dword v1, off, s[20:23], 0 offset:120 ; 4-byte Folded Spill
	v_mad_i64_i32 v[0:1], s[16:17], v0, 36, v[4:5]
	buffer_store_dword v6, off, s[20:23], 0 offset:116 ; 4-byte Folded Spill
	global_load_dword v0, v[0:1], off offset:4
	s_nop 0
	buffer_load_dword v1, off, s[20:23], 0 offset:88 ; 4-byte Folded Reload
	s_waitcnt vmcnt(0)
	ds_write_b32 v1, v0
	buffer_load_dword v0, off, s[20:23], 0 offset:48 ; 4-byte Folded Reload
	s_waitcnt vmcnt(0)
	v_add_u32_e32 v0, v2, v0
	v_mad_i64_i32 v[0:1], s[16:17], v0, 36, v[4:5]
	global_load_dword v0, v[0:1], off offset:4
	s_nop 0
	buffer_load_dword v1, off, s[20:23], 0 offset:92 ; 4-byte Folded Reload
	s_waitcnt vmcnt(0)
	ds_write_b32 v1, v0
	buffer_load_dword v0, off, s[20:23], 0 offset:52 ; 4-byte Folded Reload
	s_waitcnt vmcnt(0)
	v_add_u32_e32 v0, v2, v0
	v_mad_i64_i32 v[0:1], s[16:17], v0, 36, v[4:5]
	global_load_dword v0, v[0:1], off offset:4
	s_nop 0
	buffer_load_dword v1, off, s[20:23], 0 offset:96 ; 4-byte Folded Reload
	s_waitcnt vmcnt(0)
	ds_write_b32 v1, v0
	buffer_load_dword v0, off, s[20:23], 0 offset:56 ; 4-byte Folded Reload
	s_waitcnt vmcnt(0)
	v_add_u32_e32 v0, v2, v0
	v_mad_i64_i32 v[0:1], s[16:17], v0, 36, v[4:5]
	global_load_dword v0, v[0:1], off offset:4
	s_nop 0
	buffer_load_dword v1, off, s[20:23], 0 offset:100 ; 4-byte Folded Reload
	s_waitcnt vmcnt(0)
	ds_write_b32 v1, v0
	buffer_load_dword v0, off, s[20:23], 0 offset:60 ; 4-byte Folded Reload
	s_waitcnt vmcnt(0)
	v_add_u32_e32 v0, v2, v0
	v_mad_i64_i32 v[0:1], s[16:17], v0, 36, v[4:5]
	global_load_dword v0, v[0:1], off offset:4
	s_nop 0
	buffer_load_dword v1, off, s[20:23], 0 offset:104 ; 4-byte Folded Reload
	s_waitcnt vmcnt(0)
	ds_write_b32 v1, v0
	buffer_load_dword v0, off, s[20:23], 0 offset:64 ; 4-byte Folded Reload
	s_waitcnt vmcnt(0)
	v_add_u32_e32 v0, v2, v0
	v_mad_i64_i32 v[0:1], s[16:17], v0, 36, v[4:5]
	global_load_dword v0, v[0:1], off offset:4
	s_nop 0
	buffer_load_dword v1, off, s[20:23], 0 offset:108 ; 4-byte Folded Reload
	s_waitcnt vmcnt(0)
	ds_write_b32 v1, v0
	buffer_load_dword v0, off, s[20:23], 0 offset:68 ; 4-byte Folded Reload
	s_waitcnt vmcnt(0)
	v_add_u32_e32 v0, v2, v0
	v_mad_i64_i32 v[0:1], s[16:17], v0, 36, v[4:5]
	global_load_dword v0, v[0:1], off offset:4
	s_nop 0
	buffer_load_dword v1, off, s[20:23], 0 offset:112 ; 4-byte Folded Reload
	s_waitcnt vmcnt(0)
	ds_write_b32 v1, v0
	v_mad_u64_u32 v[0:1], s[16:17], v6, 36, s[2:3]
	global_load_dword v0, v[0:1], off
	s_nop 0
	buffer_load_dword v1, off, s[20:23], 0 offset:36 ; 4-byte Folded Reload
	s_waitcnt vmcnt(1)
	v_cvt_f32_f16_e32 v0, v0
	s_waitcnt vmcnt(0)
	ds_write_b32 v1, v0
	s_waitcnt lgkmcnt(0)
	s_barrier
	buffer_load_dword v47, off, s[20:23], 0 offset:84 ; 4-byte Folded Reload
	buffer_load_dword v48, off, s[20:23], 0 offset:80 ; 4-byte Folded Reload
	;; [unrolled: 1-line block ×4, first 2 shown]
.LBB147_8:                              ;   Parent Loop BB147_7 Depth=1
                                        ; =>  This Inner Loop Header: Depth=2
	s_and_b32 s17, s15, 0x3ffffff8
	v_lshl_add_u32 v49, s17, 2, v117
	s_waitcnt vmcnt(2)
	ds_read2_b32 v[45:46], v48 offset1:32
	ds_read_b128 v[6:9], v47
	ds_read_b128 v[2:5], v47 offset:16
	ds_read2_b32 v[0:1], v49 offset1:1
	s_lshr_b32 s17, s15, 2
	s_and_b32 s16, s15, -16
	s_and_b32 s17, s17, 0x3ffffffc
	s_add_i32 s16, s15, s16
	s_waitcnt lgkmcnt(0)
	v_ashrrev_i32_e32 v0, s15, v0
	v_and_b32_e32 v108, 0x3030303, v0
	v_ashrrev_i32_e32 v0, s15, v1
	v_and_b32_e32 v107, 0x3030303, v0
	ds_read2_b32 v[0:1], v49 offset0:2 offset1:3
	s_addk_i32 s17, 0x7280
	v_lshlrev_b32_e32 v123, 2, v52
	ds_read_b128 v[101:104], v47 offset:1024
	v_mov_b32_e32 v98, v117
	s_waitcnt lgkmcnt(1)
	v_ashrrev_i32_e32 v0, s15, v0
	v_and_b32_e32 v96, 0x3030303, v0
	v_ashrrev_i32_e32 v0, s15, v1
	v_and_b32_e32 v97, 0x3030303, v0
	ds_read2_b32 v[0:1], v49 offset0:4 offset1:5
	v_mov_b32_e32 v122, 15
	v_mov_b32_e32 v119, 4
	s_waitcnt lgkmcnt(0)
	v_ashrrev_i32_e32 v0, s15, v0
	v_and_b32_e32 v99, 0x3030303, v0
	v_ashrrev_i32_e32 v0, s15, v1
	v_and_b32_e32 v100, 0x3030303, v0
	ds_read2_b32 v[0:1], v49 offset0:6 offset1:7
	s_waitcnt lgkmcnt(0)
	v_ashrrev_i32_e32 v0, s15, v0
	v_and_b32_e32 v105, 0x3030303, v0
	v_ashrrev_i32_e32 v0, s15, v1
	v_and_b32_e32 v106, 0x3030303, v0
	v_add_u32_e32 v0, 0x6200, v126
	v_add_u32_e32 v73, s16, v0
	v_add3_u32 v0, s17, v123, v124
	ds_read_b32 v63, v0
	v_dot4_i32_i8 v0, v108, v6, 0
	v_dot4_i32_i8 v0, v107, v7, v0
	;; [unrolled: 1-line block ×8, first 2 shown]
	v_add_u32_e32 v0, 0x1080, v49
	ds_read2_b32 v[0:1], v0 offset1:1
	s_waitcnt lgkmcnt(1)
	v_cvt_f32_f16_sdwa v66, v63 dst_sel:DWORD dst_unused:UNUSED_PAD src0_sel:WORD_1
	s_waitcnt lgkmcnt(0)
	v_ashrrev_i32_e32 v0, s15, v0
	v_and_b32_e32 v64, 0x3030303, v0
	v_ashrrev_i32_e32 v0, s15, v1
	v_and_b32_e32 v65, 0x3030303, v0
	v_add_u32_e32 v0, 0x1088, v49
	ds_read2_b32 v[0:1], v0 offset1:1
	s_waitcnt lgkmcnt(0)
	v_ashrrev_i32_e32 v0, s15, v0
	v_and_b32_e32 v67, 0x3030303, v0
	v_ashrrev_i32_e32 v0, s15, v1
	v_and_b32_e32 v68, 0x3030303, v0
	v_add_u32_e32 v0, 0x1090, v49
	ds_read2_b32 v[0:1], v0 offset1:1
	;; [unrolled: 7-line block ×3, first 2 shown]
	s_waitcnt lgkmcnt(0)
	v_ashrrev_i32_e32 v0, s15, v0
	v_and_b32_e32 v71, 0x3030303, v0
	v_ashrrev_i32_e32 v0, s15, v1
	v_and_b32_e32 v72, 0x3030303, v0
	s_waitcnt vmcnt(1)
	v_add_u32_e32 v0, 0x6600, v12
	v_add_u32_e32 v57, s16, v0
	v_add3_u32 v0, s17, v125, v121
	ds_read_b32 v81, v0
	v_dot4_i32_i8 v0, v64, v6, 0
	v_dot4_i32_i8 v0, v65, v7, v0
	;; [unrolled: 1-line block ×8, first 2 shown]
	v_add_u32_e32 v0, 0x2100, v49
	ds_read2_b32 v[15:16], v0 offset1:1
	s_waitcnt lgkmcnt(1)
	v_cvt_f32_f16_sdwa v1, v81 dst_sel:DWORD dst_unused:UNUSED_PAD src0_sel:WORD_1
	s_waitcnt lgkmcnt(0)
	v_ashrrev_i32_e32 v0, s15, v15
	v_and_b32_e32 v83, 0x3030303, v0
	v_ashrrev_i32_e32 v0, s15, v16
	v_and_b32_e32 v80, 0x3030303, v0
	v_add_u32_e32 v0, 0x2108, v49
	ds_read2_b32 v[15:16], v0 offset1:1
	s_waitcnt lgkmcnt(0)
	v_ashrrev_i32_e32 v0, s15, v15
	v_and_b32_e32 v12, 0x3030303, v0
	v_ashrrev_i32_e32 v0, s15, v16
	v_and_b32_e32 v59, 0x3030303, v0
	v_add_u32_e32 v0, 0x2110, v49
	ds_read2_b32 v[15:16], v0 offset1:1
	;; [unrolled: 7-line block ×3, first 2 shown]
	s_waitcnt lgkmcnt(0)
	v_ashrrev_i32_e32 v0, s15, v15
	v_and_b32_e32 v62, 0x3030303, v0
	v_ashrrev_i32_e32 v0, s15, v16
	v_and_b32_e32 v79, 0x3030303, v0
	s_waitcnt vmcnt(0)
	v_add_u32_e32 v0, 0x6a00, v51
	v_add_u32_e32 v84, s16, v0
	v_add3_u32 v0, s17, v120, v50
	ds_read_b32 v87, v0
	v_dot4_i32_i8 v0, v83, v6, 0
	v_dot4_i32_i8 v0, v80, v7, v0
	;; [unrolled: 1-line block ×8, first 2 shown]
	v_add_u32_e32 v0, 0x3180, v49
	ds_read2_b32 v[15:16], v0 offset1:1
	s_waitcnt lgkmcnt(1)
	v_cvt_f32_f16_sdwa v95, v87 dst_sel:DWORD dst_unused:UNUSED_PAD src0_sel:WORD_1
	s_waitcnt lgkmcnt(0)
	v_ashrrev_i32_e32 v0, s15, v15
	v_and_b32_e32 v78, 0x3030303, v0
	v_ashrrev_i32_e32 v0, s15, v16
	v_and_b32_e32 v77, 0x3030303, v0
	v_add_u32_e32 v0, 0x3188, v49
	ds_read2_b32 v[15:16], v0 offset1:1
	s_waitcnt lgkmcnt(0)
	v_ashrrev_i32_e32 v0, s15, v15
	v_and_b32_e32 v76, 0x3030303, v0
	v_ashrrev_i32_e32 v0, s15, v16
	v_and_b32_e32 v75, 0x3030303, v0
	v_add_u32_e32 v0, 0x3190, v49
	ds_read2_b32 v[15:16], v0 offset1:1
	;; [unrolled: 7-line block ×3, first 2 shown]
	s_waitcnt lgkmcnt(0)
	v_ashrrev_i32_e32 v0, s15, v15
	v_add_u32_e32 v15, 0x6e00, v118
	v_add_u32_e32 v56, s16, v15
	v_add3_u32 v15, s17, v58, v115
	ds_read_b32 v49, v15
	v_dot4_i32_i8 v15, v78, v6, 0
	v_dot4_i32_i8 v15, v77, v7, v15
	;; [unrolled: 1-line block ×5, first 2 shown]
	v_and_b32_e32 v51, 0x3030303, v0
	v_ashrrev_i32_e32 v0, s15, v16
	v_dot4_i32_i8 v15, v52, v3, v15
	ds_read_b128 v[114:117], v47 offset:1040
	v_and_b32_e32 v0, 0x3030303, v0
	v_dot4_i32_i8 v15, v51, v4, v15
	v_dot4_i32_i8 v112, v0, v5, v15
	;; [unrolled: 1-line block ×6, first 2 shown]
	s_waitcnt lgkmcnt(0)
	v_dot4_i32_i8 v15, v99, v114, 0
	v_dot4_i32_i8 v15, v100, v115, v15
	;; [unrolled: 1-line block ×4, first 2 shown]
	ds_read_u16 v15, v73
	v_cvt_f32_f16_sdwa v50, v49 dst_sel:DWORD dst_unused:UNUSED_PAD src0_sel:WORD_1
	s_waitcnt lgkmcnt(0)
	v_bfe_u32 v73, v15, 4, 4
	v_mul_lo_u32 v90, v73, s9
	v_lshrrev_b32_sdwa v85, v91, v15 dst_sel:DWORD dst_unused:UNUSED_PAD src0_sel:DWORD src1_sel:BYTE_1
	v_mul_lo_u32 v89, v85, s9
	v_and_b32_e32 v85, 15, v15
	v_dot4_i32_i8 v73, v90, v6, 0
	v_dot4_i32_i8 v73, v90, v7, v73
	;; [unrolled: 1-line block ×8, first 2 shown]
	v_and_b32_sdwa v15, v15, v122 dst_sel:DWORD dst_unused:UNUSED_PAD src0_sel:BYTE_1 src1_sel:DWORD
	v_and_b32_e32 v91, 0xffff, v15
	v_cvt_f32_i32_e32 v15, v73
	v_and_b32_e32 v92, 0xffff, v85
	v_mul_lo_u32 v16, v16, v91
	v_mul_f32_e32 v73, v66, v15
	v_dot4_i32_i8 v15, v90, v101, 0
	v_dot4_i32_i8 v15, v90, v102, v15
	;; [unrolled: 1-line block ×8, first 2 shown]
	v_mul_lo_u32 v15, v55, v92
	v_mad_u64_u32 v[85:86], s[16:17], v58, v92, v[16:17]
                                        ; kill: def $vgpr16 killed $sgpr0 killed $exec
	v_mad_u64_u32 v[15:16], s[16:17], v54, v91, v[15:16]
	v_cvt_f32_i32_e32 v54, v88
	v_cvt_f32_i32_e32 v16, v85
	;; [unrolled: 1-line block ×3, first 2 shown]
	v_mul_f32_e32 v54, v66, v54
	v_fma_mix_f32 v16, v63, v16, -v54 op_sel_hi:[1,0,0]
	v_fma_mix_f32 v15, v63, v15, -v73 op_sel_hi:[1,0,0]
	v_fma_f32 v11, v45, v15, v11
	v_dot4_i32_i8 v15, v64, v101, 0
	v_dot4_i32_i8 v15, v65, v102, v15
	;; [unrolled: 1-line block ×7, first 2 shown]
	v_fmac_f32_e32 v10, v46, v16
	v_dot4_i32_i8 v16, v72, v117, v15
	ds_read_u16 v15, v57
	s_waitcnt lgkmcnt(0)
	v_bfe_u32 v55, v15, 4, 4
	v_mul_lo_u32 v94, v55, s9
	v_lshrrev_b32_sdwa v57, v119, v15 dst_sel:DWORD dst_unused:UNUSED_PAD src0_sel:DWORD src1_sel:BYTE_1
	v_mul_lo_u32 v93, v57, s9
	v_and_b32_e32 v57, 15, v15
	v_dot4_i32_i8 v55, v94, v6, 0
	v_dot4_i32_i8 v55, v94, v7, v55
	;; [unrolled: 1-line block ×8, first 2 shown]
	v_and_b32_sdwa v15, v15, v122 dst_sel:DWORD dst_unused:UNUSED_PAD src0_sel:BYTE_1 src1_sel:DWORD
	v_and_b32_e32 v109, 0xffff, v15
	v_cvt_f32_i32_e32 v15, v55
	v_and_b32_e32 v127, 0xffff, v57
	v_mul_lo_u32 v16, v16, v109
	v_mul_f32_e32 v57, v1, v15
	v_dot4_i32_i8 v15, v94, v101, 0
	v_dot4_i32_i8 v15, v94, v102, v15
	;; [unrolled: 1-line block ×8, first 2 shown]
	v_mul_lo_u32 v15, v82, v127
	v_mad_u64_u32 v[54:55], s[16:17], v54, v127, v[16:17]
                                        ; kill: def $vgpr16 killed $sgpr0 killed $exec
	v_mad_u64_u32 v[15:16], s[16:17], v74, v109, v[15:16]
	v_cvt_f32_i32_e32 v16, v54
	v_cvt_f32_i32_e32 v54, v58
	;; [unrolled: 1-line block ×3, first 2 shown]
	v_mul_f32_e32 v54, v1, v54
	v_fma_mix_f32 v15, v81, v15, -v57 op_sel_hi:[1,0,0]
	v_fma_f32 v40, v45, v15, v40
	v_dot4_i32_i8 v15, v83, v101, 0
	v_dot4_i32_i8 v15, v80, v102, v15
	;; [unrolled: 1-line block ×3, first 2 shown]
	v_fma_mix_f32 v16, v81, v16, -v54 op_sel_hi:[1,0,0]
	v_dot4_i32_i8 v54, v59, v104, v15
	v_dot4_i32_i8 v15, v60, v114, 0
	;; [unrolled: 1-line block ×4, first 2 shown]
	v_fmac_f32_e32 v39, v46, v16
	v_dot4_i32_i8 v16, v79, v117, v15
	ds_read_u16 v15, v84
	s_waitcnt lgkmcnt(0)
	v_bfe_u32 v55, v15, 4, 4
	v_mul_lo_u32 v85, v55, s9
	v_lshrrev_b32_sdwa v57, v119, v15 dst_sel:DWORD dst_unused:UNUSED_PAD src0_sel:DWORD src1_sel:BYTE_1
	v_mul_lo_u32 v84, v57, s9
	v_and_b32_e32 v57, 15, v15
	v_dot4_i32_i8 v55, v85, v6, 0
	v_dot4_i32_i8 v55, v85, v7, v55
	;; [unrolled: 1-line block ×8, first 2 shown]
	v_and_b32_sdwa v15, v15, v122 dst_sel:DWORD dst_unused:UNUSED_PAD src0_sel:BYTE_1 src1_sel:DWORD
	v_and_b32_e32 v86, 0xffff, v15
	v_cvt_f32_i32_e32 v15, v55
	v_and_b32_e32 v88, 0xffff, v57
	v_mul_lo_u32 v16, v16, v86
	v_mul_f32_e32 v57, v95, v15
	v_dot4_i32_i8 v15, v85, v101, 0
	v_dot4_i32_i8 v15, v85, v102, v15
	;; [unrolled: 1-line block ×8, first 2 shown]
	v_mul_lo_u32 v15, v111, v88
	v_mad_u64_u32 v[54:55], s[16:17], v54, v88, v[16:17]
                                        ; kill: def $vgpr16 killed $sgpr0 killed $exec
	v_mad_u64_u32 v[15:16], s[16:17], v110, v86, v[15:16]
	v_cvt_f32_i32_e32 v16, v54
	v_cvt_f32_i32_e32 v54, v58
	v_cvt_f32_i32_e32 v15, v15
	v_mul_f32_e32 v54, v95, v54
	v_fma_mix_f32 v16, v87, v16, -v54 op_sel_hi:[1,0,0]
	ds_read_u16 v54, v56
	v_fmac_f32_e32 v41, v46, v16
	v_dot4_i32_i8 v16, v53, v114, 0
	v_dot4_i32_i8 v16, v52, v115, v16
	;; [unrolled: 1-line block ×3, first 2 shown]
	s_waitcnt lgkmcnt(0)
	v_bfe_u32 v55, v54, 4, 4
	v_mul_lo_u32 v55, v55, s9
	v_fma_mix_f32 v15, v87, v15, -v57 op_sel_hi:[1,0,0]
	v_dot4_i32_i8 v16, v0, v117, v16
	v_fma_f32 v42, v45, v15, v42
	v_dot4_i32_i8 v6, v55, v6, 0
	v_dot4_i32_i8 v6, v55, v7, v6
	v_lshrrev_b32_sdwa v7, v119, v54 dst_sel:DWORD dst_unused:UNUSED_PAD src0_sel:DWORD src1_sel:BYTE_1
	v_mul_lo_u32 v73, v7, s9
	v_dot4_i32_i8 v6, v55, v8, v6
	v_dot4_i32_i8 v6, v55, v9, v6
	;; [unrolled: 1-line block ×7, first 2 shown]
	v_cvt_f32_i32_e32 v2, v2
	v_and_b32_sdwa v4, v54, v122 dst_sel:DWORD dst_unused:UNUSED_PAD src0_sel:BYTE_1 src1_sel:DWORD
	v_and_b32_e32 v3, 15, v54
	v_and_b32_e32 v54, 0xffff, v4
	v_mul_f32_e32 v6, v50, v2
	v_dot4_i32_i8 v2, v55, v101, 0
	v_dot4_i32_i8 v2, v55, v102, v2
	;; [unrolled: 1-line block ×3, first 2 shown]
	v_and_b32_e32 v82, 0xffff, v3
	v_dot4_i32_i8 v2, v55, v104, v2
	v_mul_lo_u32 v3, v16, v54
	v_dot4_i32_i8 v15, v77, v102, v15
	v_dot4_i32_i8 v2, v73, v114, v2
	v_dot4_i32_i8 v15, v76, v103, v15
	v_dot4_i32_i8 v2, v73, v115, v2
	v_dot4_i32_i8 v15, v75, v104, v15
	v_dot4_i32_i8 v2, v73, v116, v2
                                        ; kill: def $vgpr4 killed $sgpr0 killed $exec
	v_dot4_i32_i8 v7, v73, v117, v2
	v_mul_lo_u32 v2, v113, v82
	v_mad_u64_u32 v[3:4], s[16:17], v15, v82, v[3:4]
	v_mov_b32_e32 v117, v98
	v_mad_u64_u32 v[4:5], s[16:17], v112, v54, v[2:3]
	v_cvt_f32_i32_e32 v3, v3
	v_cvt_f32_i32_e32 v2, v4
	;; [unrolled: 1-line block ×3, first 2 shown]
	v_fma_mix_f32 v2, v49, v2, -v6 op_sel_hi:[1,0,0]
	v_mul_f32_e32 v4, v50, v4
	v_fma_mix_f32 v3, v49, v3, -v4 op_sel_hi:[1,0,0]
	v_fma_f32 v44, v45, v2, v44
	v_fmac_f32_e32 v43, v46, v3
	ds_read2_b32 v[45:46], v48 offset0:64 offset1:96
	ds_read_b128 v[6:9], v47 offset:2048
	ds_read_b128 v[2:5], v47 offset:2064
	s_waitcnt lgkmcnt(1)
	v_dot4_i32_i8 v15, v108, v6, 0
	v_dot4_i32_i8 v16, v90, v6, 0
	v_dot4_i32_i8 v15, v107, v7, v15
	v_dot4_i32_i8 v16, v90, v7, v16
	v_dot4_i32_i8 v15, v96, v8, v15
	v_dot4_i32_i8 v16, v90, v8, v16
	v_dot4_i32_i8 v15, v97, v9, v15
	v_dot4_i32_i8 v16, v90, v9, v16
	v_mul_lo_u32 v15, v15, v92
	s_waitcnt lgkmcnt(0)
	v_dot4_i32_i8 v56, v99, v2, 0
	v_dot4_i32_i8 v16, v89, v2, v16
	;; [unrolled: 1-line block ×8, first 2 shown]
                                        ; kill: def $vgpr16 killed $sgpr0 killed $exec
	v_mad_u64_u32 v[15:16], s[16:17], v56, v91, v[15:16]
	v_dot4_i32_i8 v16, v94, v6, 0
	v_dot4_i32_i8 v16, v94, v7, v16
	v_cvt_f32_i32_e32 v113, v15
	v_cvt_f32_i32_e32 v15, v57
	v_dot4_i32_i8 v16, v94, v8, v16
	v_dot4_i32_i8 v16, v94, v9, v16
	;; [unrolled: 1-line block ×3, first 2 shown]
	v_mul_f32_e32 v114, v66, v15
	v_dot4_i32_i8 v15, v64, v6, 0
	v_dot4_i32_i8 v15, v65, v7, v15
	;; [unrolled: 1-line block ×4, first 2 shown]
	v_mul_lo_u32 v15, v15, v127
	v_dot4_i32_i8 v16, v93, v2, v16
	v_dot4_i32_i8 v56, v70, v3, v56
	;; [unrolled: 1-line block ×7, first 2 shown]
                                        ; kill: def $vgpr16 killed $sgpr0 killed $exec
	v_mad_u64_u32 v[15:16], s[16:17], v56, v109, v[15:16]
	v_dot4_i32_i8 v16, v85, v6, 0
	v_dot4_i32_i8 v16, v85, v7, v16
	v_cvt_f32_i32_e32 v111, v15
	v_cvt_f32_i32_e32 v15, v57
	v_dot4_i32_i8 v16, v85, v8, v16
	v_dot4_i32_i8 v16, v85, v9, v16
	;; [unrolled: 1-line block ×3, first 2 shown]
	v_mul_f32_e32 v112, v1, v15
	v_dot4_i32_i8 v15, v83, v6, 0
	v_dot4_i32_i8 v15, v80, v7, v15
	v_dot4_i32_i8 v15, v12, v8, v15
	v_dot4_i32_i8 v15, v59, v9, v15
	v_mul_lo_u32 v15, v15, v88
	v_dot4_i32_i8 v16, v84, v2, v16
	v_dot4_i32_i8 v56, v61, v3, v56
	;; [unrolled: 1-line block ×7, first 2 shown]
                                        ; kill: def $vgpr16 killed $sgpr0 killed $exec
	v_mad_u64_u32 v[15:16], s[16:17], v56, v86, v[15:16]
	v_cvt_f32_i32_e32 v74, v15
	v_cvt_f32_i32_e32 v15, v57
	v_mul_f32_e32 v110, v95, v15
	v_dot4_i32_i8 v15, v78, v6, 0
	v_dot4_i32_i8 v6, v55, v6, 0
	;; [unrolled: 1-line block ×8, first 2 shown]
	v_mul_lo_u32 v6, v7, v82
	v_dot4_i32_i8 v7, v53, v2, 0
	v_dot4_i32_i8 v2, v73, v2, v8
	;; [unrolled: 1-line block ×8, first 2 shown]
	v_mad_u64_u32 v[2:3], s[16:17], v3, v54, v[6:7]
	v_cvt_f32_i32_e32 v57, v2
	v_cvt_f32_i32_e32 v2, v4
	v_mul_f32_e32 v115, v50, v2
	ds_read_b128 v[6:9], v47 offset:3072
	ds_read_b128 v[2:5], v47 offset:3088
	s_waitcnt lgkmcnt(1)
	v_dot4_i32_i8 v15, v108, v6, 0
	v_dot4_i32_i8 v16, v90, v6, 0
	;; [unrolled: 1-line block ×8, first 2 shown]
	v_mul_lo_u32 v15, v15, v92
	s_waitcnt lgkmcnt(0)
	v_dot4_i32_i8 v56, v99, v2, 0
	v_dot4_i32_i8 v16, v89, v2, v16
	;; [unrolled: 1-line block ×8, first 2 shown]
                                        ; kill: def $vgpr16 killed $sgpr0 killed $exec
	v_mad_u64_u32 v[15:16], s[16:17], v56, v91, v[15:16]
	v_cvt_f32_i32_e32 v16, v58
	v_dot4_i32_i8 v56, v69, v2, 0
	v_cvt_f32_i32_e32 v15, v15
	v_dot4_i32_i8 v56, v70, v3, v56
	v_mul_f32_e32 v16, v66, v16
	v_dot4_i32_i8 v56, v71, v4, v56
	v_fma_mix_f32 v15, v63, v15, -v16 op_sel_hi:[1,0,0]
	v_fma_mix_f32 v16, v63, v113, -v114 op_sel_hi:[1,0,0]
	v_fma_f32 v32, v45, v16, v32
	v_fmac_f32_e32 v31, v46, v15
	v_dot4_i32_i8 v15, v64, v6, 0
	v_dot4_i32_i8 v16, v94, v6, 0
	;; [unrolled: 1-line block ×8, first 2 shown]
	v_mul_lo_u32 v15, v15, v127
	v_dot4_i32_i8 v16, v93, v2, v16
	v_dot4_i32_i8 v16, v93, v3, v16
	;; [unrolled: 1-line block ×5, first 2 shown]
                                        ; kill: def $vgpr16 killed $sgpr0 killed $exec
	v_mad_u64_u32 v[15:16], s[16:17], v56, v109, v[15:16]
	v_cvt_f32_i32_e32 v16, v58
	v_dot4_i32_i8 v56, v60, v2, 0
	v_cvt_f32_i32_e32 v15, v15
	v_dot4_i32_i8 v56, v61, v3, v56
	v_mul_f32_e32 v16, v1, v16
	v_dot4_i32_i8 v56, v62, v4, v56
	v_fma_mix_f32 v15, v81, v15, -v16 op_sel_hi:[1,0,0]
	v_fma_mix_f32 v16, v81, v111, -v112 op_sel_hi:[1,0,0]
	v_fma_f32 v34, v45, v16, v34
	v_fmac_f32_e32 v33, v46, v15
	v_dot4_i32_i8 v15, v83, v6, 0
	v_dot4_i32_i8 v16, v85, v6, 0
	;; [unrolled: 1-line block ×8, first 2 shown]
	v_mul_lo_u32 v15, v15, v88
	v_dot4_i32_i8 v16, v84, v2, v16
	v_dot4_i32_i8 v16, v84, v3, v16
	;; [unrolled: 1-line block ×5, first 2 shown]
                                        ; kill: def $vgpr16 killed $sgpr0 killed $exec
	v_mad_u64_u32 v[15:16], s[16:17], v56, v86, v[15:16]
	v_cvt_f32_i32_e32 v16, v58
	v_cvt_f32_i32_e32 v15, v15
	v_mul_f32_e32 v16, v95, v16
	v_fma_mix_f32 v15, v87, v15, -v16 op_sel_hi:[1,0,0]
	v_fmac_f32_e32 v35, v46, v15
	v_dot4_i32_i8 v15, v78, v6, 0
	v_dot4_i32_i8 v6, v55, v6, 0
	;; [unrolled: 1-line block ×8, first 2 shown]
	v_mul_lo_u32 v6, v7, v82
	v_dot4_i32_i8 v7, v53, v2, 0
	v_dot4_i32_i8 v2, v73, v2, v8
	;; [unrolled: 1-line block ×8, first 2 shown]
	v_mad_u64_u32 v[2:3], s[16:17], v3, v54, v[6:7]
	v_cvt_f32_i32_e32 v3, v4
	v_fma_mix_f32 v16, v87, v74, -v110 op_sel_hi:[1,0,0]
	v_cvt_f32_i32_e32 v2, v2
	v_fma_f32 v36, v45, v16, v36
	v_mul_f32_e32 v3, v50, v3
	v_fma_mix_f32 v2, v49, v2, -v3 op_sel_hi:[1,0,0]
	v_fma_mix_f32 v3, v49, v57, -v115 op_sel_hi:[1,0,0]
	buffer_load_dword v115, off, s[20:23], 0 offset:4 ; 4-byte Folded Reload
	v_fma_f32 v38, v45, v3, v38
	v_fmac_f32_e32 v37, v46, v2
	ds_read2_b32 v[45:46], v48 offset0:128 offset1:160
	ds_read_b128 v[6:9], v47 offset:4096
	ds_read_b128 v[2:5], v47 offset:4112
	s_waitcnt lgkmcnt(1)
	v_dot4_i32_i8 v15, v108, v6, 0
	v_dot4_i32_i8 v16, v90, v6, 0
	;; [unrolled: 1-line block ×8, first 2 shown]
	v_mul_lo_u32 v15, v15, v92
	s_waitcnt lgkmcnt(0)
	v_dot4_i32_i8 v56, v99, v2, 0
	v_dot4_i32_i8 v16, v89, v2, v16
	;; [unrolled: 1-line block ×8, first 2 shown]
                                        ; kill: def $vgpr16 killed $sgpr0 killed $exec
	v_dot4_i32_i8 v101, v60, v2, 0
	v_mad_u64_u32 v[15:16], s[16:17], v56, v91, v[15:16]
	v_dot4_i32_i8 v16, v94, v6, 0
	v_dot4_i32_i8 v16, v94, v7, v16
	v_cvt_f32_i32_e32 v56, v15
	v_cvt_f32_i32_e32 v15, v57
	v_dot4_i32_i8 v16, v94, v8, v16
	v_dot4_i32_i8 v16, v94, v9, v16
	;; [unrolled: 1-line block ×3, first 2 shown]
	v_mul_f32_e32 v58, v66, v15
	v_dot4_i32_i8 v15, v64, v6, 0
	v_dot4_i32_i8 v15, v65, v7, v15
	;; [unrolled: 1-line block ×4, first 2 shown]
	v_mul_lo_u32 v15, v15, v127
	v_dot4_i32_i8 v16, v93, v2, v16
	v_dot4_i32_i8 v57, v70, v3, v57
	;; [unrolled: 1-line block ×7, first 2 shown]
                                        ; kill: def $vgpr16 killed $sgpr0 killed $exec
	v_dot4_i32_i8 v101, v61, v3, v101
	v_mad_u64_u32 v[15:16], s[16:17], v57, v109, v[15:16]
	v_dot4_i32_i8 v57, v83, v6, 0
	v_dot4_i32_i8 v57, v80, v7, v57
	;; [unrolled: 1-line block ×4, first 2 shown]
	v_mul_lo_u32 v57, v57, v88
	v_dot4_i32_i8 v101, v62, v4, v101
	v_dot4_i32_i8 v101, v79, v5, v101
	v_cvt_f32_i32_e32 v16, v74
	v_mad_u64_u32 v[101:102], s[16:17], v101, v86, v[57:58]
	v_dot4_i32_i8 v74, v85, v6, 0
	v_dot4_i32_i8 v74, v85, v7, v74
	v_cvt_f32_i32_e32 v57, v101
	v_dot4_i32_i8 v101, v78, v6, 0
	v_dot4_i32_i8 v6, v55, v6, 0
	;; [unrolled: 1-line block ×10, first 2 shown]
	v_mul_lo_u32 v6, v7, v82
	v_dot4_i32_i8 v7, v53, v2, 0
	v_dot4_i32_i8 v74, v84, v2, v74
	;; [unrolled: 1-line block ×11, first 2 shown]
	v_mad_u64_u32 v[2:3], s[16:17], v3, v54, v[6:7]
	v_dot4_i32_i8 v74, v84, v5, v74
	v_fma_mix_f32 v56, v63, v56, -v58 op_sel_hi:[1,0,0]
	v_cvt_f32_i32_e32 v110, v2
	v_cvt_f32_i32_e32 v2, v4
	v_fma_f32 v24, v45, v56, v24
	v_cvt_f32_i32_e32 v15, v15
	v_mul_f32_e32 v16, v1, v16
	v_mul_f32_e32 v111, v50, v2
	ds_read_b128 v[6:9], v47 offset:5120
	ds_read_b128 v[2:5], v47 offset:5136
	v_fma_mix_f32 v15, v81, v15, -v16 op_sel_hi:[1,0,0]
	v_fma_f32 v26, v45, v15, v26
	v_cvt_f32_i32_e32 v74, v74
	s_waitcnt lgkmcnt(1)
	v_dot4_i32_i8 v101, v108, v6, 0
	v_dot4_i32_i8 v102, v90, v6, 0
	;; [unrolled: 1-line block ×8, first 2 shown]
	v_mul_lo_u32 v101, v101, v92
	s_waitcnt lgkmcnt(0)
	v_dot4_i32_i8 v103, v99, v2, 0
	v_dot4_i32_i8 v102, v89, v2, v102
	;; [unrolled: 1-line block ×8, first 2 shown]
                                        ; kill: def $vgpr102 killed $sgpr0 killed $exec
	v_dot4_i32_i8 v56, v64, v6, 0
	v_mad_u64_u32 v[101:102], s[16:17], v103, v91, v[101:102]
	v_cvt_f32_i32_e32 v102, v104
	v_dot4_i32_i8 v56, v65, v7, v56
	v_cvt_f32_i32_e32 v101, v101
	v_dot4_i32_i8 v56, v67, v8, v56
	v_mul_f32_e32 v102, v66, v102
	v_dot4_i32_i8 v58, v94, v6, 0
	v_fma_mix_f32 v101, v63, v101, -v102 op_sel_hi:[1,0,0]
	v_dot4_i32_i8 v56, v68, v9, v56
	v_fmac_f32_e32 v23, v46, v101
	v_dot4_i32_i8 v58, v94, v7, v58
	v_mul_lo_u32 v56, v56, v127
	v_dot4_i32_i8 v101, v69, v2, 0
	v_dot4_i32_i8 v58, v94, v8, v58
	v_dot4_i32_i8 v101, v70, v3, v101
	v_dot4_i32_i8 v58, v94, v9, v58
	v_dot4_i32_i8 v101, v71, v4, v101
	v_dot4_i32_i8 v58, v93, v2, v58
	v_dot4_i32_i8 v101, v72, v5, v101
	v_dot4_i32_i8 v58, v93, v3, v58
	v_mad_u64_u32 v[101:102], s[16:17], v101, v109, v[56:57]
	v_dot4_i32_i8 v58, v93, v4, v58
	v_dot4_i32_i8 v58, v93, v5, v58
	v_cvt_f32_i32_e32 v58, v58
	v_cvt_f32_i32_e32 v56, v101
	v_dot4_i32_i8 v15, v83, v6, 0
	v_dot4_i32_i8 v16, v85, v6, 0
	;; [unrolled: 1-line block ×4, first 2 shown]
	v_mul_f32_e32 v58, v1, v58
	v_dot4_i32_i8 v15, v12, v8, v15
	v_dot4_i32_i8 v16, v85, v8, v16
	v_fma_mix_f32 v56, v81, v56, -v58 op_sel_hi:[1,0,0]
	v_dot4_i32_i8 v15, v59, v9, v15
	v_dot4_i32_i8 v16, v85, v9, v16
	v_fmac_f32_e32 v25, v46, v56
	v_mul_lo_u32 v15, v15, v88
	v_dot4_i32_i8 v56, v60, v2, 0
	v_dot4_i32_i8 v16, v84, v2, v16
	;; [unrolled: 1-line block ×8, first 2 shown]
                                        ; kill: def $vgpr16 killed $sgpr0 killed $exec
	v_mul_f32_e32 v74, v95, v74
	v_mad_u64_u32 v[15:16], s[16:17], v56, v86, v[15:16]
	v_cvt_f32_i32_e32 v16, v58
	v_cvt_f32_i32_e32 v15, v15
	v_mul_f32_e32 v16, v95, v16
	v_fma_mix_f32 v15, v87, v15, -v16 op_sel_hi:[1,0,0]
	v_fmac_f32_e32 v27, v46, v15
	v_dot4_i32_i8 v15, v78, v6, 0
	v_dot4_i32_i8 v6, v55, v6, 0
	;; [unrolled: 1-line block ×8, first 2 shown]
	v_mul_lo_u32 v6, v7, v82
	v_dot4_i32_i8 v7, v53, v2, 0
	v_dot4_i32_i8 v2, v73, v2, v8
	;; [unrolled: 1-line block ×8, first 2 shown]
	v_mad_u64_u32 v[2:3], s[16:17], v3, v54, v[6:7]
	v_cvt_f32_i32_e32 v3, v4
	v_fma_mix_f32 v16, v87, v57, -v74 op_sel_hi:[1,0,0]
	v_cvt_f32_i32_e32 v2, v2
	v_fma_f32 v28, v45, v16, v28
	v_mul_f32_e32 v3, v50, v3
	v_fma_mix_f32 v2, v49, v2, -v3 op_sel_hi:[1,0,0]
	v_fma_mix_f32 v3, v49, v110, -v111 op_sel_hi:[1,0,0]
	v_fma_f32 v30, v45, v3, v30
	v_fmac_f32_e32 v29, v46, v2
	ds_read2_b32 v[45:46], v48 offset0:192 offset1:224
	ds_read_b128 v[6:9], v47 offset:6144
	ds_read_b128 v[2:5], v47 offset:6160
	v_add_u32_e32 v48, 4, v48
	s_waitcnt lgkmcnt(1)
	v_dot4_i32_i8 v15, v108, v6, 0
	v_dot4_i32_i8 v16, v90, v6, 0
	;; [unrolled: 1-line block ×8, first 2 shown]
	v_mul_lo_u32 v15, v15, v92
	s_waitcnt lgkmcnt(0)
	v_dot4_i32_i8 v56, v99, v2, 0
	v_dot4_i32_i8 v16, v89, v2, v16
	;; [unrolled: 1-line block ×8, first 2 shown]
                                        ; kill: def $vgpr16 killed $sgpr0 killed $exec
	v_dot4_i32_i8 v74, v60, v2, 0
	v_mad_u64_u32 v[15:16], s[16:17], v56, v91, v[15:16]
	v_dot4_i32_i8 v16, v94, v6, 0
	v_dot4_i32_i8 v16, v94, v7, v16
	v_cvt_f32_i32_e32 v58, v15
	v_cvt_f32_i32_e32 v15, v57
	v_dot4_i32_i8 v16, v94, v8, v16
	v_dot4_i32_i8 v16, v94, v9, v16
	;; [unrolled: 1-line block ×3, first 2 shown]
	v_mul_f32_e32 v111, v66, v15
	v_dot4_i32_i8 v15, v64, v6, 0
	v_dot4_i32_i8 v15, v65, v7, v15
	;; [unrolled: 1-line block ×4, first 2 shown]
	v_mul_lo_u32 v15, v15, v127
	v_dot4_i32_i8 v16, v93, v2, v16
	v_dot4_i32_i8 v56, v70, v3, v56
	;; [unrolled: 1-line block ×7, first 2 shown]
                                        ; kill: def $vgpr16 killed $sgpr0 killed $exec
	v_dot4_i32_i8 v74, v61, v3, v74
	v_mad_u64_u32 v[15:16], s[16:17], v56, v109, v[15:16]
	v_dot4_i32_i8 v16, v85, v6, 0
	v_dot4_i32_i8 v16, v85, v7, v16
	v_cvt_f32_i32_e32 v56, v15
	v_cvt_f32_i32_e32 v15, v57
	v_dot4_i32_i8 v16, v85, v8, v16
	v_dot4_i32_i8 v16, v85, v9, v16
	;; [unrolled: 1-line block ×3, first 2 shown]
	v_mul_f32_e32 v57, v1, v15
	v_dot4_i32_i8 v15, v83, v6, 0
	v_dot4_i32_i8 v15, v80, v7, v15
	;; [unrolled: 1-line block ×4, first 2 shown]
	v_mul_lo_u32 v15, v15, v88
	v_dot4_i32_i8 v16, v84, v3, v16
	v_dot4_i32_i8 v74, v62, v4, v74
	;; [unrolled: 1-line block ×5, first 2 shown]
                                        ; kill: def $vgpr16 killed $sgpr0 killed $exec
	v_fma_mix_f32 v58, v63, v58, -v111 op_sel_hi:[1,0,0]
	v_mad_u64_u32 v[15:16], s[16:17], v74, v86, v[15:16]
	v_dot4_i32_i8 v74, v78, v6, 0
	v_dot4_i32_i8 v6, v55, v6, 0
	;; [unrolled: 1-line block ×8, first 2 shown]
	v_mul_lo_u32 v6, v7, v82
	v_dot4_i32_i8 v7, v53, v2, 0
	v_dot4_i32_i8 v2, v73, v2, v8
	;; [unrolled: 1-line block ×8, first 2 shown]
	v_mad_u64_u32 v[2:3], s[16:17], v3, v54, v[6:7]
	v_cvt_f32_i32_e32 v16, v101
	v_fma_f32 v14, v45, v58, v14
	v_cvt_f32_i32_e32 v74, v2
	v_cvt_f32_i32_e32 v2, v4
	v_fma_mix_f32 v56, v81, v56, -v57 op_sel_hi:[1,0,0]
	v_fma_f32 v18, v45, v56, v18
	v_cvt_f32_i32_e32 v15, v15
	v_mul_f32_e32 v110, v50, v2
	ds_read_b128 v[6:9], v47 offset:7168
	ds_read_b128 v[2:5], v47 offset:7184
	v_mul_f32_e32 v16, v95, v16
	v_add_u32_e32 v47, 32, v47
	s_waitcnt lgkmcnt(1)
	v_dot4_i32_i8 v101, v108, v6, 0
	v_dot4_i32_i8 v102, v90, v6, 0
	;; [unrolled: 1-line block ×8, first 2 shown]
	v_mul_lo_u32 v90, v96, v92
	s_waitcnt lgkmcnt(0)
	v_dot4_i32_i8 v92, v99, v2, 0
	v_dot4_i32_i8 v96, v89, v2, v97
	v_dot4_i32_i8 v92, v100, v3, v92
	v_dot4_i32_i8 v96, v89, v3, v96
	v_dot4_i32_i8 v92, v105, v4, v92
	v_dot4_i32_i8 v96, v89, v4, v96
	v_dot4_i32_i8 v92, v106, v5, v92
	v_dot4_i32_i8 v96, v89, v5, v96
	v_mad_u64_u32 v[89:90], s[16:17], v92, v91, v[90:91]
	v_cvt_f32_i32_e32 v90, v96
	v_dot4_i32_i8 v58, v64, v6, 0
	v_cvt_f32_i32_e32 v89, v89
	v_dot4_i32_i8 v58, v65, v7, v58
	v_mul_f32_e32 v66, v66, v90
	v_dot4_i32_i8 v58, v67, v8, v58
	v_fma_mix_f32 v66, v63, v89, -v66 op_sel_hi:[1,0,0]
	v_dot4_i32_i8 v63, v94, v6, 0
	v_dot4_i32_i8 v63, v94, v7, v63
	;; [unrolled: 1-line block ×5, first 2 shown]
	v_mul_lo_u32 v58, v58, v127
	v_dot4_i32_i8 v64, v69, v2, 0
	v_dot4_i32_i8 v63, v93, v2, v63
	;; [unrolled: 1-line block ×8, first 2 shown]
	v_mad_u64_u32 v[63:64], s[16:17], v64, v109, v[58:59]
	v_dot4_i32_i8 v56, v85, v6, 0
	v_dot4_i32_i8 v56, v85, v7, v56
	v_cvt_f32_i32_e32 v58, v63
	v_cvt_f32_i32_e32 v63, v65
	v_mov_b32_e32 v91, 4
	v_fmac_f32_e32 v13, v46, v66
	v_mul_f32_e32 v1, v1, v63
	v_fma_mix_f32 v1, v81, v58, -v1 op_sel_hi:[1,0,0]
	v_fmac_f32_e32 v17, v46, v1
	v_dot4_i32_i8 v1, v83, v6, 0
	v_dot4_i32_i8 v1, v80, v7, v1
	v_dot4_i32_i8 v1, v12, v8, v1
	v_dot4_i32_i8 v1, v59, v9, v1
	v_dot4_i32_i8 v12, v85, v8, v56
	v_mul_lo_u32 v1, v1, v88
	v_dot4_i32_i8 v56, v60, v2, 0
	v_dot4_i32_i8 v56, v61, v3, v56
	v_dot4_i32_i8 v12, v85, v9, v12
	v_dot4_i32_i8 v56, v62, v4, v56
	v_dot4_i32_i8 v12, v84, v2, v12
	v_dot4_i32_i8 v56, v79, v5, v56
	v_dot4_i32_i8 v12, v84, v3, v12
	v_mad_u64_u32 v[56:57], s[16:17], v56, v86, v[1:2]
	v_dot4_i32_i8 v12, v84, v4, v12
	v_dot4_i32_i8 v12, v84, v5, v12
	v_cvt_f32_i32_e32 v12, v12
	v_cvt_f32_i32_e32 v1, v56
	buffer_load_dword v58, off, s[20:23], 0 offset:8 ; 4-byte Folded Reload
	v_mul_f32_e32 v12, v95, v12
	v_fma_mix_f32 v1, v87, v1, -v12 op_sel_hi:[1,0,0]
	v_fmac_f32_e32 v19, v46, v1
	v_dot4_i32_i8 v1, v78, v6, 0
	v_dot4_i32_i8 v6, v55, v6, 0
	;; [unrolled: 1-line block ×8, first 2 shown]
	v_mul_lo_u32 v6, v7, v82
	v_dot4_i32_i8 v7, v53, v2, 0
	v_dot4_i32_i8 v1, v73, v2, v1
	;; [unrolled: 1-line block ×8, first 2 shown]
	v_cvt_f32_i32_e32 v0, v0
	v_fma_mix_f32 v12, v87, v15, -v16 op_sel_hi:[1,0,0]
	v_fma_f32 v20, v45, v12, v20
	buffer_load_dword v12, off, s[20:23], 0 offset:12 ; 4-byte Folded Reload
	buffer_load_dword v52, off, s[20:23], 0 offset:32 ; 4-byte Folded Reload
	;; [unrolled: 1-line block ×3, first 2 shown]
	v_mul_f32_e32 v0, v50, v0
	buffer_load_dword v50, off, s[20:23], 0 ; 4-byte Folded Reload
	v_mad_u64_u32 v[1:2], s[16:17], v1, v54, v[6:7]
	s_add_i32 s16, s15, 2
	s_cmp_lt_u32 s15, 6
	v_cvt_f32_i32_e32 v1, v1
	s_mov_b32 s15, s16
	v_fma_mix_f32 v0, v49, v1, -v0 op_sel_hi:[1,0,0]
	v_fma_mix_f32 v1, v49, v74, -v110 op_sel_hi:[1,0,0]
	v_fma_f32 v22, v45, v1, v22
	v_fmac_f32_e32 v21, v46, v0
	s_cbranch_scc1 .LBB147_8
; %bb.9:                                ;   in Loop: Header=BB147_7 Depth=1
	s_waitcnt vmcnt(0)
	s_barrier
	buffer_load_dword v0, off, s[20:23], 0 offset:260 ; 4-byte Folded Reload
	s_mov_b32 s15, 8
	v_mov_b32_e32 v121, 15
	v_mov_b32_e32 v122, v123
	s_waitcnt vmcnt(0)
	v_add_u32_e32 v2, s14, v0
	buffer_load_dword v0, off, s[20:23], 0 offset:40 ; 4-byte Folded Reload
	buffer_load_dword v3, off, s[20:23], 0 offset:72 ; 4-byte Folded Reload
	;; [unrolled: 1-line block ×3, first 2 shown]
	s_waitcnt vmcnt(2)
	v_add_u32_e32 v0, v2, v0
	s_waitcnt vmcnt(0)
	v_mad_i64_i32 v[0:1], s[16:17], v0, 36, v[3:4]
	global_load_dword v0, v[0:1], off offset:4
	s_nop 0
	buffer_load_dword v1, off, s[20:23], 0 offset:120 ; 4-byte Folded Reload
	s_waitcnt vmcnt(0)
	ds_write_b32 v1, v0
	buffer_load_dword v0, off, s[20:23], 0 offset:44 ; 4-byte Folded Reload
	s_waitcnt vmcnt(0)
	v_add_u32_e32 v0, v2, v0
	v_mad_i64_i32 v[0:1], s[16:17], v0, 36, v[3:4]
	global_load_dword v0, v[0:1], off offset:4
	s_nop 0
	buffer_load_dword v1, off, s[20:23], 0 offset:88 ; 4-byte Folded Reload
	s_waitcnt vmcnt(0)
	ds_write_b32 v1, v0
	buffer_load_dword v0, off, s[20:23], 0 offset:48 ; 4-byte Folded Reload
	s_waitcnt vmcnt(0)
	v_add_u32_e32 v0, v2, v0
	v_mad_i64_i32 v[0:1], s[16:17], v0, 36, v[3:4]
	global_load_dword v0, v[0:1], off offset:4
	s_nop 0
	buffer_load_dword v1, off, s[20:23], 0 offset:92 ; 4-byte Folded Reload
	s_waitcnt vmcnt(0)
	ds_write_b32 v1, v0
	buffer_load_dword v0, off, s[20:23], 0 offset:52 ; 4-byte Folded Reload
	s_waitcnt vmcnt(0)
	v_add_u32_e32 v0, v2, v0
	v_mad_i64_i32 v[0:1], s[16:17], v0, 36, v[3:4]
	global_load_dword v0, v[0:1], off offset:4
	s_nop 0
	buffer_load_dword v1, off, s[20:23], 0 offset:96 ; 4-byte Folded Reload
	s_waitcnt vmcnt(0)
	ds_write_b32 v1, v0
	buffer_load_dword v0, off, s[20:23], 0 offset:56 ; 4-byte Folded Reload
	s_waitcnt vmcnt(0)
	v_add_u32_e32 v0, v2, v0
	v_mad_i64_i32 v[0:1], s[16:17], v0, 36, v[3:4]
	global_load_dword v0, v[0:1], off offset:4
	s_nop 0
	buffer_load_dword v1, off, s[20:23], 0 offset:100 ; 4-byte Folded Reload
	s_waitcnt vmcnt(0)
	ds_write_b32 v1, v0
	buffer_load_dword v0, off, s[20:23], 0 offset:60 ; 4-byte Folded Reload
	s_waitcnt vmcnt(0)
	v_add_u32_e32 v0, v2, v0
	v_mad_i64_i32 v[0:1], s[16:17], v0, 36, v[3:4]
	global_load_dword v0, v[0:1], off offset:4
	s_nop 0
	buffer_load_dword v1, off, s[20:23], 0 offset:104 ; 4-byte Folded Reload
	s_waitcnt vmcnt(0)
	ds_write_b32 v1, v0
	buffer_load_dword v0, off, s[20:23], 0 offset:64 ; 4-byte Folded Reload
	s_waitcnt vmcnt(0)
	v_add_u32_e32 v0, v2, v0
	v_mad_i64_i32 v[0:1], s[16:17], v0, 36, v[3:4]
	global_load_dword v0, v[0:1], off offset:4
	s_nop 0
	buffer_load_dword v1, off, s[20:23], 0 offset:108 ; 4-byte Folded Reload
	s_waitcnt vmcnt(0)
	ds_write_b32 v1, v0
	buffer_load_dword v0, off, s[20:23], 0 offset:68 ; 4-byte Folded Reload
	s_waitcnt vmcnt(0)
	v_add_u32_e32 v0, v2, v0
	v_mad_i64_i32 v[0:1], s[16:17], v0, 36, v[3:4]
	global_load_dword v0, v[0:1], off offset:4
	s_nop 0
	buffer_load_dword v1, off, s[20:23], 0 offset:112 ; 4-byte Folded Reload
	s_waitcnt vmcnt(0)
	ds_write_b32 v1, v0
	buffer_load_dword v0, off, s[20:23], 0 offset:116 ; 4-byte Folded Reload
	s_waitcnt vmcnt(0)
	v_add_u32_e32 v0, 4, v0
	v_mad_u64_u32 v[0:1], s[16:17], v0, 36, s[2:3]
	global_load_dword v0, v[0:1], off
	s_nop 0
	buffer_load_dword v1, off, s[20:23], 0 offset:36 ; 4-byte Folded Reload
	s_waitcnt vmcnt(1)
	v_cvt_f32_f16_e32 v0, v0
	s_waitcnt vmcnt(0)
	ds_write_b32 v1, v0
	s_waitcnt lgkmcnt(0)
	s_barrier
	buffer_load_dword v100, off, s[20:23], 0 offset:84 ; 4-byte Folded Reload
	buffer_load_dword v99, off, s[20:23], 0 offset:80 ; 4-byte Folded Reload
	v_mov_b32_e32 v0, v125
	v_mov_b32_e32 v125, v124
	;; [unrolled: 1-line block ×4, first 2 shown]
.LBB147_10:                             ;   Parent Loop BB147_7 Depth=1
                                        ; =>  This Inner Loop Header: Depth=2
	s_and_b32 s17, s15, 0x3ffffff8
	v_lshl_add_u32 v47, s17, 2, v117
	s_waitcnt vmcnt(0)
	ds_read2_b32 v[45:46], v99 offset1:32
	ds_read_b128 v[6:9], v100
	ds_read_b128 v[2:5], v100 offset:16
	ds_read2_b32 v[0:1], v47 offset1:1
	s_add_i32 s18, s15, -8
	s_lshr_b32 s17, s15, 2
	s_and_b32 s17, s17, 0x3ffffffc
	s_addk_i32 s17, 0x7280
	s_waitcnt lgkmcnt(0)
	v_ashrrev_i32_e32 v0, s18, v0
	v_and_b32_e32 v72, 0x3030303, v0
	v_ashrrev_i32_e32 v0, s18, v1
	v_and_b32_e32 v70, 0x3030303, v0
	ds_read2_b32 v[0:1], v47 offset0:2 offset1:3
	s_and_b32 s16, s15, -16
	s_add_i32 s16, s15, s16
	v_add_u32_e32 v76, s16, v12
	v_add_u32_e32 v90, s16, v126
	s_waitcnt lgkmcnt(0)
	v_ashrrev_i32_e32 v0, s18, v0
	v_and_b32_e32 v64, 0x3030303, v0
	v_ashrrev_i32_e32 v0, s18, v1
	v_and_b32_e32 v65, 0x3030303, v0
	ds_read2_b32 v[0:1], v47 offset0:4 offset1:5
	v_add_u32_e32 v54, s16, v51
	v_add_u32_e32 v51, s16, v124
	v_mov_b32_e32 v120, v126
	s_waitcnt lgkmcnt(0)
	v_ashrrev_i32_e32 v0, s18, v0
	v_and_b32_e32 v66, 0x3030303, v0
	v_ashrrev_i32_e32 v0, s18, v1
	v_and_b32_e32 v67, 0x3030303, v0
	ds_read2_b32 v[0:1], v47 offset0:6 offset1:7
	s_waitcnt lgkmcnt(0)
	v_ashrrev_i32_e32 v0, s18, v0
	v_and_b32_e32 v68, 0x3030303, v0
	v_ashrrev_i32_e32 v0, s18, v1
	v_and_b32_e32 v69, 0x3030303, v0
	v_add3_u32 v0, s17, v122, v125
	ds_read_b32 v63, v0
	v_dot4_i32_i8 v0, v72, v6, 0
	v_dot4_i32_i8 v0, v70, v7, v0
	;; [unrolled: 1-line block ×8, first 2 shown]
	v_add_u32_e32 v0, 0x1080, v47
	ds_read2_b32 v[0:1], v0 offset1:1
	s_waitcnt lgkmcnt(1)
	v_cvt_f32_f16_sdwa v84, v63 dst_sel:DWORD dst_unused:UNUSED_PAD src0_sel:WORD_1
	s_waitcnt lgkmcnt(0)
	v_ashrrev_i32_e32 v0, s18, v0
	v_and_b32_e32 v81, 0x3030303, v0
	v_ashrrev_i32_e32 v0, s18, v1
	v_and_b32_e32 v82, 0x3030303, v0
	v_add_u32_e32 v0, 0x1088, v47
	ds_read2_b32 v[0:1], v0 offset1:1
	s_waitcnt lgkmcnt(0)
	v_ashrrev_i32_e32 v0, s18, v0
	v_and_b32_e32 v55, 0x3030303, v0
	v_ashrrev_i32_e32 v0, s18, v1
	v_and_b32_e32 v1, 0x3030303, v0
	v_add_u32_e32 v0, 0x1090, v47
	ds_read2_b32 v[15:16], v0 offset1:1
	;; [unrolled: 7-line block ×3, first 2 shown]
	s_waitcnt lgkmcnt(0)
	v_ashrrev_i32_e32 v0, s18, v15
	v_and_b32_e32 v86, 0x3030303, v0
	v_ashrrev_i32_e32 v0, s18, v16
	v_and_b32_e32 v88, 0x3030303, v0
	buffer_load_dword v0, off, s[20:23], 0 offset:24 ; 4-byte Folded Reload
	s_waitcnt vmcnt(0)
	v_add3_u32 v0, s17, v123, v0
	ds_read_b32 v71, v0
	v_dot4_i32_i8 v0, v81, v6, 0
	v_dot4_i32_i8 v0, v82, v7, v0
	;; [unrolled: 1-line block ×8, first 2 shown]
	v_add_u32_e32 v0, 0x2100, v47
	ds_read2_b32 v[15:16], v0 offset1:1
	s_waitcnt lgkmcnt(1)
	v_cvt_f32_f16_sdwa v89, v71 dst_sel:DWORD dst_unused:UNUSED_PAD src0_sel:WORD_1
	s_waitcnt lgkmcnt(0)
	v_ashrrev_i32_e32 v0, s18, v15
	v_and_b32_e32 v62, 0x3030303, v0
	v_ashrrev_i32_e32 v0, s18, v16
	v_and_b32_e32 v60, 0x3030303, v0
	v_add_u32_e32 v0, 0x2108, v47
	ds_read2_b32 v[15:16], v0 offset1:1
	s_waitcnt lgkmcnt(0)
	v_ashrrev_i32_e32 v0, s18, v15
	v_and_b32_e32 v95, 0x3030303, v0
	v_ashrrev_i32_e32 v0, s18, v16
	v_and_b32_e32 v105, 0x3030303, v0
	v_add_u32_e32 v0, 0x2110, v47
	ds_read2_b32 v[15:16], v0 offset1:1
	;; [unrolled: 7-line block ×3, first 2 shown]
	s_waitcnt lgkmcnt(0)
	v_ashrrev_i32_e32 v0, s18, v15
	v_and_b32_e32 v108, 0x3030303, v0
	v_ashrrev_i32_e32 v0, s18, v16
	v_and_b32_e32 v59, 0x3030303, v0
	buffer_load_dword v0, off, s[20:23], 0 offset:28 ; 4-byte Folded Reload
	s_waitcnt vmcnt(0)
	v_add3_u32 v0, s17, v0, v50
	ds_read_b32 v12, v0
	v_dot4_i32_i8 v0, v62, v6, 0
	v_dot4_i32_i8 v0, v60, v7, v0
	;; [unrolled: 1-line block ×8, first 2 shown]
	v_add_u32_e32 v0, 0x3180, v47
	ds_read2_b32 v[15:16], v0 offset1:1
	s_waitcnt lgkmcnt(1)
	v_cvt_f32_f16_sdwa v61, v12 dst_sel:DWORD dst_unused:UNUSED_PAD src0_sel:WORD_1
	s_waitcnt lgkmcnt(0)
	v_ashrrev_i32_e32 v0, s18, v15
	v_and_b32_e32 v83, 0x3030303, v0
	v_ashrrev_i32_e32 v0, s18, v16
	v_and_b32_e32 v80, 0x3030303, v0
	v_add_u32_e32 v0, 0x3188, v47
	ds_read2_b32 v[15:16], v0 offset1:1
	s_waitcnt lgkmcnt(0)
	v_ashrrev_i32_e32 v0, s18, v15
	v_and_b32_e32 v79, 0x3030303, v0
	v_ashrrev_i32_e32 v0, s18, v16
	v_and_b32_e32 v78, 0x3030303, v0
	v_add_u32_e32 v0, 0x3190, v47
	ds_read2_b32 v[15:16], v0 offset1:1
	s_waitcnt lgkmcnt(0)
	v_ashrrev_i32_e32 v0, s18, v15
	v_add_u32_e32 v15, 0x3198, v47
	v_and_b32_e32 v73, 0x3030303, v0
	v_ashrrev_i32_e32 v0, s18, v16
	ds_read2_b32 v[15:16], v15 offset1:1
	v_and_b32_e32 v0, 0x3030303, v0
	s_waitcnt lgkmcnt(0)
	v_ashrrev_i32_e32 v15, s18, v15
	v_and_b32_e32 v87, 0x3030303, v15
	v_ashrrev_i32_e32 v15, s18, v16
	v_and_b32_e32 v97, 0x3030303, v15
	v_add3_u32 v15, s17, v58, v115
	ds_read_b32 v77, v15
	v_dot4_i32_i8 v15, v83, v6, 0
	v_dot4_i32_i8 v15, v80, v7, v15
	;; [unrolled: 1-line block ×3, first 2 shown]
	ds_read_b128 v[101:104], v100 offset:1024
	ds_read_b128 v[116:119], v100 offset:1040
	v_dot4_i32_i8 v48, v78, v9, v15
	v_dot4_i32_i8 v15, v73, v2, 0
	;; [unrolled: 1-line block ×5, first 2 shown]
	s_waitcnt lgkmcnt(1)
	v_dot4_i32_i8 v15, v72, v101, 0
	v_dot4_i32_i8 v15, v70, v102, v15
	;; [unrolled: 1-line block ×4, first 2 shown]
	s_waitcnt lgkmcnt(0)
	v_dot4_i32_i8 v15, v66, v116, 0
	v_dot4_i32_i8 v15, v67, v117, v15
	;; [unrolled: 1-line block ×4, first 2 shown]
	ds_read_u16 v15, v90 offset:25088
	v_cvt_f32_f16_sdwa v96, v77 dst_sel:DWORD dst_unused:UNUSED_PAD src0_sel:WORD_1
	s_waitcnt lgkmcnt(0)
	v_bfe_u32 v57, v15, 4, 4
	v_mul_lo_u32 v111, v57, s9
	v_lshrrev_b32_sdwa v58, v91, v15 dst_sel:DWORD dst_unused:UNUSED_PAD src0_sel:DWORD src1_sel:BYTE_1
	v_mul_lo_u32 v110, v58, s9
	v_dot4_i32_i8 v57, v111, v6, 0
	v_dot4_i32_i8 v57, v111, v7, v57
	;; [unrolled: 1-line block ×8, first 2 shown]
	v_and_b32_e32 v57, 15, v15
	v_and_b32_sdwa v15, v15, v121 dst_sel:DWORD dst_unused:UNUSED_PAD src0_sel:BYTE_1 src1_sel:DWORD
	v_and_b32_e32 v112, 0xffff, v15
	v_dot4_i32_i8 v15, v111, v101, 0
	v_dot4_i32_i8 v15, v111, v102, v15
	;; [unrolled: 1-line block ×6, first 2 shown]
	v_and_b32_e32 v113, 0xffff, v57
	v_dot4_i32_i8 v15, v110, v118, v15
	v_mul_lo_u32 v16, v16, v112
	v_dot4_i32_i8 v90, v110, v119, v15
	v_mul_lo_u32 v15, v75, v113
	v_mad_u64_u32 v[56:57], s[16:17], v56, v113, v[16:17]
                                        ; kill: def $vgpr16 killed $sgpr0 killed $exec
	v_cvt_f32_i32_e32 v57, v58
	v_mad_u64_u32 v[15:16], s[16:17], v74, v112, v[15:16]
	v_cvt_f32_i32_e32 v16, v56
	v_cvt_f32_i32_e32 v56, v90
	;; [unrolled: 1-line block ×3, first 2 shown]
	v_mul_f32_e32 v57, v84, v57
	v_mul_f32_e32 v56, v84, v56
	v_fma_mix_f32 v15, v63, v15, -v57 op_sel_hi:[1,0,0]
	v_fma_f32 v11, v45, v15, v11
	v_dot4_i32_i8 v15, v81, v101, 0
	v_dot4_i32_i8 v15, v82, v102, v15
	;; [unrolled: 1-line block ×3, first 2 shown]
	v_fma_mix_f32 v16, v63, v16, -v56 op_sel_hi:[1,0,0]
	v_dot4_i32_i8 v56, v1, v104, v15
	v_dot4_i32_i8 v15, v127, v116, 0
	;; [unrolled: 1-line block ×4, first 2 shown]
	v_fmac_f32_e32 v10, v46, v16
	v_dot4_i32_i8 v16, v88, v119, v15
	ds_read_u16 v15, v76 offset:26112
	s_waitcnt lgkmcnt(0)
	v_bfe_u32 v57, v15, 4, 4
	v_mul_lo_u32 v115, v57, s9
	v_lshrrev_b32_sdwa v58, v91, v15 dst_sel:DWORD dst_unused:UNUSED_PAD src0_sel:DWORD src1_sel:BYTE_1
	v_mul_lo_u32 v114, v58, s9
	v_dot4_i32_i8 v57, v115, v6, 0
	v_dot4_i32_i8 v57, v115, v7, v57
	;; [unrolled: 1-line block ×8, first 2 shown]
	v_and_b32_e32 v57, 15, v15
	v_and_b32_sdwa v15, v15, v121 dst_sel:DWORD dst_unused:UNUSED_PAD src0_sel:BYTE_1 src1_sel:DWORD
	v_and_b32_e32 v74, 0xffff, v15
	v_dot4_i32_i8 v15, v115, v101, 0
	v_dot4_i32_i8 v15, v115, v102, v15
	v_dot4_i32_i8 v15, v115, v103, v15
	v_dot4_i32_i8 v15, v115, v104, v15
	v_dot4_i32_i8 v15, v114, v116, v15
	v_dot4_i32_i8 v15, v114, v117, v15
	v_and_b32_e32 v126, 0xffff, v57
	v_dot4_i32_i8 v15, v114, v118, v15
	v_mul_lo_u32 v16, v16, v74
	v_dot4_i32_i8 v75, v114, v119, v15
	v_mul_lo_u32 v15, v53, v126
	v_cvt_f32_i32_e32 v53, v58
	v_mad_u64_u32 v[56:57], s[16:17], v56, v126, v[16:17]
                                        ; kill: def $vgpr16 killed $sgpr0 killed $exec
	v_mad_u64_u32 v[15:16], s[16:17], v52, v74, v[15:16]
	v_cvt_f32_i32_e32 v52, v75
	v_mul_f32_e32 v53, v89, v53
	v_cvt_f32_i32_e32 v15, v15
	v_cvt_f32_i32_e32 v16, v56
	v_mul_f32_e32 v52, v89, v52
	v_fma_mix_f32 v15, v71, v15, -v53 op_sel_hi:[1,0,0]
	v_fma_f32 v40, v45, v15, v40
	v_dot4_i32_i8 v15, v62, v101, 0
	v_dot4_i32_i8 v15, v60, v102, v15
	;; [unrolled: 1-line block ×3, first 2 shown]
	v_fma_mix_f32 v16, v71, v16, -v52 op_sel_hi:[1,0,0]
	v_dot4_i32_i8 v52, v105, v104, v15
	v_dot4_i32_i8 v15, v106, v116, 0
	;; [unrolled: 1-line block ×4, first 2 shown]
	v_fmac_f32_e32 v39, v46, v16
	v_dot4_i32_i8 v16, v59, v119, v15
	ds_read_u16 v15, v54 offset:27136
	s_waitcnt lgkmcnt(0)
	v_bfe_u32 v53, v15, 4, 4
	v_mul_lo_u32 v93, v53, s9
	v_lshrrev_b32_sdwa v54, v91, v15 dst_sel:DWORD dst_unused:UNUSED_PAD src0_sel:DWORD src1_sel:BYTE_1
	v_mul_lo_u32 v92, v54, s9
	v_dot4_i32_i8 v53, v93, v6, 0
	v_dot4_i32_i8 v53, v93, v7, v53
	;; [unrolled: 1-line block ×8, first 2 shown]
	v_and_b32_e32 v53, 15, v15
	v_and_b32_sdwa v15, v15, v121 dst_sel:DWORD dst_unused:UNUSED_PAD src0_sel:BYTE_1 src1_sel:DWORD
	v_and_b32_e32 v94, 0xffff, v15
	v_dot4_i32_i8 v15, v93, v101, 0
	v_dot4_i32_i8 v15, v93, v102, v15
	v_dot4_i32_i8 v15, v93, v103, v15
	v_dot4_i32_i8 v15, v93, v104, v15
	v_dot4_i32_i8 v15, v92, v116, v15
	v_mul_lo_u32 v16, v16, v94
	v_dot4_i32_i8 v15, v92, v117, v15
	v_and_b32_e32 v109, 0xffff, v53
	v_dot4_i32_i8 v15, v92, v118, v15
	v_dot4_i32_i8 v56, v92, v119, v15
	v_mul_lo_u32 v15, v50, v109
	v_mad_u64_u32 v[52:53], s[16:17], v52, v109, v[16:17]
                                        ; kill: def $vgpr16 killed $sgpr0 killed $exec
	v_cvt_f32_i32_e32 v50, v54
	v_mad_u64_u32 v[15:16], s[16:17], v49, v94, v[15:16]
	v_cvt_f32_i32_e32 v49, v56
	v_cvt_f32_i32_e32 v16, v52
	;; [unrolled: 1-line block ×3, first 2 shown]
	v_mul_f32_e32 v50, v61, v50
	v_mul_f32_e32 v49, v61, v49
	v_fma_mix_f32 v16, v12, v16, -v49 op_sel_hi:[1,0,0]
	ds_read_u16 v49, v51 offset:28160
	v_fma_mix_f32 v15, v12, v15, -v50 op_sel_hi:[1,0,0]
	v_fmac_f32_e32 v41, v46, v16
	v_dot4_i32_i8 v16, v73, v116, 0
	v_dot4_i32_i8 v16, v0, v117, v16
	s_waitcnt lgkmcnt(0)
	v_bfe_u32 v50, v49, 4, 4
	v_mul_lo_u32 v90, v50, s9
	v_dot4_i32_i8 v16, v87, v118, v16
	v_dot4_i32_i8 v16, v97, v119, v16
	v_fma_f32 v42, v45, v15, v42
	v_dot4_i32_i8 v6, v90, v6, 0
	v_dot4_i32_i8 v6, v90, v7, v6
	v_lshrrev_b32_sdwa v7, v91, v49 dst_sel:DWORD dst_unused:UNUSED_PAD src0_sel:DWORD src1_sel:BYTE_1
	v_mul_lo_u32 v76, v7, s9
	v_dot4_i32_i8 v6, v90, v8, v6
	v_dot4_i32_i8 v6, v90, v9, v6
	;; [unrolled: 1-line block ×7, first 2 shown]
	v_and_b32_e32 v2, 15, v49
	v_and_b32_e32 v91, 0xffff, v2
	v_dot4_i32_i8 v2, v90, v101, 0
	v_and_b32_sdwa v3, v49, v121 dst_sel:DWORD dst_unused:UNUSED_PAD src0_sel:BYTE_1 src1_sel:DWORD
	v_dot4_i32_i8 v2, v90, v102, v2
	v_and_b32_e32 v75, 0xffff, v3
	v_dot4_i32_i8 v2, v90, v103, v2
	v_dot4_i32_i8 v2, v90, v104, v2
	v_mul_lo_u32 v3, v16, v75
	v_dot4_i32_i8 v15, v80, v102, v15
	v_dot4_i32_i8 v2, v76, v116, v2
	;; [unrolled: 1-line block ×6, first 2 shown]
                                        ; kill: def $vgpr4 killed $sgpr0 killed $exec
	v_dot4_i32_i8 v7, v76, v119, v2
	v_mul_lo_u32 v2, v48, v91
	v_mad_u64_u32 v[3:4], s[16:17], v15, v91, v[3:4]
	v_mov_b32_e32 v117, v98
	v_mad_u64_u32 v[4:5], s[16:17], v47, v75, v[2:3]
	v_cvt_f32_i32_e32 v5, v6
	v_cvt_f32_i32_e32 v3, v3
	;; [unrolled: 1-line block ×4, first 2 shown]
	v_mul_f32_e32 v5, v96, v5
	v_fma_mix_f32 v2, v77, v2, -v5 op_sel_hi:[1,0,0]
	v_mul_f32_e32 v4, v96, v4
	v_fma_mix_f32 v3, v77, v3, -v4 op_sel_hi:[1,0,0]
	v_fma_f32 v44, v45, v2, v44
	v_fmac_f32_e32 v43, v46, v3
	ds_read2_b32 v[45:46], v99 offset0:64 offset1:96
	ds_read_b128 v[6:9], v100 offset:2048
	ds_read_b128 v[2:5], v100 offset:2064
	s_waitcnt lgkmcnt(1)
	v_dot4_i32_i8 v15, v72, v6, 0
	v_dot4_i32_i8 v16, v111, v6, 0
	;; [unrolled: 1-line block ×8, first 2 shown]
	v_mul_lo_u32 v15, v15, v113
	s_waitcnt lgkmcnt(0)
	v_dot4_i32_i8 v47, v66, v2, 0
	v_dot4_i32_i8 v16, v110, v2, v16
	v_dot4_i32_i8 v47, v67, v3, v47
	v_dot4_i32_i8 v16, v110, v3, v16
	v_dot4_i32_i8 v47, v68, v4, v47
	v_dot4_i32_i8 v16, v110, v4, v16
	v_dot4_i32_i8 v47, v69, v5, v47
	v_dot4_i32_i8 v57, v110, v5, v16
                                        ; kill: def $vgpr16 killed $sgpr0 killed $exec
	v_mad_u64_u32 v[51:52], s[16:17], v47, v112, v[15:16]
	v_dot4_i32_i8 v15, v81, v6, 0
	v_dot4_i32_i8 v16, v115, v6, 0
	v_dot4_i32_i8 v15, v82, v7, v15
	v_dot4_i32_i8 v16, v115, v7, v16
	v_dot4_i32_i8 v15, v55, v8, v15
	v_dot4_i32_i8 v16, v115, v8, v16
	v_dot4_i32_i8 v15, v1, v9, v15
	v_dot4_i32_i8 v16, v115, v9, v16
	v_mul_lo_u32 v15, v15, v126
	v_dot4_i32_i8 v47, v127, v2, 0
	v_dot4_i32_i8 v16, v114, v2, v16
	v_dot4_i32_i8 v47, v85, v3, v47
	v_dot4_i32_i8 v16, v114, v3, v16
	v_dot4_i32_i8 v47, v86, v4, v47
	v_dot4_i32_i8 v16, v114, v4, v16
	v_dot4_i32_i8 v47, v88, v5, v47
	v_dot4_i32_i8 v54, v114, v5, v16
                                        ; kill: def $vgpr16 killed $sgpr0 killed $exec
	v_mad_u64_u32 v[49:50], s[16:17], v47, v74, v[15:16]
	v_dot4_i32_i8 v15, v62, v6, 0
	v_dot4_i32_i8 v16, v93, v6, 0
	v_dot4_i32_i8 v15, v60, v7, v15
	v_dot4_i32_i8 v16, v93, v7, v16
	v_dot4_i32_i8 v15, v95, v8, v15
	v_dot4_i32_i8 v16, v93, v8, v16
	v_dot4_i32_i8 v15, v105, v9, v15
	v_dot4_i32_i8 v16, v93, v9, v16
	v_mul_lo_u32 v15, v15, v109
	;; [unrolled: 19-line block ×3, first 2 shown]
	v_dot4_i32_i8 v7, v73, v2, 0
	v_dot4_i32_i8 v2, v76, v2, v8
	;; [unrolled: 1-line block ×8, first 2 shown]
	v_mad_u64_u32 v[52:53], s[16:17], v3, v75, v[6:7]
	ds_read_b128 v[6:9], v100 offset:3072
	ds_read_b128 v[2:5], v100 offset:3088
	s_waitcnt lgkmcnt(1)
	v_dot4_i32_i8 v15, v72, v6, 0
	v_dot4_i32_i8 v16, v111, v6, 0
	;; [unrolled: 1-line block ×8, first 2 shown]
	v_mul_lo_u32 v15, v15, v113
	s_waitcnt lgkmcnt(0)
	v_dot4_i32_i8 v53, v66, v2, 0
	v_dot4_i32_i8 v16, v110, v2, v16
	;; [unrolled: 1-line block ×8, first 2 shown]
                                        ; kill: def $vgpr16 killed $sgpr0 killed $exec
	v_mad_u64_u32 v[15:16], s[16:17], v53, v112, v[15:16]
	v_cvt_f32_i32_e32 v16, v51
	v_cvt_f32_i32_e32 v51, v56
	;; [unrolled: 1-line block ×4, first 2 shown]
	v_mul_f32_e32 v51, v84, v51
	v_mul_f32_e32 v53, v84, v53
	v_fma_mix_f32 v15, v63, v15, -v51 op_sel_hi:[1,0,0]
	v_fma_mix_f32 v16, v63, v16, -v53 op_sel_hi:[1,0,0]
	v_fma_f32 v32, v45, v16, v32
	v_fmac_f32_e32 v31, v46, v15
	v_dot4_i32_i8 v15, v81, v6, 0
	v_dot4_i32_i8 v16, v115, v6, 0
	;; [unrolled: 1-line block ×8, first 2 shown]
	v_mul_lo_u32 v15, v15, v126
	v_dot4_i32_i8 v51, v127, v2, 0
	v_dot4_i32_i8 v16, v114, v2, v16
	;; [unrolled: 1-line block ×8, first 2 shown]
                                        ; kill: def $vgpr16 killed $sgpr0 killed $exec
	v_mad_u64_u32 v[15:16], s[16:17], v51, v74, v[15:16]
	v_cvt_f32_i32_e32 v16, v49
	v_cvt_f32_i32_e32 v49, v53
	;; [unrolled: 1-line block ×4, first 2 shown]
	v_mul_f32_e32 v49, v89, v49
	v_mul_f32_e32 v51, v89, v51
	v_fma_mix_f32 v15, v71, v15, -v49 op_sel_hi:[1,0,0]
	v_fma_mix_f32 v16, v71, v16, -v51 op_sel_hi:[1,0,0]
	v_fma_f32 v34, v45, v16, v34
	v_fmac_f32_e32 v33, v46, v15
	v_dot4_i32_i8 v15, v62, v6, 0
	v_dot4_i32_i8 v16, v93, v6, 0
	;; [unrolled: 1-line block ×8, first 2 shown]
	v_mul_lo_u32 v15, v15, v109
	v_dot4_i32_i8 v49, v106, v2, 0
	v_dot4_i32_i8 v16, v92, v2, v16
	;; [unrolled: 1-line block ×8, first 2 shown]
                                        ; kill: def $vgpr16 killed $sgpr0 killed $exec
	v_mad_u64_u32 v[15:16], s[16:17], v49, v94, v[15:16]
	v_cvt_f32_i32_e32 v16, v47
	v_cvt_f32_i32_e32 v47, v51
	;; [unrolled: 1-line block ×4, first 2 shown]
	v_mul_f32_e32 v47, v61, v47
	v_fma_mix_f32 v15, v12, v15, -v47 op_sel_hi:[1,0,0]
	v_fmac_f32_e32 v35, v46, v15
	v_dot4_i32_i8 v15, v83, v6, 0
	v_dot4_i32_i8 v6, v90, v6, 0
	;; [unrolled: 1-line block ×8, first 2 shown]
	v_mul_lo_u32 v6, v7, v91
	v_dot4_i32_i8 v7, v73, v2, 0
	v_dot4_i32_i8 v2, v76, v2, v8
	v_dot4_i32_i8 v7, v0, v3, v7
	v_dot4_i32_i8 v2, v76, v3, v2
	v_dot4_i32_i8 v3, v87, v4, v7
	v_dot4_i32_i8 v2, v76, v4, v2
	v_dot4_i32_i8 v3, v97, v5, v3
	v_dot4_i32_i8 v4, v76, v5, v2
	v_mad_u64_u32 v[2:3], s[16:17], v3, v75, v[6:7]
	v_cvt_f32_i32_e32 v4, v4
	v_cvt_f32_i32_e32 v5, v48
	;; [unrolled: 1-line block ×4, first 2 shown]
	v_mul_f32_e32 v49, v61, v49
	v_mul_f32_e32 v5, v96, v5
	;; [unrolled: 1-line block ×3, first 2 shown]
	v_fma_mix_f32 v16, v12, v16, -v49 op_sel_hi:[1,0,0]
	v_fma_mix_f32 v2, v77, v2, -v4 op_sel_hi:[1,0,0]
	;; [unrolled: 1-line block ×3, first 2 shown]
	v_fma_f32 v36, v45, v16, v36
	v_fma_f32 v38, v45, v3, v38
	v_fmac_f32_e32 v37, v46, v2
	ds_read2_b32 v[45:46], v99 offset0:128 offset1:160
	ds_read_b128 v[6:9], v100 offset:4096
	ds_read_b128 v[2:5], v100 offset:4112
	s_waitcnt lgkmcnt(1)
	v_dot4_i32_i8 v15, v72, v6, 0
	v_dot4_i32_i8 v16, v111, v6, 0
	;; [unrolled: 1-line block ×8, first 2 shown]
	v_mul_lo_u32 v15, v15, v113
	s_waitcnt lgkmcnt(0)
	v_dot4_i32_i8 v47, v66, v2, 0
	v_dot4_i32_i8 v16, v110, v2, v16
	;; [unrolled: 1-line block ×8, first 2 shown]
                                        ; kill: def $vgpr16 killed $sgpr0 killed $exec
	v_mad_u64_u32 v[52:53], s[16:17], v47, v112, v[15:16]
	v_dot4_i32_i8 v15, v81, v6, 0
	v_dot4_i32_i8 v16, v115, v6, 0
	v_dot4_i32_i8 v15, v82, v7, v15
	v_dot4_i32_i8 v16, v115, v7, v16
	v_dot4_i32_i8 v15, v55, v8, v15
	v_dot4_i32_i8 v16, v115, v8, v16
	v_dot4_i32_i8 v15, v1, v9, v15
	v_dot4_i32_i8 v16, v115, v9, v16
	v_mul_lo_u32 v15, v15, v126
	v_dot4_i32_i8 v47, v127, v2, 0
	v_dot4_i32_i8 v16, v114, v2, v16
	v_dot4_i32_i8 v47, v85, v3, v47
	v_dot4_i32_i8 v16, v114, v3, v16
	v_dot4_i32_i8 v47, v86, v4, v47
	v_dot4_i32_i8 v16, v114, v4, v16
	v_dot4_i32_i8 v47, v88, v5, v47
	v_dot4_i32_i8 v16, v114, v5, v16
	v_mad_u64_u32 v[50:51], s[16:17], v47, v74, v[15:16]
	v_dot4_i32_i8 v15, v62, v6, 0
	v_dot4_i32_i8 v47, v93, v6, 0
	v_dot4_i32_i8 v15, v60, v7, v15
	v_dot4_i32_i8 v47, v93, v7, v47
	v_dot4_i32_i8 v15, v95, v8, v15
	v_dot4_i32_i8 v47, v93, v8, v47
	v_dot4_i32_i8 v15, v105, v9, v15
	v_dot4_i32_i8 v47, v93, v9, v47
	v_mul_lo_u32 v15, v15, v109
	v_dot4_i32_i8 v48, v106, v2, 0
	v_dot4_i32_i8 v47, v92, v2, v47
	v_dot4_i32_i8 v48, v107, v3, v48
	v_dot4_i32_i8 v47, v92, v3, v47
	v_dot4_i32_i8 v48, v108, v4, v48
	v_dot4_i32_i8 v47, v92, v4, v47
	v_dot4_i32_i8 v48, v59, v5, v48
	v_dot4_i32_i8 v51, v92, v5, v47
	;; [unrolled: 18-line block ×3, first 2 shown]
	v_mad_u64_u32 v[48:49], s[16:17], v3, v75, v[6:7]
	ds_read_b128 v[6:9], v100 offset:5120
	ds_read_b128 v[2:5], v100 offset:5136
	v_cvt_f32_i32_e32 v54, v54
	v_cvt_f32_i32_e32 v16, v16
	s_waitcnt lgkmcnt(1)
	v_dot4_i32_i8 v49, v72, v6, 0
	v_dot4_i32_i8 v49, v70, v7, v49
	;; [unrolled: 1-line block ×6, first 2 shown]
	v_mul_lo_u32 v49, v49, v113
	s_waitcnt lgkmcnt(0)
	v_dot4_i32_i8 v56, v66, v2, 0
	v_dot4_i32_i8 v53, v111, v8, v53
	;; [unrolled: 1-line block ×8, first 2 shown]
	v_mad_u64_u32 v[56:57], s[16:17], v56, v112, v[49:50]
	v_dot4_i32_i8 v53, v110, v4, v53
	v_dot4_i32_i8 v53, v110, v5, v53
	v_cvt_f32_i32_e32 v49, v52
	v_cvt_f32_i32_e32 v53, v53
	;; [unrolled: 1-line block ×3, first 2 shown]
	v_mul_f32_e32 v54, v84, v54
	v_fma_mix_f32 v49, v63, v49, -v54 op_sel_hi:[1,0,0]
	v_mul_f32_e32 v53, v84, v53
	v_fma_mix_f32 v52, v63, v52, -v53 op_sel_hi:[1,0,0]
	v_fma_f32 v24, v45, v49, v24
	v_dot4_i32_i8 v49, v81, v6, 0
	v_fmac_f32_e32 v23, v46, v52
	v_dot4_i32_i8 v52, v115, v6, 0
	v_dot4_i32_i8 v49, v82, v7, v49
	;; [unrolled: 1-line block ×7, first 2 shown]
	v_mul_lo_u32 v49, v49, v126
	v_dot4_i32_i8 v53, v127, v2, 0
	v_dot4_i32_i8 v52, v114, v2, v52
	;; [unrolled: 1-line block ×8, first 2 shown]
	v_mad_u64_u32 v[52:53], s[16:17], v53, v74, v[49:50]
	v_cvt_f32_i32_e32 v49, v50
	v_mul_f32_e32 v16, v89, v16
	v_cvt_f32_i32_e32 v50, v52
	v_cvt_f32_i32_e32 v52, v54
	v_fma_mix_f32 v16, v71, v49, -v16 op_sel_hi:[1,0,0]
	v_fma_f32 v26, v45, v16, v26
	v_dot4_i32_i8 v16, v62, v6, 0
	v_dot4_i32_i8 v49, v93, v6, 0
	;; [unrolled: 1-line block ×3, first 2 shown]
	v_mul_f32_e32 v52, v89, v52
	v_dot4_i32_i8 v49, v93, v7, v49
	v_dot4_i32_i8 v16, v95, v8, v16
	v_fma_mix_f32 v50, v71, v50, -v52 op_sel_hi:[1,0,0]
	v_dot4_i32_i8 v49, v93, v8, v49
	v_dot4_i32_i8 v16, v105, v9, v16
	v_fmac_f32_e32 v25, v46, v50
	v_dot4_i32_i8 v49, v93, v9, v49
	v_mul_lo_u32 v16, v16, v109
	v_dot4_i32_i8 v50, v106, v2, 0
	v_dot4_i32_i8 v49, v92, v2, v49
	;; [unrolled: 1-line block ×8, first 2 shown]
	v_mad_u64_u32 v[49:50], s[16:17], v50, v94, v[16:17]
	v_cvt_f32_i32_e32 v50, v51
	v_cvt_f32_i32_e32 v16, v47
	;; [unrolled: 1-line block ×4, first 2 shown]
	v_mul_f32_e32 v50, v61, v50
	v_fma_mix_f32 v16, v12, v16, -v50 op_sel_hi:[1,0,0]
	v_fma_f32 v28, v45, v16, v28
	v_dot4_i32_i8 v16, v83, v6, 0
	v_dot4_i32_i8 v6, v90, v6, 0
	;; [unrolled: 1-line block ×8, first 2 shown]
	v_mul_lo_u32 v6, v7, v91
	v_dot4_i32_i8 v7, v73, v2, 0
	v_dot4_i32_i8 v2, v76, v2, v8
	;; [unrolled: 1-line block ×8, first 2 shown]
	v_mad_u64_u32 v[2:3], s[16:17], v3, v75, v[6:7]
	v_cvt_f32_i32_e32 v4, v4
	v_cvt_f32_i32_e32 v5, v15
	;; [unrolled: 1-line block ×4, first 2 shown]
	v_mul_f32_e32 v49, v61, v49
	v_mul_f32_e32 v5, v96, v5
	;; [unrolled: 1-line block ×3, first 2 shown]
	v_fma_mix_f32 v47, v12, v47, -v49 op_sel_hi:[1,0,0]
	v_fma_mix_f32 v2, v77, v2, -v4 op_sel_hi:[1,0,0]
	v_fma_mix_f32 v3, v77, v3, -v5 op_sel_hi:[1,0,0]
	v_fmac_f32_e32 v27, v46, v47
	v_fma_f32 v30, v45, v3, v30
	v_fmac_f32_e32 v29, v46, v2
	ds_read2_b32 v[45:46], v99 offset0:192 offset1:224
	ds_read_b128 v[6:9], v100 offset:6144
	ds_read_b128 v[2:5], v100 offset:6160
	v_add_u32_e32 v99, 4, v99
	s_waitcnt lgkmcnt(1)
	v_dot4_i32_i8 v15, v72, v6, 0
	v_dot4_i32_i8 v16, v111, v6, 0
	;; [unrolled: 1-line block ×8, first 2 shown]
	v_mul_lo_u32 v15, v15, v113
	s_waitcnt lgkmcnt(0)
	v_dot4_i32_i8 v47, v66, v2, 0
	v_dot4_i32_i8 v16, v110, v2, v16
	;; [unrolled: 1-line block ×8, first 2 shown]
                                        ; kill: def $vgpr16 killed $sgpr0 killed $exec
	v_mad_u64_u32 v[53:54], s[16:17], v47, v112, v[15:16]
	v_dot4_i32_i8 v15, v81, v6, 0
	v_dot4_i32_i8 v16, v115, v6, 0
	;; [unrolled: 1-line block ×8, first 2 shown]
	v_mul_lo_u32 v15, v15, v126
	v_dot4_i32_i8 v47, v127, v2, 0
	v_dot4_i32_i8 v16, v114, v2, v16
	;; [unrolled: 1-line block ×8, first 2 shown]
	v_mad_u64_u32 v[51:52], s[16:17], v47, v74, v[15:16]
	v_dot4_i32_i8 v15, v62, v6, 0
	v_dot4_i32_i8 v47, v93, v6, 0
	v_dot4_i32_i8 v15, v60, v7, v15
	v_dot4_i32_i8 v47, v93, v7, v47
	v_dot4_i32_i8 v15, v95, v8, v15
	v_dot4_i32_i8 v47, v93, v8, v47
	v_dot4_i32_i8 v15, v105, v9, v15
	v_dot4_i32_i8 v48, v93, v9, v47
	v_mul_lo_u32 v47, v15, v109
	v_dot4_i32_i8 v15, v106, v2, 0
	v_dot4_i32_i8 v48, v92, v2, v48
	;; [unrolled: 1-line block ×8, first 2 shown]
                                        ; kill: def $vgpr48 killed $sgpr0 killed $exec
	v_mad_u64_u32 v[49:50], s[16:17], v49, v94, v[47:48]
	v_dot4_i32_i8 v47, v83, v6, 0
	v_dot4_i32_i8 v6, v90, v6, 0
	;; [unrolled: 1-line block ×8, first 2 shown]
	v_mul_lo_u32 v6, v7, v91
	v_dot4_i32_i8 v7, v73, v2, 0
	v_dot4_i32_i8 v2, v76, v2, v8
	v_dot4_i32_i8 v7, v0, v3, v7
	v_dot4_i32_i8 v2, v76, v3, v2
	v_dot4_i32_i8 v3, v87, v4, v7
	v_dot4_i32_i8 v2, v76, v4, v2
	v_dot4_i32_i8 v3, v97, v5, v3
	v_dot4_i32_i8 v50, v76, v5, v2
	v_mad_u64_u32 v[47:48], s[16:17], v3, v75, v[6:7]
	ds_read_b128 v[6:9], v100 offset:7168
	ds_read_b128 v[2:5], v100 offset:7184
	v_cvt_f32_i32_e32 v16, v16
	v_cvt_f32_i32_e32 v15, v15
	v_add_u32_e32 v100, 32, v100
	s_waitcnt lgkmcnt(1)
	v_dot4_i32_i8 v48, v72, v6, 0
	v_dot4_i32_i8 v48, v70, v7, v48
	;; [unrolled: 1-line block ×6, first 2 shown]
	v_mul_lo_u32 v48, v48, v113
	s_waitcnt lgkmcnt(0)
	v_dot4_i32_i8 v54, v66, v2, 0
	v_dot4_i32_i8 v52, v111, v8, v52
	;; [unrolled: 1-line block ×8, first 2 shown]
	v_mad_u64_u32 v[57:58], s[16:17], v54, v112, v[48:49]
	v_dot4_i32_i8 v52, v110, v4, v52
	v_dot4_i32_i8 v52, v110, v5, v52
	v_cvt_f32_i32_e32 v54, v56
	v_cvt_f32_i32_e32 v48, v53
	;; [unrolled: 1-line block ×4, first 2 shown]
	v_mul_f32_e32 v54, v84, v54
	v_fma_mix_f32 v48, v63, v48, -v54 op_sel_hi:[1,0,0]
	v_mul_f32_e32 v52, v84, v52
	v_fma_mix_f32 v52, v63, v53, -v52 op_sel_hi:[1,0,0]
	v_fma_f32 v14, v45, v48, v14
	v_dot4_i32_i8 v48, v81, v6, 0
	v_fmac_f32_e32 v13, v46, v52
	v_dot4_i32_i8 v52, v115, v6, 0
	v_dot4_i32_i8 v48, v82, v7, v48
	;; [unrolled: 1-line block ×7, first 2 shown]
	v_mul_lo_u32 v1, v1, v126
	v_dot4_i32_i8 v52, v127, v2, 0
	v_dot4_i32_i8 v52, v85, v3, v52
	;; [unrolled: 1-line block ×6, first 2 shown]
	v_mad_u64_u32 v[52:53], s[16:17], v52, v74, v[1:2]
	v_cvt_f32_i32_e32 v1, v51
	v_dot4_i32_i8 v48, v114, v4, v48
	v_dot4_i32_i8 v48, v114, v5, v48
	v_cvt_f32_i32_e32 v48, v48
	v_mul_f32_e32 v16, v89, v16
	v_cvt_f32_i32_e32 v51, v52
	v_fma_mix_f32 v1, v71, v1, -v16 op_sel_hi:[1,0,0]
	v_fma_f32 v18, v45, v1, v18
	v_dot4_i32_i8 v1, v62, v6, 0
	v_dot4_i32_i8 v1, v60, v7, v1
	v_mul_f32_e32 v48, v89, v48
	v_dot4_i32_i8 v1, v95, v8, v1
	v_fma_mix_f32 v48, v71, v51, -v48 op_sel_hi:[1,0,0]
	v_dot4_i32_i8 v1, v105, v9, v1
	v_fmac_f32_e32 v17, v46, v48
	v_mul_lo_u32 v1, v1, v109
	v_dot4_i32_i8 v48, v106, v2, 0
	v_dot4_i32_i8 v48, v107, v3, v48
	;; [unrolled: 1-line block ×4, first 2 shown]
	v_mad_u64_u32 v[51:52], s[16:17], v48, v94, v[1:2]
	v_cvt_f32_i32_e32 v1, v49
	v_dot4_i32_i8 v16, v93, v6, 0
	v_dot4_i32_i8 v16, v93, v7, v16
	;; [unrolled: 1-line block ×3, first 2 shown]
	v_mul_f32_e32 v15, v61, v15
	v_dot4_i32_i8 v16, v93, v9, v16
	v_fma_mix_f32 v1, v12, v1, -v15 op_sel_hi:[1,0,0]
	v_dot4_i32_i8 v16, v92, v2, v16
	v_fma_f32 v20, v45, v1, v20
	v_dot4_i32_i8 v1, v83, v6, 0
	v_dot4_i32_i8 v16, v92, v3, v16
	;; [unrolled: 1-line block ×10, first 2 shown]
	v_cvt_f32_i32_e32 v16, v16
	v_dot4_i32_i8 v1, v90, v9, v6
	v_mul_lo_u32 v6, v7, v91
	v_dot4_i32_i8 v7, v73, v2, 0
	v_cvt_f32_i32_e32 v48, v51
	v_dot4_i32_i8 v1, v76, v2, v1
	v_dot4_i32_i8 v0, v0, v3, v7
	;; [unrolled: 1-line block ×6, first 2 shown]
	v_mul_f32_e32 v16, v61, v16
	v_dot4_i32_i8 v0, v76, v5, v2
	v_mad_u64_u32 v[2:3], s[16:17], v1, v75, v[6:7]
	buffer_load_dword v58, off, s[20:23], 0 offset:8 ; 4-byte Folded Reload
	buffer_load_dword v51, off, s[20:23], 0 offset:16 ; 4-byte Folded Reload
	v_fma_mix_f32 v16, v12, v48, -v16 op_sel_hi:[1,0,0]
	buffer_load_dword v12, off, s[20:23], 0 offset:12 ; 4-byte Folded Reload
	buffer_load_dword v115, off, s[20:23], 0 offset:4 ; 4-byte Folded Reload
	v_cvt_f32_i32_e32 v3, v50
	buffer_load_dword v50, off, s[20:23], 0 ; 4-byte Folded Reload
	v_cvt_f32_i32_e32 v0, v0
	v_cvt_f32_i32_e32 v1, v47
	;; [unrolled: 1-line block ×3, first 2 shown]
	v_mul_f32_e32 v3, v96, v3
	v_mul_f32_e32 v0, v96, v0
	v_fma_mix_f32 v1, v77, v1, -v3 op_sel_hi:[1,0,0]
	v_fma_mix_f32 v0, v77, v2, -v0 op_sel_hi:[1,0,0]
	s_add_i32 s16, s15, 2
	v_mov_b32_e32 v126, v120
	v_fmac_f32_e32 v19, v46, v16
	v_mov_b32_e32 v91, 4
	v_fma_f32 v22, v45, v1, v22
	v_fmac_f32_e32 v21, v46, v0
	s_cmp_lt_u32 s15, 14
	s_mov_b32 s15, s16
	s_cbranch_scc1 .LBB147_10
; %bb.11:                               ;   in Loop: Header=BB147_7 Depth=1
	s_or_b32 s15, s7, 1
	s_cmp_ge_i32 s15, s4
	s_waitcnt vmcnt(0)
	s_barrier
	s_cbranch_scc1 .LBB147_5
; %bb.12:                               ;   in Loop: Header=BB147_7 Depth=1
	buffer_load_dword v0, off, s[20:23], 0 offset:280 ; 4-byte Folded Reload
	s_mov_b32 s15, 16
	v_mov_b32_e32 v16, v122
	v_mov_b32_e32 v116, 4
	;; [unrolled: 1-line block ×3, first 2 shown]
	s_waitcnt vmcnt(0)
	v_add_u32_e32 v2, s14, v0
	buffer_load_dword v0, off, s[20:23], 0 offset:40 ; 4-byte Folded Reload
	buffer_load_dword v3, off, s[20:23], 0 offset:72 ; 4-byte Folded Reload
	;; [unrolled: 1-line block ×3, first 2 shown]
	s_waitcnt vmcnt(2)
	v_add_u32_e32 v0, v2, v0
	s_waitcnt vmcnt(0)
	v_mad_i64_i32 v[0:1], s[16:17], v0, 36, v[3:4]
	global_load_dword v0, v[0:1], off offset:4
	s_nop 0
	buffer_load_dword v1, off, s[20:23], 0 offset:120 ; 4-byte Folded Reload
	s_waitcnt vmcnt(0)
	ds_write_b32 v1, v0
	buffer_load_dword v0, off, s[20:23], 0 offset:44 ; 4-byte Folded Reload
	s_waitcnt vmcnt(0)
	v_add_u32_e32 v0, v2, v0
	v_mad_i64_i32 v[0:1], s[16:17], v0, 36, v[3:4]
	global_load_dword v0, v[0:1], off offset:4
	s_nop 0
	buffer_load_dword v1, off, s[20:23], 0 offset:88 ; 4-byte Folded Reload
	s_waitcnt vmcnt(0)
	ds_write_b32 v1, v0
	buffer_load_dword v0, off, s[20:23], 0 offset:48 ; 4-byte Folded Reload
	s_waitcnt vmcnt(0)
	v_add_u32_e32 v0, v2, v0
	;; [unrolled: 9-line block ×8, first 2 shown]
	v_mad_u64_u32 v[0:1], s[16:17], v0, 36, s[2:3]
	global_load_dword v0, v[0:1], off
	s_nop 0
	buffer_load_dword v1, off, s[20:23], 0 offset:36 ; 4-byte Folded Reload
	s_waitcnt vmcnt(1)
	v_cvt_f32_f16_e32 v0, v0
	s_waitcnt vmcnt(0)
	ds_write_b32 v1, v0
	s_waitcnt lgkmcnt(0)
	s_barrier
	buffer_load_dword v47, off, s[20:23], 0 offset:84 ; 4-byte Folded Reload
	buffer_load_dword v48, off, s[20:23], 0 offset:80 ; 4-byte Folded Reload
	;; [unrolled: 1-line block ×9, first 2 shown]
.LBB147_13:                             ;   Parent Loop BB147_7 Depth=1
                                        ; =>  This Inner Loop Header: Depth=2
	s_and_b32 s17, s15, 0x3ffffff8
	v_lshl_add_u32 v49, s17, 2, v117
	s_waitcnt vmcnt(7)
	ds_read2_b32 v[2:3], v48 offset1:32
	ds_read_b128 v[101:104], v47
	ds_read_b128 v[111:114], v47 offset:16
	ds_read2_b32 v[0:1], v49 offset1:1
	s_add_i32 s18, s15, -16
	s_lshr_b32 s17, s15, 2
	s_and_b32 s16, s15, -16
	s_and_b32 s17, s17, 0x3ffffffc
	s_waitcnt lgkmcnt(0)
	v_ashrrev_i32_e32 v0, s18, v0
	v_and_b32_e32 v69, 0x3030303, v0
	v_ashrrev_i32_e32 v0, s18, v1
	v_and_b32_e32 v68, 0x3030303, v0
	ds_read2_b32 v[0:1], v49 offset0:2 offset1:3
	s_add_i32 s16, s15, s16
	s_addk_i32 s17, 0x7280
	v_mov_b32_e32 v57, 15
	v_mov_b32_e32 v98, v16
	s_waitcnt lgkmcnt(0)
	v_ashrrev_i32_e32 v0, s18, v0
	v_and_b32_e32 v55, 0x3030303, v0
	v_ashrrev_i32_e32 v0, s18, v1
	v_and_b32_e32 v63, 0x3030303, v0
	ds_read2_b32 v[0:1], v49 offset0:4 offset1:5
	s_waitcnt vmcnt(6)
	v_mov_b32_e32 v124, v12
	s_waitcnt vmcnt(0)
	v_mov_b32_e32 v121, v54
	v_mov_b32_e32 v123, v53
	;; [unrolled: 1-line block ×3, first 2 shown]
	s_waitcnt lgkmcnt(0)
	v_ashrrev_i32_e32 v0, s18, v0
	v_and_b32_e32 v64, 0x3030303, v0
	v_ashrrev_i32_e32 v0, s18, v1
	v_and_b32_e32 v65, 0x3030303, v0
	ds_read2_b32 v[0:1], v49 offset0:6 offset1:7
	v_mov_b32_e32 v119, v52
	v_mov_b32_e32 v122, v56
	s_waitcnt lgkmcnt(0)
	v_ashrrev_i32_e32 v0, s18, v0
	v_and_b32_e32 v66, 0x3030303, v0
	v_ashrrev_i32_e32 v0, s18, v1
	v_and_b32_e32 v67, 0x3030303, v0
	v_add_u32_e32 v0, s16, v126
	v_add3_u32 v1, s17, v16, v15
	ds_read_b32 v1, v1
	ds_read_u16 v0, v0 offset:25072
	s_waitcnt lgkmcnt(1)
	v_cvt_f32_f16_sdwa v84, v1 dst_sel:DWORD dst_unused:UNUSED_PAD src0_sel:WORD_1
	s_waitcnt lgkmcnt(0)
	v_bfe_u32 v4, v0, 4, 4
	v_and_b32_e32 v71, 15, v0
	v_lshrrev_b32_sdwa v6, v116, v0 dst_sel:DWORD dst_unused:UNUSED_PAD src0_sel:DWORD src1_sel:BYTE_1
	v_and_b32_sdwa v90, v0, v127 dst_sel:DWORD dst_unused:UNUSED_PAD src0_sel:BYTE_1 src1_sel:DWORD
	v_add_u32_e32 v0, 0x1080, v49
	ds_read2_b32 v[7:8], v0 offset1:1
	v_mul_lo_u32 v72, v4, s9
	v_mul_lo_u32 v88, v6, s9
	v_dot4_i32_i8 v4, v69, v101, 0
	v_dot4_i32_i8 v6, v64, v111, 0
	s_waitcnt lgkmcnt(0)
	v_ashrrev_i32_e32 v0, s18, v7
	v_and_b32_e32 v81, 0x3030303, v0
	v_ashrrev_i32_e32 v0, s18, v8
	v_and_b32_e32 v82, 0x3030303, v0
	v_add_u32_e32 v0, 0x1088, v49
	ds_read2_b32 v[7:8], v0 offset1:1
	v_dot4_i32_i8 v5, v72, v101, 0
	v_dot4_i32_i8 v5, v72, v102, v5
	v_dot4_i32_i8 v5, v72, v103, v5
	v_dot4_i32_i8 v5, v72, v104, v5
	s_waitcnt lgkmcnt(0)
	v_ashrrev_i32_e32 v0, s18, v7
	v_and_b32_e32 v85, 0x3030303, v0
	v_ashrrev_i32_e32 v0, s18, v8
	v_and_b32_e32 v86, 0x3030303, v0
	v_add_u32_e32 v0, 0x1090, v49
	ds_read2_b32 v[7:8], v0 offset1:1
	v_dot4_i32_i8 v5, v88, v111, v5
	v_dot4_i32_i8 v4, v68, v102, v4
	;; [unrolled: 11-line block ×3, first 2 shown]
	v_dot4_i32_i8 v5, v88, v113, v5
	v_dot4_i32_i8 v4, v63, v104, v4
	s_waitcnt lgkmcnt(0)
	v_ashrrev_i32_e32 v0, s18, v7
	v_and_b32_e32 v108, 0x3030303, v0
	v_ashrrev_i32_e32 v0, s18, v8
	v_and_b32_e32 v127, 0x3030303, v0
	v_add_u32_e32 v0, s16, v12
	v_add3_u32 v7, s17, v53, v52
	ds_read_b32 v70, v7
	ds_read_u16 v0, v0 offset:26096
	v_add3_u32 v12, s17, v54, v50
	v_dot4_i32_i8 v6, v67, v114, v6
	v_dot4_i32_i8 v5, v88, v114, v5
	v_mul_lo_u32 v6, v90, v6
	s_waitcnt lgkmcnt(0)
	v_bfe_u32 v7, v0, 4, 4
	v_and_b32_e32 v91, 15, v0
	v_lshrrev_b32_sdwa v9, v116, v0 dst_sel:DWORD dst_unused:UNUSED_PAD src0_sel:DWORD src1_sel:BYTE_1
	v_and_b32_sdwa v109, v0, v57 dst_sel:DWORD dst_unused:UNUSED_PAD src0_sel:BYTE_1 src1_sel:DWORD
	v_add_u32_e32 v0, 0x2100, v49
	ds_read2_b32 v[15:16], v0 offset1:1
	v_mul_lo_u32 v92, v7, s9
	v_mul_lo_u32 v94, v9, s9
	v_dot4_i32_i8 v7, v81, v101, 0
	v_dot4_i32_i8 v9, v89, v111, 0
	s_waitcnt lgkmcnt(0)
	v_ashrrev_i32_e32 v0, s18, v15
	v_and_b32_e32 v96, 0x3030303, v0
	v_ashrrev_i32_e32 v0, s18, v16
	v_and_b32_e32 v95, 0x3030303, v0
	v_add_u32_e32 v0, 0x2108, v49
	ds_read2_b32 v[15:16], v0 offset1:1
	v_dot4_i32_i8 v8, v92, v101, 0
	v_dot4_i32_i8 v8, v92, v102, v8
	v_dot4_i32_i8 v8, v92, v103, v8
	v_dot4_i32_i8 v8, v92, v104, v8
	s_waitcnt lgkmcnt(0)
	v_ashrrev_i32_e32 v0, s18, v15
	v_and_b32_e32 v60, 0x3030303, v0
	v_ashrrev_i32_e32 v0, s18, v16
	v_and_b32_e32 v61, 0x3030303, v0
	v_add_u32_e32 v0, 0x2110, v49
	ds_read2_b32 v[15:16], v0 offset1:1
	v_dot4_i32_i8 v8, v94, v111, v8
	v_dot4_i32_i8 v7, v82, v102, v7
	;; [unrolled: 11-line block ×3, first 2 shown]
	v_dot4_i32_i8 v8, v94, v113, v8
	v_dot4_i32_i8 v7, v86, v104, v7
	s_waitcnt lgkmcnt(0)
	v_ashrrev_i32_e32 v0, s18, v15
	v_and_b32_e32 v83, 0x3030303, v0
	v_ashrrev_i32_e32 v0, s18, v16
	v_and_b32_e32 v87, 0x3030303, v0
	v_add_u32_e32 v0, s16, v51
	ds_read_b32 v59, v12
	ds_read_u16 v0, v0 offset:27120
	v_dot4_i32_i8 v9, v127, v114, v9
	v_dot4_i32_i8 v8, v94, v114, v8
	v_cvt_f32_i32_e32 v5, v5
	v_cvt_f32_f16_sdwa v93, v70 dst_sel:DWORD dst_unused:UNUSED_PAD src0_sel:WORD_1
	s_waitcnt lgkmcnt(0)
	v_bfe_u32 v12, v0, 4, 4
	v_mul_lo_u32 v99, v12, s9
	v_dot4_i32_i8 v12, v96, v101, 0
	v_dot4_i32_i8 v12, v95, v102, v12
	;; [unrolled: 1-line block ×8, first 2 shown]
	v_lshrrev_b32_sdwa v15, v116, v0 dst_sel:DWORD dst_unused:UNUSED_PAD src0_sel:DWORD src1_sel:BYTE_1
	v_mul_lo_u32 v105, v15, s9
	v_dot4_i32_i8 v15, v62, v111, 0
	v_dot4_i32_i8 v15, v80, v112, v15
	v_and_b32_e32 v97, 15, v0
	v_dot4_i32_i8 v15, v83, v113, v15
	v_and_b32_sdwa v106, v0, v57 dst_sel:DWORD dst_unused:UNUSED_PAD src0_sel:BYTE_1 src1_sel:DWORD
	v_add_u32_e32 v0, 0x3180, v49
	v_dot4_i32_i8 v74, v87, v114, v15
	ds_read2_b32 v[15:16], v0 offset1:1
	v_dot4_i32_i8 v12, v105, v111, v12
	v_dot4_i32_i8 v12, v105, v112, v12
	;; [unrolled: 1-line block ×4, first 2 shown]
	s_waitcnt lgkmcnt(0)
	v_ashrrev_i32_e32 v0, s18, v15
	v_and_b32_e32 v79, 0x3030303, v0
	v_ashrrev_i32_e32 v0, s18, v16
	v_and_b32_e32 v12, 0x3030303, v0
	v_add_u32_e32 v0, 0x3188, v49
	ds_read2_b32 v[15:16], v0 offset1:1
	v_mul_f32_e32 v5, v84, v5
	v_cvt_f32_f16_sdwa v100, v59 dst_sel:DWORD dst_unused:UNUSED_PAD src0_sel:WORD_1
	s_waitcnt lgkmcnt(0)
	v_ashrrev_i32_e32 v0, s18, v15
	v_and_b32_e32 v78, 0x3030303, v0
	v_ashrrev_i32_e32 v0, s18, v16
	v_and_b32_e32 v76, 0x3030303, v0
	v_add_u32_e32 v0, 0x3190, v49
	ds_read2_b32 v[15:16], v0 offset1:1
	s_waitcnt lgkmcnt(0)
	v_ashrrev_i32_e32 v0, s18, v15
	v_and_b32_e32 v77, 0x3030303, v0
	v_ashrrev_i32_e32 v0, s18, v16
	v_and_b32_e32 v73, 0x3030303, v0
	v_add_u32_e32 v0, 0x3198, v49
	ds_read2_b32 v[15:16], v0 offset1:1
	v_dot4_i32_i8 v50, v77, v111, 0
	v_dot4_i32_i8 v50, v73, v112, v50
	s_waitcnt lgkmcnt(0)
	v_ashrrev_i32_e32 v0, s18, v15
	v_and_b32_e32 v54, 0x3030303, v0
	v_ashrrev_i32_e32 v0, s18, v16
	v_add3_u32 v15, s17, v58, v115
	v_and_b32_e32 v53, 0x3030303, v0
	v_add_u32_e32 v0, s16, v56
	ds_read_b32 v49, v15
	ds_read_u16 v15, v0 offset:28144
	v_dot4_i32_i8 v50, v54, v113, v50
	s_waitcnt lgkmcnt(0)
	v_bfe_u32 v0, v15, 4, 4
	v_mul_lo_u32 v75, v0, s9
	v_dot4_i32_i8 v0, v79, v101, 0
	v_dot4_i32_i8 v0, v12, v102, v0
	;; [unrolled: 1-line block ×4, first 2 shown]
	v_lshrrev_b32_sdwa v0, v116, v15 dst_sel:DWORD dst_unused:UNUSED_PAD src0_sel:DWORD src1_sel:BYTE_1
	v_dot4_i32_i8 v16, v75, v101, 0
	v_mul_lo_u32 v0, v0, s9
	v_dot4_i32_i8 v16, v75, v102, v16
	v_dot4_i32_i8 v16, v75, v103, v16
	;; [unrolled: 1-line block ×8, first 2 shown]
	ds_read_b128 v[101:104], v47 offset:1024
	ds_read_b128 v[113:116], v47 offset:1040
	v_and_b32_e32 v51, 15, v15
	v_and_b32_sdwa v52, v15, v57 dst_sel:DWORD dst_unused:UNUSED_PAD src0_sel:BYTE_1 src1_sel:DWORD
	v_cvt_f32_f16_sdwa v50, v49 dst_sel:DWORD dst_unused:UNUSED_PAD src0_sel:WORD_1
	s_waitcnt lgkmcnt(1)
	v_dot4_i32_i8 v15, v69, v101, 0
	v_dot4_i32_i8 v16, v72, v101, 0
	;; [unrolled: 1-line block ×8, first 2 shown]
	s_waitcnt lgkmcnt(0)
	v_dot4_i32_i8 v56, v64, v113, 0
	v_dot4_i32_i8 v16, v88, v113, v16
	v_mul_lo_u32 v15, v71, v15
	v_dot4_i32_i8 v56, v65, v114, v56
	v_dot4_i32_i8 v16, v88, v114, v16
	;; [unrolled: 1-line block ×6, first 2 shown]
                                        ; kill: def $vgpr16 killed $sgpr0 killed $exec
	v_mad_u64_u32 v[15:16], s[16:17], v90, v56, v[15:16]
	v_mad_u64_u32 v[56:57], s[16:17], v71, v4, v[6:7]
	v_cvt_f32_i32_e32 v6, v15
	v_cvt_f32_i32_e32 v15, v58
	;; [unrolled: 1-line block ×3, first 2 shown]
	v_mul_f32_e32 v15, v84, v15
	v_fma_mix_f32 v4, v1, v4, -v5 op_sel_hi:[1,0,0]
	v_fma_f32 v11, v2, v4, v11
	v_dot4_i32_i8 v4, v81, v101, 0
	v_dot4_i32_i8 v5, v92, v101, 0
	;; [unrolled: 1-line block ×4, first 2 shown]
	v_fma_mix_f32 v6, v1, v6, -v15 op_sel_hi:[1,0,0]
	v_dot4_i32_i8 v4, v85, v103, v4
	v_dot4_i32_i8 v5, v92, v103, v5
	v_fmac_f32_e32 v10, v3, v6
	v_dot4_i32_i8 v6, v86, v104, v4
	v_dot4_i32_i8 v4, v92, v104, v5
	v_dot4_i32_i8 v5, v89, v113, 0
	v_dot4_i32_i8 v5, v107, v114, v5
	v_dot4_i32_i8 v5, v108, v115, v5
	v_dot4_i32_i8 v15, v127, v116, v5
	v_mul_lo_u32 v5, v91, v6
	v_dot4_i32_i8 v4, v94, v113, v4
	v_dot4_i32_i8 v4, v94, v114, v4
	;; [unrolled: 1-line block ×3, first 2 shown]
                                        ; kill: def $vgpr6 killed $sgpr0 killed $exec
	v_dot4_i32_i8 v16, v94, v116, v4
	v_mul_lo_u32 v4, v109, v9
	v_mad_u64_u32 v[5:6], s[16:17], v109, v15, v[5:6]
	v_mad_u64_u32 v[6:7], s[16:17], v91, v7, v[4:5]
	v_cvt_f32_i32_e32 v7, v8
	v_cvt_f32_i32_e32 v5, v5
	;; [unrolled: 1-line block ×4, first 2 shown]
	v_mul_f32_e32 v7, v93, v7
	v_fma_mix_f32 v4, v70, v4, -v7 op_sel_hi:[1,0,0]
	v_mul_f32_e32 v6, v93, v6
	v_fma_mix_f32 v5, v70, v5, -v6 op_sel_hi:[1,0,0]
	v_fma_f32 v40, v2, v4, v40
	v_fmac_f32_e32 v39, v3, v5
	v_dot4_i32_i8 v4, v96, v101, 0
	v_dot4_i32_i8 v5, v99, v101, 0
	;; [unrolled: 1-line block ×12, first 2 shown]
	v_mul_lo_u32 v5, v97, v6
	v_dot4_i32_i8 v4, v105, v113, v4
	v_dot4_i32_i8 v4, v105, v114, v4
	v_dot4_i32_i8 v4, v105, v115, v4
                                        ; kill: def $vgpr6 killed $sgpr0 killed $exec
	v_dot4_i32_i8 v8, v105, v116, v4
	v_mul_lo_u32 v4, v106, v74
	v_mad_u64_u32 v[5:6], s[16:17], v106, v7, v[5:6]
	v_mad_u64_u32 v[6:7], s[16:17], v97, v45, v[4:5]
	v_cvt_f32_i32_e32 v7, v46
	v_cvt_f32_i32_e32 v5, v5
	;; [unrolled: 1-line block ×4, first 2 shown]
	v_mul_f32_e32 v7, v100, v7
	v_fma_mix_f32 v4, v59, v4, -v7 op_sel_hi:[1,0,0]
	v_mul_f32_e32 v6, v100, v6
	v_fma_mix_f32 v5, v59, v5, -v6 op_sel_hi:[1,0,0]
	v_fma_f32 v42, v2, v4, v42
	v_fmac_f32_e32 v41, v3, v5
	v_dot4_i32_i8 v4, v79, v101, 0
	v_dot4_i32_i8 v5, v75, v101, 0
	;; [unrolled: 1-line block ×12, first 2 shown]
	v_mul_lo_u32 v5, v51, v6
	v_dot4_i32_i8 v4, v0, v113, v4
	v_dot4_i32_i8 v4, v0, v114, v4
	;; [unrolled: 1-line block ×3, first 2 shown]
                                        ; kill: def $vgpr6 killed $sgpr0 killed $exec
	v_dot4_i32_i8 v8, v0, v116, v4
	v_mul_lo_u32 v4, v52, v112
	v_mad_u64_u32 v[5:6], s[16:17], v52, v7, v[5:6]
	v_mad_u64_u32 v[6:7], s[16:17], v51, v110, v[4:5]
	v_cvt_f32_i32_e32 v7, v111
	v_cvt_f32_i32_e32 v5, v5
	v_cvt_f32_i32_e32 v4, v6
	v_cvt_f32_i32_e32 v6, v8
	v_mul_f32_e32 v7, v50, v7
	v_fma_mix_f32 v4, v49, v4, -v7 op_sel_hi:[1,0,0]
	v_mul_f32_e32 v6, v50, v6
	v_fma_mix_f32 v5, v49, v5, -v6 op_sel_hi:[1,0,0]
	v_fma_f32 v44, v2, v4, v44
	v_fmac_f32_e32 v43, v3, v5
	ds_read2_b32 v[45:46], v48 offset0:64 offset1:96
	ds_read_b128 v[6:9], v47 offset:2048
	ds_read_b128 v[2:5], v47 offset:2064
	s_waitcnt lgkmcnt(1)
	v_dot4_i32_i8 v15, v69, v6, 0
	v_dot4_i32_i8 v16, v72, v6, 0
	;; [unrolled: 1-line block ×8, first 2 shown]
	s_waitcnt lgkmcnt(0)
	v_dot4_i32_i8 v16, v64, v2, 0
	v_dot4_i32_i8 v15, v88, v2, v15
	v_dot4_i32_i8 v16, v65, v3, v16
	v_dot4_i32_i8 v15, v88, v3, v15
	v_dot4_i32_i8 v16, v66, v4, v16
	v_dot4_i32_i8 v56, v88, v4, v15
	v_dot4_i32_i8 v15, v67, v5, v16
	v_dot4_i32_i8 v16, v81, v6, 0
	v_dot4_i32_i8 v57, v92, v6, 0
	v_dot4_i32_i8 v16, v82, v7, v16
	v_dot4_i32_i8 v57, v92, v7, v57
	v_dot4_i32_i8 v16, v85, v8, v16
	v_dot4_i32_i8 v57, v92, v8, v57
	v_dot4_i32_i8 v112, v86, v9, v16
	v_dot4_i32_i8 v16, v92, v9, v57
	v_dot4_i32_i8 v57, v89, v2, 0
	v_dot4_i32_i8 v16, v94, v2, v16
	v_dot4_i32_i8 v57, v107, v3, v57
	v_dot4_i32_i8 v16, v94, v3, v16
	v_dot4_i32_i8 v57, v108, v4, v57
	v_dot4_i32_i8 v16, v94, v4, v16
	v_dot4_i32_i8 v126, v127, v5, v57
	v_dot4_i32_i8 v114, v94, v5, v16
	v_dot4_i32_i8 v16, v96, v6, 0
	v_dot4_i32_i8 v57, v99, v6, 0
	v_dot4_i32_i8 v16, v95, v7, v16
	v_dot4_i32_i8 v57, v99, v7, v57
	v_dot4_i32_i8 v16, v60, v8, v16
	v_dot4_i32_i8 v57, v99, v8, v57
	v_dot4_i32_i8 v74, v61, v9, v16
	v_dot4_i32_i8 v16, v99, v9, v57
	v_dot4_i32_i8 v16, v105, v2, v16
	v_dot4_i32_i8 v16, v105, v3, v16
	v_dot4_i32_i8 v16, v105, v4, v16
	v_dot4_i32_i8 v110, v105, v5, v16
	v_dot4_i32_i8 v16, v79, v6, 0
	v_dot4_i32_i8 v6, v75, v6, 0
	v_dot4_i32_i8 v57, v62, v2, 0
	v_dot4_i32_i8 v6, v75, v7, v6
	v_dot4_i32_i8 v57, v80, v3, v57
	v_dot4_i32_i8 v16, v12, v7, v16
	v_dot4_i32_i8 v6, v75, v8, v6
	v_dot4_i32_i8 v57, v83, v4, v57
	v_dot4_i32_i8 v7, v78, v8, v16
	v_dot4_i32_i8 v6, v75, v9, v6
	v_dot4_i32_i8 v111, v87, v5, v57
	v_dot4_i32_i8 v57, v76, v9, v7
	v_dot4_i32_i8 v7, v77, v2, 0
	v_dot4_i32_i8 v2, v0, v2, v6
	v_dot4_i32_i8 v6, v73, v3, v7
	v_dot4_i32_i8 v2, v0, v3, v2
	v_dot4_i32_i8 v3, v54, v4, v6
	v_dot4_i32_i8 v2, v0, v4, v2
	v_dot4_i32_i8 v56, v88, v5, v56
	v_dot4_i32_i8 v115, v53, v5, v3
	v_dot4_i32_i8 v113, v0, v5, v2
	ds_read_b128 v[6:9], v47 offset:3072
	ds_read_b128 v[2:5], v47 offset:3088
	v_mul_lo_u32 v15, v15, v90
	v_cvt_f32_i32_e32 v56, v56
	s_waitcnt lgkmcnt(1)
	v_dot4_i32_i8 v16, v69, v6, 0
	v_dot4_i32_i8 v101, v72, v6, 0
	;; [unrolled: 1-line block ×8, first 2 shown]
	s_waitcnt lgkmcnt(0)
	v_dot4_i32_i8 v102, v64, v2, 0
	v_mul_lo_u32 v16, v16, v71
	v_dot4_i32_i8 v101, v88, v2, v101
	v_dot4_i32_i8 v102, v65, v3, v102
	;; [unrolled: 1-line block ×7, first 2 shown]
	v_mad_u64_u32 v[101:102], s[16:17], v102, v90, v[16:17]
                                        ; kill: def $vgpr16 killed $sgpr0 killed $exec
	v_mul_f32_e32 v56, v84, v56
	v_mad_u64_u32 v[15:16], s[16:17], v58, v71, v[15:16]
	v_cvt_f32_i32_e32 v58, v103
	v_cvt_f32_i32_e32 v16, v101
	;; [unrolled: 1-line block ×3, first 2 shown]
	v_mul_f32_e32 v58, v84, v58
	v_fma_mix_f32 v16, v1, v16, -v58 op_sel_hi:[1,0,0]
	v_fma_mix_f32 v15, v1, v15, -v56 op_sel_hi:[1,0,0]
	v_fma_f32 v32, v45, v15, v32
	v_fmac_f32_e32 v31, v46, v16
	v_dot4_i32_i8 v15, v81, v6, 0
	v_dot4_i32_i8 v16, v92, v6, 0
	;; [unrolled: 1-line block ×15, first 2 shown]
	v_mul_lo_u32 v16, v56, v91
	v_dot4_i32_i8 v103, v94, v5, v15
	v_mul_lo_u32 v15, v126, v109
	v_cvt_f32_i32_e32 v56, v103
	v_mad_u64_u32 v[101:102], s[16:17], v58, v109, v[16:17]
                                        ; kill: def $vgpr16 killed $sgpr0 killed $exec
	v_cvt_f32_i32_e32 v58, v114
	v_mad_u64_u32 v[15:16], s[16:17], v112, v91, v[15:16]
	v_cvt_f32_i32_e32 v16, v101
	v_mul_f32_e32 v58, v93, v58
	v_cvt_f32_i32_e32 v15, v15
	v_mul_f32_e32 v56, v93, v56
	v_fma_mix_f32 v16, v70, v16, -v56 op_sel_hi:[1,0,0]
	v_fmac_f32_e32 v33, v46, v16
	v_fma_mix_f32 v15, v70, v15, -v58 op_sel_hi:[1,0,0]
	v_fma_f32 v34, v45, v15, v34
	v_dot4_i32_i8 v15, v96, v6, 0
	v_dot4_i32_i8 v16, v99, v6, 0
	;; [unrolled: 1-line block ×15, first 2 shown]
	v_mul_lo_u32 v16, v56, v97
	v_dot4_i32_i8 v103, v105, v5, v15
	v_mul_lo_u32 v15, v111, v106
	v_cvt_f32_i32_e32 v56, v103
	v_mad_u64_u32 v[101:102], s[16:17], v58, v106, v[16:17]
                                        ; kill: def $vgpr16 killed $sgpr0 killed $exec
	v_cvt_f32_i32_e32 v58, v110
	v_mad_u64_u32 v[15:16], s[16:17], v74, v97, v[15:16]
	v_cvt_f32_i32_e32 v16, v101
	v_mul_f32_e32 v58, v100, v58
	v_cvt_f32_i32_e32 v15, v15
	v_mul_f32_e32 v56, v100, v56
	v_fma_mix_f32 v16, v59, v16, -v56 op_sel_hi:[1,0,0]
	v_fmac_f32_e32 v35, v46, v16
	v_fma_mix_f32 v15, v59, v15, -v58 op_sel_hi:[1,0,0]
	v_fma_f32 v36, v45, v15, v36
	v_dot4_i32_i8 v15, v79, v6, 0
	v_dot4_i32_i8 v6, v75, v6, 0
	;; [unrolled: 1-line block ×15, first 2 shown]
	v_mul_lo_u32 v3, v7, v51
	v_dot4_i32_i8 v6, v0, v5, v2
	v_mul_lo_u32 v2, v115, v52
	v_mov_b32_e32 v126, v120
	v_mad_u64_u32 v[3:4], s[16:17], v4, v52, v[3:4]
	v_mad_u64_u32 v[4:5], s[16:17], v57, v51, v[2:3]
	v_cvt_f32_i32_e32 v5, v113
	v_cvt_f32_i32_e32 v3, v3
	;; [unrolled: 1-line block ×4, first 2 shown]
	v_mul_f32_e32 v5, v50, v5
	v_fma_mix_f32 v2, v49, v2, -v5 op_sel_hi:[1,0,0]
	v_mul_f32_e32 v4, v50, v4
	v_fma_mix_f32 v3, v49, v3, -v4 op_sel_hi:[1,0,0]
	v_fma_f32 v38, v45, v2, v38
	v_fmac_f32_e32 v37, v46, v3
	ds_read2_b32 v[45:46], v48 offset0:128 offset1:160
	ds_read_b128 v[6:9], v47 offset:4096
	ds_read_b128 v[2:5], v47 offset:4112
	s_waitcnt lgkmcnt(1)
	v_dot4_i32_i8 v15, v69, v6, 0
	s_waitcnt lgkmcnt(0)
	v_dot4_i32_i8 v56, v89, v2, 0
	v_dot4_i32_i8 v56, v107, v3, v56
	;; [unrolled: 1-line block ×63, first 2 shown]
	ds_read_b128 v[6:9], v47 offset:5120
	ds_read_b128 v[2:5], v47 offset:5136
	v_cvt_f32_i32_e32 v16, v16
	s_waitcnt lgkmcnt(1)
	v_dot4_i32_i8 v101, v69, v6, 0
	v_dot4_i32_i8 v102, v72, v6, 0
	;; [unrolled: 1-line block ×8, first 2 shown]
	s_waitcnt lgkmcnt(0)
	v_dot4_i32_i8 v102, v64, v2, 0
	v_dot4_i32_i8 v102, v65, v3, v102
	;; [unrolled: 1-line block ×4, first 2 shown]
	v_mul_lo_u32 v102, v103, v71
	v_dot4_i32_i8 v101, v88, v2, v101
	v_dot4_i32_i8 v101, v88, v3, v101
	;; [unrolled: 1-line block ×3, first 2 shown]
                                        ; kill: def $vgpr103 killed $sgpr0 killed $exec
	v_dot4_i32_i8 v116, v88, v5, v101
	v_mul_lo_u32 v101, v115, v90
	v_mad_u64_u32 v[102:103], s[16:17], v104, v90, v[102:103]
	v_mul_f32_e32 v16, v93, v16
	v_mad_u64_u32 v[103:104], s[16:17], v113, v71, v[101:102]
	v_cvt_f32_i32_e32 v104, v114
	v_cvt_f32_i32_e32 v102, v102
	;; [unrolled: 1-line block ×4, first 2 shown]
	v_mul_f32_e32 v104, v84, v104
	v_mov_b32_e32 v116, 4
	v_fma_mix_f32 v101, v1, v101, -v104 op_sel_hi:[1,0,0]
	v_mul_f32_e32 v103, v84, v103
	v_fma_mix_f32 v102, v1, v102, -v103 op_sel_hi:[1,0,0]
	v_fma_f32 v24, v45, v101, v24
	v_fmac_f32_e32 v23, v46, v102
	v_dot4_i32_i8 v101, v81, v6, 0
	v_dot4_i32_i8 v102, v92, v6, 0
	;; [unrolled: 1-line block ×12, first 2 shown]
	v_mul_lo_u32 v102, v103, v91
	v_dot4_i32_i8 v101, v94, v2, v101
	v_dot4_i32_i8 v101, v94, v3, v101
	;; [unrolled: 1-line block ×3, first 2 shown]
                                        ; kill: def $vgpr103 killed $sgpr0 killed $exec
	v_dot4_i32_i8 v113, v94, v5, v101
	v_mul_lo_u32 v101, v112, v109
	v_mad_u64_u32 v[102:103], s[16:17], v104, v109, v[102:103]
	v_mad_u64_u32 v[103:104], s[16:17], v15, v91, v[101:102]
	v_cvt_f32_i32_e32 v101, v102
	v_cvt_f32_i32_e32 v102, v113
	;; [unrolled: 1-line block ×3, first 2 shown]
	v_mul_f32_e32 v102, v93, v102
	v_fma_mix_f32 v15, v70, v15, -v16 op_sel_hi:[1,0,0]
	v_fma_f32 v26, v45, v15, v26
	v_dot4_i32_i8 v15, v96, v6, 0
	v_dot4_i32_i8 v16, v99, v6, 0
	;; [unrolled: 1-line block ×4, first 2 shown]
	v_fma_mix_f32 v101, v70, v101, -v102 op_sel_hi:[1,0,0]
	v_dot4_i32_i8 v15, v60, v8, v15
	v_dot4_i32_i8 v16, v99, v8, v16
	v_fmac_f32_e32 v25, v46, v101
	v_dot4_i32_i8 v101, v61, v9, v15
	v_dot4_i32_i8 v15, v99, v9, v16
	;; [unrolled: 1-line block ×9, first 2 shown]
	v_mul_lo_u32 v16, v101, v97
	v_dot4_i32_i8 v103, v105, v5, v15
	v_mul_lo_u32 v15, v111, v106
	v_mad_u64_u32 v[101:102], s[16:17], v102, v106, v[16:17]
                                        ; kill: def $vgpr16 killed $sgpr0 killed $exec
	v_mad_u64_u32 v[15:16], s[16:17], v57, v97, v[15:16]
	v_cvt_f32_i32_e32 v16, v101
	v_cvt_f32_i32_e32 v101, v110
	;; [unrolled: 1-line block ×4, first 2 shown]
	v_mul_f32_e32 v101, v100, v101
	v_fma_mix_f32 v15, v59, v15, -v101 op_sel_hi:[1,0,0]
	v_fma_f32 v28, v45, v15, v28
	v_dot4_i32_i8 v15, v79, v6, 0
	v_dot4_i32_i8 v6, v75, v6, 0
	v_dot4_i32_i8 v6, v75, v7, v6
	v_dot4_i32_i8 v15, v12, v7, v15
	v_dot4_i32_i8 v6, v75, v8, v6
	v_dot4_i32_i8 v7, v78, v8, v15
	v_dot4_i32_i8 v6, v75, v9, v6
	v_dot4_i32_i8 v8, v77, v2, 0
	v_dot4_i32_i8 v2, v0, v2, v6
	v_dot4_i32_i8 v6, v73, v3, v8
	v_dot4_i32_i8 v7, v76, v9, v7
	v_dot4_i32_i8 v2, v0, v3, v2
	v_dot4_i32_i8 v3, v54, v4, v6
	v_dot4_i32_i8 v2, v0, v4, v2
	v_dot4_i32_i8 v4, v53, v5, v3
	v_mul_lo_u32 v3, v7, v51
	v_dot4_i32_i8 v6, v0, v5, v2
	v_mul_lo_u32 v2, v56, v52
	v_mul_f32_e32 v57, v100, v57
	v_mad_u64_u32 v[3:4], s[16:17], v4, v52, v[3:4]
	v_fma_mix_f32 v16, v59, v16, -v57 op_sel_hi:[1,0,0]
	v_fmac_f32_e32 v27, v46, v16
	v_mad_u64_u32 v[4:5], s[16:17], v74, v51, v[2:3]
	v_cvt_f32_i32_e32 v5, v58
	v_cvt_f32_i32_e32 v3, v3
	;; [unrolled: 1-line block ×4, first 2 shown]
	v_mul_f32_e32 v5, v50, v5
	v_fma_mix_f32 v2, v49, v2, -v5 op_sel_hi:[1,0,0]
	v_mul_f32_e32 v4, v50, v4
	v_fma_mix_f32 v3, v49, v3, -v4 op_sel_hi:[1,0,0]
	v_fma_f32 v30, v45, v2, v30
	v_fmac_f32_e32 v29, v46, v3
	ds_read2_b32 v[45:46], v48 offset0:192 offset1:224
	ds_read_b128 v[6:9], v47 offset:6144
	ds_read_b128 v[2:5], v47 offset:6160
	v_add_u32_e32 v48, 4, v48
	s_waitcnt lgkmcnt(1)
	v_dot4_i32_i8 v15, v69, v6, 0
	v_dot4_i32_i8 v16, v72, v6, 0
	;; [unrolled: 1-line block ×8, first 2 shown]
	s_waitcnt lgkmcnt(0)
	v_dot4_i32_i8 v16, v64, v2, 0
	v_dot4_i32_i8 v15, v88, v2, v15
	;; [unrolled: 1-line block ×56, first 2 shown]
	ds_read_b128 v[6:9], v47 offset:7168
	ds_read_b128 v[2:5], v47 offset:7184
	v_cvt_f32_i32_e32 v58, v58
	v_cvt_f32_i32_e32 v16, v16
	v_add_u32_e32 v47, 32, v47
	s_waitcnt lgkmcnt(1)
	v_dot4_i32_i8 v69, v69, v6, 0
	v_dot4_i32_i8 v101, v72, v6, 0
	;; [unrolled: 1-line block ×8, first 2 shown]
	s_waitcnt lgkmcnt(0)
	v_dot4_i32_i8 v55, v88, v2, v55
	v_dot4_i32_i8 v64, v64, v2, 0
	;; [unrolled: 1-line block ×5, first 2 shown]
	v_mul_lo_u32 v63, v63, v71
	v_dot4_i32_i8 v64, v66, v4, v64
	v_dot4_i32_i8 v66, v88, v5, v55
	v_mul_lo_u32 v55, v115, v90
	v_dot4_i32_i8 v64, v67, v5, v64
	v_mad_u64_u32 v[63:64], s[16:17], v64, v90, v[63:64]
	v_mad_u64_u32 v[64:65], s[16:17], v113, v71, v[55:56]
	v_cvt_f32_i32_e32 v65, v114
	v_cvt_f32_i32_e32 v63, v63
	;; [unrolled: 1-line block ×4, first 2 shown]
	v_mul_f32_e32 v65, v84, v65
	v_mul_f32_e32 v58, v93, v58
	v_mul_f32_e32 v16, v100, v16
	v_mul_f32_e32 v64, v84, v64
	v_fma_mix_f32 v63, v1, v63, -v64 op_sel_hi:[1,0,0]
	v_fma_mix_f32 v1, v1, v55, -v65 op_sel_hi:[1,0,0]
	v_fma_f32 v14, v45, v1, v14
	v_dot4_i32_i8 v1, v81, v6, 0
	v_dot4_i32_i8 v55, v92, v6, 0
	;; [unrolled: 1-line block ×6, first 2 shown]
	v_fmac_f32_e32 v13, v46, v63
	v_dot4_i32_i8 v63, v86, v9, v1
	v_dot4_i32_i8 v1, v92, v9, v55
	;; [unrolled: 1-line block ×9, first 2 shown]
	v_mul_lo_u32 v55, v63, v91
	v_dot4_i32_i8 v66, v94, v5, v1
	v_mul_lo_u32 v1, v112, v109
	buffer_load_dword v115, off, s[20:23], 0 offset:4 ; 4-byte Folded Reload
	v_mad_u64_u32 v[63:64], s[16:17], v64, v109, v[55:56]
	v_mad_u64_u32 v[64:65], s[16:17], v57, v91, v[1:2]
	v_cvt_f32_i32_e32 v57, v66
	v_cvt_f32_i32_e32 v55, v63
	;; [unrolled: 1-line block ×3, first 2 shown]
	v_mov_b32_e32 v127, 15
	v_mul_f32_e32 v57, v93, v57
	v_fma_mix_f32 v55, v70, v55, -v57 op_sel_hi:[1,0,0]
	v_fma_mix_f32 v1, v70, v1, -v58 op_sel_hi:[1,0,0]
	v_fma_f32 v18, v45, v1, v18
	v_fmac_f32_e32 v17, v46, v55
	v_dot4_i32_i8 v1, v96, v6, 0
	v_dot4_i32_i8 v55, v99, v6, 0
	;; [unrolled: 1-line block ×15, first 2 shown]
	v_mul_lo_u32 v55, v57, v97
	v_dot4_i32_i8 v60, v105, v5, v1
	v_mul_lo_u32 v1, v56, v106
                                        ; kill: def $vgpr56 killed $sgpr0 killed $exec
	v_mad_u64_u32 v[55:56], s[16:17], v58, v106, v[55:56]
	v_mad_u64_u32 v[56:57], s[16:17], v15, v97, v[1:2]
	v_cvt_f32_i32_e32 v15, v55
	v_cvt_f32_i32_e32 v55, v60
	;; [unrolled: 1-line block ×3, first 2 shown]
	buffer_load_dword v58, off, s[20:23], 0 offset:8 ; 4-byte Folded Reload
	v_mov_b32_e32 v56, v122
	v_mul_f32_e32 v55, v100, v55
	v_fma_mix_f32 v1, v59, v1, -v16 op_sel_hi:[1,0,0]
	v_fma_f32 v20, v45, v1, v20
	v_dot4_i32_i8 v1, v79, v6, 0
	v_dot4_i32_i8 v6, v75, v6, 0
	;; [unrolled: 1-line block ×12, first 2 shown]
	v_mul_lo_u32 v1, v1, v51
	v_dot4_i32_i8 v3, v54, v4, v6
	v_dot4_i32_i8 v2, v0, v4, v2
	v_mul_lo_u32 v4, v111, v52
	v_dot4_i32_i8 v3, v53, v5, v3
	v_dot4_i32_i8 v0, v0, v5, v2
                                        ; kill: def $vgpr2 killed $sgpr0 killed $exec
	v_cvt_f32_i32_e32 v0, v0
	v_mad_u64_u32 v[2:3], s[16:17], v3, v52, v[1:2]
	v_mad_u64_u32 v[3:4], s[16:17], v110, v51, v[4:5]
	v_fma_mix_f32 v15, v59, v15, -v55 op_sel_hi:[1,0,0]
	v_fmac_f32_e32 v19, v46, v15
	v_cvt_f32_i32_e32 v1, v3
	v_cvt_f32_i32_e32 v3, v74
	buffer_load_dword v15, off, s[20:23], 0 offset:20 ; 4-byte Folded Reload
	v_mul_f32_e32 v0, v50, v0
	v_cvt_f32_i32_e32 v2, v2
	v_mul_f32_e32 v3, v50, v3
	buffer_load_dword v50, off, s[20:23], 0 ; 4-byte Folded Reload
	v_fma_mix_f32 v1, v49, v1, -v3 op_sel_hi:[1,0,0]
	v_fma_mix_f32 v0, v49, v2, -v0 op_sel_hi:[1,0,0]
	s_add_i32 s16, s15, 2
	v_mov_b32_e32 v16, v98
	v_mov_b32_e32 v12, v124
	;; [unrolled: 1-line block ×6, first 2 shown]
	v_fma_f32 v22, v45, v1, v22
	v_fmac_f32_e32 v21, v46, v0
	s_cmp_lt_u32 s15, 22
	s_mov_b32 s15, s16
	s_cbranch_scc1 .LBB147_13
; %bb.14:                               ;   in Loop: Header=BB147_7 Depth=1
	s_waitcnt vmcnt(0)
	s_barrier
	buffer_load_dword v0, off, s[20:23], 0 offset:284 ; 4-byte Folded Reload
	s_waitcnt vmcnt(0)
	v_add_u32_e32 v2, s14, v0
	buffer_load_dword v0, off, s[20:23], 0 offset:40 ; 4-byte Folded Reload
	buffer_load_dword v3, off, s[20:23], 0 offset:72 ; 4-byte Folded Reload
	;; [unrolled: 1-line block ×3, first 2 shown]
	s_waitcnt vmcnt(2)
	v_add_u32_e32 v0, v2, v0
	s_waitcnt vmcnt(0)
	v_mad_i64_i32 v[0:1], s[14:15], v0, 36, v[3:4]
	global_load_dword v0, v[0:1], off offset:4
	s_nop 0
	buffer_load_dword v1, off, s[20:23], 0 offset:120 ; 4-byte Folded Reload
	s_waitcnt vmcnt(0)
	ds_write_b32 v1, v0
	buffer_load_dword v0, off, s[20:23], 0 offset:44 ; 4-byte Folded Reload
	s_waitcnt vmcnt(0)
	v_add_u32_e32 v0, v2, v0
	v_mad_i64_i32 v[0:1], s[14:15], v0, 36, v[3:4]
	global_load_dword v0, v[0:1], off offset:4
	s_nop 0
	buffer_load_dword v1, off, s[20:23], 0 offset:88 ; 4-byte Folded Reload
	s_waitcnt vmcnt(0)
	ds_write_b32 v1, v0
	buffer_load_dword v0, off, s[20:23], 0 offset:48 ; 4-byte Folded Reload
	s_waitcnt vmcnt(0)
	v_add_u32_e32 v0, v2, v0
	;; [unrolled: 9-line block ×8, first 2 shown]
	v_mad_u64_u32 v[0:1], s[14:15], v0, 36, s[2:3]
	s_mov_b32 s14, 24
	global_load_dword v0, v[0:1], off
	s_nop 0
	buffer_load_dword v1, off, s[20:23], 0 offset:36 ; 4-byte Folded Reload
	s_waitcnt vmcnt(1)
	v_cvt_f32_f16_e32 v0, v0
	s_waitcnt vmcnt(0)
	ds_write_b32 v1, v0
	s_waitcnt lgkmcnt(0)
	s_barrier
	buffer_load_dword v47, off, s[20:23], 0 offset:84 ; 4-byte Folded Reload
	buffer_load_dword v48, off, s[20:23], 0 offset:80 ; 4-byte Folded Reload
.LBB147_15:                             ;   Parent Loop BB147_7 Depth=1
                                        ; =>  This Inner Loop Header: Depth=2
	s_and_b32 s16, s14, 0x3ffffff8
	v_lshl_add_u32 v49, s16, 2, v117
	s_waitcnt vmcnt(0)
	ds_read2_b32 v[45:46], v48 offset1:32
	ds_read_b128 v[6:9], v47
	ds_read_b128 v[2:5], v47 offset:16
	ds_read2_b32 v[0:1], v49 offset1:1
	s_sub_i32 s17, s14, 24
	s_lshr_b32 s16, s14, 2
	s_and_b32 s16, s16, 0x3ffffffc
	s_addk_i32 s16, 0x7280
	s_waitcnt lgkmcnt(0)
	v_ashrrev_i32_e32 v0, s17, v0
	v_and_b32_e32 v84, 0x3030303, v0
	v_ashrrev_i32_e32 v0, s17, v1
	v_and_b32_e32 v69, 0x3030303, v0
	ds_read2_b32 v[0:1], v49 offset0:2 offset1:3
	s_and_b32 s15, s14, -16
	s_add_i32 s15, s14, s15
	v_add_u32_e32 v94, s15, v12
	v_add_u32_e32 v91, s15, v51
	s_waitcnt lgkmcnt(0)
	v_ashrrev_i32_e32 v0, s17, v0
	v_and_b32_e32 v63, 0x3030303, v0
	v_ashrrev_i32_e32 v0, s17, v1
	v_and_b32_e32 v64, 0x3030303, v0
	ds_read2_b32 v[0:1], v49 offset0:4 offset1:5
	v_add_u32_e32 v74, s15, v126
	v_add_u32_e32 v73, s15, v56
	s_add_i32 s15, s14, 2
	s_cmp_lt_u32 s14, 30
	s_waitcnt lgkmcnt(0)
	v_ashrrev_i32_e32 v0, s17, v0
	v_and_b32_e32 v65, 0x3030303, v0
	v_ashrrev_i32_e32 v0, s17, v1
	v_and_b32_e32 v66, 0x3030303, v0
	ds_read2_b32 v[0:1], v49 offset0:6 offset1:7
	s_mov_b32 s14, s15
	s_waitcnt lgkmcnt(0)
	v_ashrrev_i32_e32 v0, s17, v0
	v_and_b32_e32 v67, 0x3030303, v0
	v_ashrrev_i32_e32 v0, s17, v1
	v_and_b32_e32 v68, 0x3030303, v0
	v_add3_u32 v0, s16, v16, v15
	ds_read_b32 v1, v0
	v_dot4_i32_i8 v0, v84, v6, 0
	v_dot4_i32_i8 v0, v69, v7, v0
	v_dot4_i32_i8 v0, v63, v8, v0
	v_dot4_i32_i8 v92, v64, v9, v0
	v_dot4_i32_i8 v0, v65, v2, 0
	v_dot4_i32_i8 v0, v66, v3, v0
	v_dot4_i32_i8 v0, v67, v4, v0
	v_dot4_i32_i8 v106, v68, v5, v0
	v_add_u32_e32 v0, 0x1080, v49
	ds_read2_b32 v[15:16], v0 offset1:1
	s_waitcnt lgkmcnt(1)
	v_cvt_f32_f16_sdwa v72, v1 dst_sel:DWORD dst_unused:UNUSED_PAD src0_sel:WORD_1
	s_waitcnt lgkmcnt(0)
	v_ashrrev_i32_e32 v0, s17, v15
	v_and_b32_e32 v70, 0x3030303, v0
	v_ashrrev_i32_e32 v0, s17, v16
	v_and_b32_e32 v71, 0x3030303, v0
	v_add_u32_e32 v0, 0x1088, v49
	ds_read2_b32 v[15:16], v0 offset1:1
	s_waitcnt lgkmcnt(0)
	v_ashrrev_i32_e32 v0, s17, v15
	v_and_b32_e32 v81, 0x3030303, v0
	v_ashrrev_i32_e32 v0, s17, v16
	v_and_b32_e32 v82, 0x3030303, v0
	v_add_u32_e32 v0, 0x1090, v49
	ds_read2_b32 v[15:16], v0 offset1:1
	s_waitcnt lgkmcnt(0)
	v_ashrrev_i32_e32 v0, s17, v15
	v_and_b32_e32 v85, 0x3030303, v0
	v_ashrrev_i32_e32 v0, s17, v16
	v_and_b32_e32 v86, 0x3030303, v0
	v_add_u32_e32 v0, 0x1098, v49
	ds_read2_b32 v[15:16], v0 offset1:1
	s_waitcnt lgkmcnt(0)
	v_ashrrev_i32_e32 v0, s17, v15
	v_and_b32_e32 v89, 0x3030303, v0
	v_ashrrev_i32_e32 v0, s17, v16
	v_and_b32_e32 v97, 0x3030303, v0
	v_add3_u32 v0, s16, v53, v52
	ds_read_b32 v55, v0
	v_dot4_i32_i8 v0, v70, v6, 0
	v_dot4_i32_i8 v0, v71, v7, v0
	v_dot4_i32_i8 v0, v81, v8, v0
	v_dot4_i32_i8 v75, v82, v9, v0
	v_dot4_i32_i8 v0, v85, v2, 0
	v_dot4_i32_i8 v0, v86, v3, v0
	v_dot4_i32_i8 v0, v89, v4, v0
	v_dot4_i32_i8 v93, v97, v5, v0
	v_add_u32_e32 v0, 0x2100, v49
	ds_read2_b32 v[15:16], v0 offset1:1
	s_waitcnt lgkmcnt(1)
	v_cvt_f32_f16_sdwa v88, v55 dst_sel:DWORD dst_unused:UNUSED_PAD src0_sel:WORD_1
	s_waitcnt lgkmcnt(0)
	v_ashrrev_i32_e32 v0, s17, v15
	v_and_b32_e32 v96, 0x3030303, v0
	v_ashrrev_i32_e32 v0, s17, v16
	v_and_b32_e32 v95, 0x3030303, v0
	v_add_u32_e32 v0, 0x2108, v49
	ds_read2_b32 v[15:16], v0 offset1:1
	s_waitcnt lgkmcnt(0)
	v_ashrrev_i32_e32 v0, s17, v15
	v_and_b32_e32 v59, 0x3030303, v0
	v_ashrrev_i32_e32 v0, s17, v16
	v_and_b32_e32 v60, 0x3030303, v0
	v_add_u32_e32 v0, 0x2110, v49
	ds_read2_b32 v[15:16], v0 offset1:1
	s_waitcnt lgkmcnt(0)
	v_ashrrev_i32_e32 v0, s17, v15
	v_and_b32_e32 v61, 0x3030303, v0
	v_ashrrev_i32_e32 v0, s17, v16
	v_and_b32_e32 v62, 0x3030303, v0
	v_add_u32_e32 v0, 0x2118, v49
	ds_read2_b32 v[15:16], v0 offset1:1
	;; [unrolled: 40-line block ×3, first 2 shown]
	s_waitcnt lgkmcnt(0)
	v_ashrrev_i32_e32 v0, s17, v15
	v_ashrrev_i32_e32 v15, s17, v16
	v_and_b32_e32 v51, 0x3030303, v15
	v_add3_u32 v15, s16, v58, v115
	ds_read_b32 v49, v15
	v_dot4_i32_i8 v15, v79, v6, 0
	v_dot4_i32_i8 v15, v78, v7, v15
	;; [unrolled: 1-line block ×3, first 2 shown]
	ds_read_b128 v[101:104], v47 offset:1024
	ds_read_b128 v[112:115], v47 offset:1040
	v_dot4_i32_i8 v110, v76, v9, v15
	v_dot4_i32_i8 v15, v53, v2, 0
	v_and_b32_e32 v0, 0x3030303, v0
	v_dot4_i32_i8 v15, v52, v3, v15
	v_dot4_i32_i8 v15, v0, v4, v15
	;; [unrolled: 1-line block ×3, first 2 shown]
	s_waitcnt lgkmcnt(1)
	v_dot4_i32_i8 v15, v84, v101, 0
	v_dot4_i32_i8 v15, v69, v102, v15
	;; [unrolled: 1-line block ×4, first 2 shown]
	s_waitcnt lgkmcnt(0)
	v_dot4_i32_i8 v15, v65, v112, 0
	v_dot4_i32_i8 v15, v66, v113, v15
	;; [unrolled: 1-line block ×4, first 2 shown]
	ds_read_u16 v15, v74 offset:25072
	v_cvt_f32_f16_sdwa v50, v49 dst_sel:DWORD dst_unused:UNUSED_PAD src0_sel:WORD_1
	s_waitcnt lgkmcnt(0)
	v_bfe_u32 v57, v15, 4, 4
	v_mul_lo_u32 v100, v57, s9
	v_lshrrev_b32_sdwa v58, v116, v15 dst_sel:DWORD dst_unused:UNUSED_PAD src0_sel:DWORD src1_sel:BYTE_1
	v_mul_lo_u32 v74, v58, s9
	v_dot4_i32_i8 v57, v100, v6, 0
	v_dot4_i32_i8 v57, v100, v7, v57
	;; [unrolled: 1-line block ×8, first 2 shown]
	v_and_b32_sdwa v57, v15, v127 dst_sel:DWORD dst_unused:UNUSED_PAD src0_sel:BYTE_1 src1_sel:DWORD
	v_and_b32_e32 v15, 15, v15
	v_and_b32_e32 v99, 0xffff, v15
	v_dot4_i32_i8 v15, v100, v101, 0
	v_dot4_i32_i8 v15, v100, v102, v15
	;; [unrolled: 1-line block ×3, first 2 shown]
	v_and_b32_e32 v105, 0xffff, v57
	v_dot4_i32_i8 v57, v100, v104, v15
	v_mul_lo_u32 v16, v16, v99
	v_mul_lo_u32 v15, v106, v105
	v_dot4_i32_i8 v57, v74, v112, v57
	v_dot4_i32_i8 v57, v74, v113, v57
	;; [unrolled: 1-line block ×4, first 2 shown]
	v_mad_u64_u32 v[56:57], s[16:17], v56, v105, v[16:17]
                                        ; kill: def $vgpr16 killed $sgpr0 killed $exec
	v_cvt_f32_i32_e32 v57, v58
	v_mad_u64_u32 v[15:16], s[16:17], v92, v99, v[15:16]
	v_cvt_f32_i32_e32 v16, v56
	v_cvt_f32_i32_e32 v56, v106
	;; [unrolled: 1-line block ×3, first 2 shown]
	v_mul_f32_e32 v57, v72, v57
	v_mul_f32_e32 v56, v72, v56
	v_fma_mix_f32 v15, v1, v15, -v57 op_sel_hi:[1,0,0]
	v_fma_f32 v11, v45, v15, v11
	v_dot4_i32_i8 v15, v70, v101, 0
	v_dot4_i32_i8 v15, v71, v102, v15
	v_fma_mix_f32 v16, v1, v16, -v56 op_sel_hi:[1,0,0]
	v_dot4_i32_i8 v15, v81, v103, v15
	v_fmac_f32_e32 v10, v46, v16
	v_dot4_i32_i8 v16, v82, v104, v15
	v_dot4_i32_i8 v15, v85, v112, 0
	;; [unrolled: 1-line block ×5, first 2 shown]
	ds_read_u16 v15, v94 offset:26096
	s_waitcnt lgkmcnt(0)
	v_bfe_u32 v57, v15, 4, 4
	v_mul_lo_u32 v108, v57, s9
	v_lshrrev_b32_sdwa v58, v116, v15 dst_sel:DWORD dst_unused:UNUSED_PAD src0_sel:DWORD src1_sel:BYTE_1
	v_mul_lo_u32 v106, v58, s9
	v_dot4_i32_i8 v57, v108, v6, 0
	v_dot4_i32_i8 v57, v108, v7, v57
	;; [unrolled: 1-line block ×8, first 2 shown]
	v_and_b32_sdwa v57, v15, v127 dst_sel:DWORD dst_unused:UNUSED_PAD src0_sel:BYTE_1 src1_sel:DWORD
	v_and_b32_e32 v15, 15, v15
	v_and_b32_e32 v107, 0xffff, v15
	v_dot4_i32_i8 v15, v108, v101, 0
	v_dot4_i32_i8 v15, v108, v102, v15
	;; [unrolled: 1-line block ×3, first 2 shown]
	v_and_b32_e32 v109, 0xffff, v57
	v_dot4_i32_i8 v57, v108, v104, v15
	v_mul_lo_u32 v16, v16, v107
	v_mul_lo_u32 v15, v93, v109
	v_dot4_i32_i8 v57, v106, v112, v57
	v_dot4_i32_i8 v57, v106, v113, v57
	v_dot4_i32_i8 v57, v106, v114, v57
	v_dot4_i32_i8 v92, v106, v115, v57
	v_mad_u64_u32 v[56:57], s[16:17], v56, v109, v[16:17]
                                        ; kill: def $vgpr16 killed $sgpr0 killed $exec
	v_cvt_f32_i32_e32 v57, v58
	v_mad_u64_u32 v[15:16], s[16:17], v75, v107, v[15:16]
	v_cvt_f32_i32_e32 v16, v56
	v_cvt_f32_i32_e32 v56, v92
	v_cvt_f32_i32_e32 v15, v15
	v_mul_f32_e32 v57, v88, v57
	v_mul_f32_e32 v56, v88, v56
	v_fma_mix_f32 v15, v55, v15, -v57 op_sel_hi:[1,0,0]
	v_fma_f32 v40, v45, v15, v40
	v_dot4_i32_i8 v15, v96, v101, 0
	v_dot4_i32_i8 v15, v95, v102, v15
	v_fma_mix_f32 v16, v55, v16, -v56 op_sel_hi:[1,0,0]
	v_dot4_i32_i8 v15, v59, v103, v15
	v_fmac_f32_e32 v39, v46, v16
	v_dot4_i32_i8 v16, v60, v104, v15
	v_dot4_i32_i8 v15, v61, v112, 0
	;; [unrolled: 1-line block ×5, first 2 shown]
	ds_read_u16 v15, v91 offset:27120
	s_waitcnt lgkmcnt(0)
	v_bfe_u32 v57, v15, 4, 4
	v_mul_lo_u32 v93, v57, s9
	v_lshrrev_b32_sdwa v58, v116, v15 dst_sel:DWORD dst_unused:UNUSED_PAD src0_sel:DWORD src1_sel:BYTE_1
	v_mul_lo_u32 v91, v58, s9
	v_dot4_i32_i8 v57, v93, v6, 0
	v_dot4_i32_i8 v57, v93, v7, v57
	;; [unrolled: 1-line block ×8, first 2 shown]
	v_and_b32_sdwa v57, v15, v127 dst_sel:DWORD dst_unused:UNUSED_PAD src0_sel:BYTE_1 src1_sel:DWORD
	v_and_b32_e32 v15, 15, v15
	v_and_b32_e32 v92, 0xffff, v15
	v_dot4_i32_i8 v15, v93, v101, 0
	v_dot4_i32_i8 v15, v93, v102, v15
	;; [unrolled: 1-line block ×3, first 2 shown]
	v_and_b32_e32 v94, 0xffff, v57
	v_dot4_i32_i8 v57, v93, v104, v15
	v_mul_lo_u32 v16, v16, v92
	v_dot4_i32_i8 v57, v91, v112, v57
	v_dot4_i32_i8 v57, v91, v113, v57
	v_mul_lo_u32 v15, v90, v94
	v_dot4_i32_i8 v57, v91, v114, v57
	v_dot4_i32_i8 v75, v91, v115, v57
	v_mad_u64_u32 v[56:57], s[16:17], v56, v94, v[16:17]
                                        ; kill: def $vgpr16 killed $sgpr0 killed $exec
	v_mad_u64_u32 v[15:16], s[16:17], v54, v92, v[15:16]
	v_cvt_f32_i32_e32 v54, v75
	v_cvt_f32_i32_e32 v16, v56
	;; [unrolled: 1-line block ×4, first 2 shown]
	v_mul_f32_e32 v54, v80, v54
	v_fma_mix_f32 v16, v12, v16, -v54 op_sel_hi:[1,0,0]
	ds_read_u16 v54, v73 offset:28144
	v_mul_f32_e32 v56, v80, v56
	v_fma_mix_f32 v15, v12, v15, -v56 op_sel_hi:[1,0,0]
	v_fma_f32 v42, v45, v15, v42
	v_dot4_i32_i8 v15, v79, v101, 0
	s_waitcnt lgkmcnt(0)
	v_bfe_u32 v56, v54, 4, 4
	v_mul_lo_u32 v90, v56, s9
	v_dot4_i32_i8 v15, v78, v102, v15
	v_dot4_i32_i8 v15, v77, v103, v15
	;; [unrolled: 1-line block ×5, first 2 shown]
	v_lshrrev_b32_sdwa v7, v116, v54 dst_sel:DWORD dst_unused:UNUSED_PAD src0_sel:DWORD src1_sel:BYTE_1
	v_mul_lo_u32 v75, v7, s9
	v_dot4_i32_i8 v6, v90, v8, v6
	v_dot4_i32_i8 v6, v90, v9, v6
	v_fmac_f32_e32 v41, v46, v16
	v_dot4_i32_i8 v2, v75, v2, v6
	v_dot4_i32_i8 v2, v75, v3, v2
	;; [unrolled: 1-line block ×4, first 2 shown]
	v_and_b32_sdwa v2, v54, v127 dst_sel:DWORD dst_unused:UNUSED_PAD src0_sel:BYTE_1 src1_sel:DWORD
	v_and_b32_e32 v73, 0xffff, v2
	v_dot4_i32_i8 v2, v90, v101, 0
	v_dot4_i32_i8 v2, v90, v102, v2
	v_and_b32_e32 v3, 15, v54
	v_dot4_i32_i8 v2, v90, v103, v2
	v_and_b32_e32 v54, 0xffff, v3
	v_dot4_i32_i8 v4, v90, v104, v2
	v_dot4_i32_i8 v16, v53, v112, 0
	v_mul_lo_u32 v3, v15, v54
	v_dot4_i32_i8 v4, v75, v112, v4
	v_dot4_i32_i8 v16, v52, v113, v16
	;; [unrolled: 1-line block ×7, first 2 shown]
                                        ; kill: def $vgpr4 killed $sgpr0 killed $exec
	v_mul_lo_u32 v2, v111, v73
	v_mad_u64_u32 v[3:4], s[16:17], v16, v73, v[3:4]
	v_mad_u64_u32 v[4:5], s[16:17], v110, v54, v[2:3]
	v_cvt_f32_i32_e32 v5, v6
	v_cvt_f32_i32_e32 v3, v3
	;; [unrolled: 1-line block ×4, first 2 shown]
	v_mul_f32_e32 v5, v50, v5
	v_fma_mix_f32 v2, v49, v2, -v5 op_sel_hi:[1,0,0]
	v_mul_f32_e32 v4, v50, v4
	v_fma_mix_f32 v3, v49, v3, -v4 op_sel_hi:[1,0,0]
	v_fma_f32 v44, v45, v2, v44
	v_fmac_f32_e32 v43, v46, v3
	ds_read2_b32 v[45:46], v48 offset0:64 offset1:96
	ds_read_b128 v[6:9], v47 offset:2048
	ds_read_b128 v[2:5], v47 offset:2064
	s_waitcnt lgkmcnt(1)
	v_dot4_i32_i8 v15, v84, v6, 0
	v_dot4_i32_i8 v16, v100, v6, 0
	;; [unrolled: 1-line block ×8, first 2 shown]
	s_waitcnt lgkmcnt(0)
	v_dot4_i32_i8 v16, v65, v2, 0
	v_dot4_i32_i8 v15, v74, v2, v15
	;; [unrolled: 1-line block ×56, first 2 shown]
	ds_read_b128 v[6:9], v47 offset:3072
	ds_read_b128 v[2:5], v47 offset:3088
	v_mul_lo_u32 v15, v15, v105
	v_cvt_f32_i32_e32 v56, v56
	s_waitcnt lgkmcnt(1)
	v_dot4_i32_i8 v16, v84, v6, 0
	v_dot4_i32_i8 v101, v100, v6, 0
	;; [unrolled: 1-line block ×8, first 2 shown]
	s_waitcnt lgkmcnt(0)
	v_dot4_i32_i8 v102, v65, v2, 0
	v_mul_lo_u32 v16, v16, v99
	v_dot4_i32_i8 v101, v74, v2, v101
	v_dot4_i32_i8 v102, v66, v3, v102
	;; [unrolled: 1-line block ×7, first 2 shown]
	v_mad_u64_u32 v[101:102], s[16:17], v102, v105, v[16:17]
                                        ; kill: def $vgpr16 killed $sgpr0 killed $exec
	v_mul_f32_e32 v56, v72, v56
	v_mad_u64_u32 v[15:16], s[16:17], v58, v99, v[15:16]
	v_cvt_f32_i32_e32 v58, v103
	v_cvt_f32_i32_e32 v16, v101
	;; [unrolled: 1-line block ×3, first 2 shown]
	v_mul_f32_e32 v58, v72, v58
	v_fma_mix_f32 v16, v1, v16, -v58 op_sel_hi:[1,0,0]
	v_fma_mix_f32 v15, v1, v15, -v56 op_sel_hi:[1,0,0]
	v_fma_f32 v32, v45, v15, v32
	v_fmac_f32_e32 v31, v46, v16
	v_dot4_i32_i8 v15, v70, v6, 0
	v_dot4_i32_i8 v16, v108, v6, 0
	;; [unrolled: 1-line block ×15, first 2 shown]
	v_mul_lo_u32 v16, v56, v107
	v_dot4_i32_i8 v103, v106, v5, v15
	v_mul_lo_u32 v15, v127, v109
	v_cvt_f32_i32_e32 v56, v103
	v_mad_u64_u32 v[101:102], s[16:17], v58, v109, v[16:17]
                                        ; kill: def $vgpr16 killed $sgpr0 killed $exec
	v_cvt_f32_i32_e32 v58, v115
	v_mad_u64_u32 v[15:16], s[16:17], v113, v107, v[15:16]
	v_cvt_f32_i32_e32 v16, v101
	v_mul_f32_e32 v58, v88, v58
	v_cvt_f32_i32_e32 v15, v15
	v_mul_f32_e32 v56, v88, v56
	v_fma_mix_f32 v16, v55, v16, -v56 op_sel_hi:[1,0,0]
	v_fmac_f32_e32 v33, v46, v16
	v_fma_mix_f32 v15, v55, v15, -v58 op_sel_hi:[1,0,0]
	v_fma_f32 v34, v45, v15, v34
	v_dot4_i32_i8 v15, v96, v6, 0
	v_dot4_i32_i8 v16, v93, v6, 0
	;; [unrolled: 1-line block ×15, first 2 shown]
	v_mul_lo_u32 v16, v56, v92
	v_dot4_i32_i8 v103, v91, v5, v15
	v_mul_lo_u32 v15, v112, v94
	v_cvt_f32_i32_e32 v56, v103
	v_mad_u64_u32 v[101:102], s[16:17], v58, v94, v[16:17]
                                        ; kill: def $vgpr16 killed $sgpr0 killed $exec
	v_cvt_f32_i32_e32 v58, v111
	v_mad_u64_u32 v[15:16], s[16:17], v110, v92, v[15:16]
	v_cvt_f32_i32_e32 v16, v101
	v_mul_f32_e32 v58, v80, v58
	v_cvt_f32_i32_e32 v15, v15
	v_mul_f32_e32 v56, v80, v56
	v_fma_mix_f32 v16, v12, v16, -v56 op_sel_hi:[1,0,0]
	v_fmac_f32_e32 v35, v46, v16
	v_fma_mix_f32 v15, v12, v15, -v58 op_sel_hi:[1,0,0]
	v_fma_f32 v36, v45, v15, v36
	v_dot4_i32_i8 v15, v79, v6, 0
	v_dot4_i32_i8 v6, v90, v6, 0
	;; [unrolled: 1-line block ×15, first 2 shown]
	v_mul_lo_u32 v3, v7, v54
	v_dot4_i32_i8 v6, v75, v5, v2
	v_mul_lo_u32 v2, v126, v73
	v_mov_b32_e32 v127, 15
	v_mad_u64_u32 v[3:4], s[16:17], v4, v73, v[3:4]
	v_mad_u64_u32 v[4:5], s[16:17], v57, v54, v[2:3]
	v_cvt_f32_i32_e32 v5, v114
	v_cvt_f32_i32_e32 v3, v3
	;; [unrolled: 1-line block ×4, first 2 shown]
	v_mul_f32_e32 v5, v50, v5
	v_fma_mix_f32 v2, v49, v2, -v5 op_sel_hi:[1,0,0]
	v_mul_f32_e32 v4, v50, v4
	v_fma_mix_f32 v3, v49, v3, -v4 op_sel_hi:[1,0,0]
	v_fma_f32 v38, v45, v2, v38
	v_fmac_f32_e32 v37, v46, v3
	ds_read2_b32 v[45:46], v48 offset0:128 offset1:160
	ds_read_b128 v[6:9], v47 offset:4096
	ds_read_b128 v[2:5], v47 offset:4112
	s_waitcnt lgkmcnt(1)
	v_dot4_i32_i8 v15, v84, v6, 0
	s_waitcnt lgkmcnt(0)
	v_dot4_i32_i8 v56, v85, v2, 0
	v_dot4_i32_i8 v56, v86, v3, v56
	;; [unrolled: 1-line block ×63, first 2 shown]
	ds_read_b128 v[6:9], v47 offset:5120
	ds_read_b128 v[2:5], v47 offset:5136
	v_cvt_f32_i32_e32 v16, v16
	s_waitcnt lgkmcnt(1)
	v_dot4_i32_i8 v101, v84, v6, 0
	v_dot4_i32_i8 v102, v100, v6, 0
	;; [unrolled: 1-line block ×8, first 2 shown]
	s_waitcnt lgkmcnt(0)
	v_dot4_i32_i8 v102, v65, v2, 0
	v_dot4_i32_i8 v102, v66, v3, v102
	;; [unrolled: 1-line block ×4, first 2 shown]
	v_mul_lo_u32 v102, v103, v99
	v_dot4_i32_i8 v101, v74, v2, v101
	v_dot4_i32_i8 v101, v74, v3, v101
	;; [unrolled: 1-line block ×3, first 2 shown]
                                        ; kill: def $vgpr103 killed $sgpr0 killed $exec
	v_dot4_i32_i8 v116, v74, v5, v101
	v_mul_lo_u32 v101, v126, v105
	v_mad_u64_u32 v[102:103], s[16:17], v104, v105, v[102:103]
	v_mul_f32_e32 v16, v88, v16
	v_mad_u64_u32 v[103:104], s[16:17], v114, v99, v[101:102]
	v_cvt_f32_i32_e32 v104, v115
	v_cvt_f32_i32_e32 v102, v102
	;; [unrolled: 1-line block ×4, first 2 shown]
	v_mul_f32_e32 v104, v72, v104
	v_mov_b32_e32 v116, 4
	v_fma_mix_f32 v101, v1, v101, -v104 op_sel_hi:[1,0,0]
	v_mul_f32_e32 v103, v72, v103
	v_fma_mix_f32 v102, v1, v102, -v103 op_sel_hi:[1,0,0]
	v_fma_f32 v24, v45, v101, v24
	v_fmac_f32_e32 v23, v46, v102
	v_dot4_i32_i8 v101, v70, v6, 0
	v_dot4_i32_i8 v102, v108, v6, 0
	v_dot4_i32_i8 v101, v71, v7, v101
	v_dot4_i32_i8 v102, v108, v7, v102
	v_dot4_i32_i8 v101, v81, v8, v101
	v_dot4_i32_i8 v102, v108, v8, v102
	v_dot4_i32_i8 v103, v82, v9, v101
	v_dot4_i32_i8 v101, v108, v9, v102
	v_dot4_i32_i8 v102, v85, v2, 0
	v_dot4_i32_i8 v102, v86, v3, v102
	v_dot4_i32_i8 v102, v89, v4, v102
	v_dot4_i32_i8 v104, v97, v5, v102
	v_mul_lo_u32 v102, v103, v107
	v_dot4_i32_i8 v101, v106, v2, v101
	v_dot4_i32_i8 v101, v106, v3, v101
	;; [unrolled: 1-line block ×3, first 2 shown]
                                        ; kill: def $vgpr103 killed $sgpr0 killed $exec
	v_dot4_i32_i8 v114, v106, v5, v101
	v_mul_lo_u32 v101, v113, v109
	v_mad_u64_u32 v[102:103], s[16:17], v104, v109, v[102:103]
	v_mad_u64_u32 v[103:104], s[16:17], v15, v107, v[101:102]
	v_cvt_f32_i32_e32 v101, v102
	v_cvt_f32_i32_e32 v102, v114
	;; [unrolled: 1-line block ×3, first 2 shown]
	v_mul_f32_e32 v102, v88, v102
	v_fma_mix_f32 v15, v55, v15, -v16 op_sel_hi:[1,0,0]
	v_fma_f32 v26, v45, v15, v26
	v_dot4_i32_i8 v15, v96, v6, 0
	v_dot4_i32_i8 v16, v93, v6, 0
	;; [unrolled: 1-line block ×4, first 2 shown]
	v_fma_mix_f32 v101, v55, v101, -v102 op_sel_hi:[1,0,0]
	v_dot4_i32_i8 v15, v59, v8, v15
	v_dot4_i32_i8 v16, v93, v8, v16
	v_fmac_f32_e32 v25, v46, v101
	v_dot4_i32_i8 v101, v60, v9, v15
	v_dot4_i32_i8 v15, v93, v9, v16
	v_dot4_i32_i8 v16, v61, v2, 0
	v_dot4_i32_i8 v15, v91, v2, v15
	v_dot4_i32_i8 v16, v62, v3, v16
	v_dot4_i32_i8 v15, v91, v3, v15
	v_dot4_i32_i8 v16, v83, v4, v16
	v_dot4_i32_i8 v15, v91, v4, v15
	v_dot4_i32_i8 v102, v87, v5, v16
	v_mul_lo_u32 v16, v101, v92
	v_dot4_i32_i8 v103, v91, v5, v15
	v_mul_lo_u32 v15, v112, v94
	v_mad_u64_u32 v[101:102], s[16:17], v102, v94, v[16:17]
                                        ; kill: def $vgpr16 killed $sgpr0 killed $exec
	v_mad_u64_u32 v[15:16], s[16:17], v57, v92, v[15:16]
	v_cvt_f32_i32_e32 v16, v101
	v_cvt_f32_i32_e32 v101, v111
	;; [unrolled: 1-line block ×4, first 2 shown]
	v_mul_f32_e32 v101, v80, v101
	v_fma_mix_f32 v15, v12, v15, -v101 op_sel_hi:[1,0,0]
	v_fma_f32 v28, v45, v15, v28
	v_dot4_i32_i8 v15, v79, v6, 0
	v_dot4_i32_i8 v6, v90, v6, 0
	;; [unrolled: 1-line block ×15, first 2 shown]
	v_mul_lo_u32 v3, v7, v54
	v_dot4_i32_i8 v6, v75, v5, v2
	v_mul_lo_u32 v2, v56, v73
	v_mul_f32_e32 v57, v80, v57
	v_mad_u64_u32 v[3:4], s[16:17], v4, v73, v[3:4]
	v_fma_mix_f32 v16, v12, v16, -v57 op_sel_hi:[1,0,0]
	v_fmac_f32_e32 v27, v46, v16
	v_mad_u64_u32 v[4:5], s[16:17], v110, v54, v[2:3]
	v_cvt_f32_i32_e32 v5, v58
	v_cvt_f32_i32_e32 v3, v3
	;; [unrolled: 1-line block ×4, first 2 shown]
	v_mul_f32_e32 v5, v50, v5
	v_fma_mix_f32 v2, v49, v2, -v5 op_sel_hi:[1,0,0]
	v_mul_f32_e32 v4, v50, v4
	v_fma_mix_f32 v3, v49, v3, -v4 op_sel_hi:[1,0,0]
	v_fma_f32 v30, v45, v2, v30
	v_fmac_f32_e32 v29, v46, v3
	ds_read2_b32 v[45:46], v48 offset0:192 offset1:224
	ds_read_b128 v[6:9], v47 offset:6144
	ds_read_b128 v[2:5], v47 offset:6160
	v_add_u32_e32 v48, 4, v48
	s_waitcnt lgkmcnt(1)
	v_dot4_i32_i8 v15, v84, v6, 0
	v_dot4_i32_i8 v16, v100, v6, 0
	;; [unrolled: 1-line block ×8, first 2 shown]
	s_waitcnt lgkmcnt(0)
	v_dot4_i32_i8 v16, v65, v2, 0
	v_dot4_i32_i8 v15, v74, v2, v15
	;; [unrolled: 1-line block ×56, first 2 shown]
	ds_read_b128 v[6:9], v47 offset:7168
	ds_read_b128 v[2:5], v47 offset:7184
	v_cvt_f32_i32_e32 v58, v58
	v_cvt_f32_i32_e32 v16, v16
	v_add_u32_e32 v47, 32, v47
	s_waitcnt lgkmcnt(1)
	v_dot4_i32_i8 v84, v84, v6, 0
	v_dot4_i32_i8 v101, v100, v6, 0
	;; [unrolled: 1-line block ×8, first 2 shown]
	s_waitcnt lgkmcnt(0)
	v_dot4_i32_i8 v65, v65, v2, 0
	v_mul_lo_u32 v64, v64, v99
	v_dot4_i32_i8 v63, v74, v2, v63
	v_dot4_i32_i8 v65, v66, v3, v65
	v_dot4_i32_i8 v63, v74, v3, v63
	v_dot4_i32_i8 v65, v67, v4, v65
	v_dot4_i32_i8 v63, v74, v4, v63
	v_dot4_i32_i8 v65, v68, v5, v65
	v_dot4_i32_i8 v67, v74, v5, v63
	v_mul_lo_u32 v63, v126, v105
	v_mad_u64_u32 v[64:65], s[16:17], v65, v105, v[64:65]
	v_mul_f32_e32 v58, v88, v58
	v_mul_f32_e32 v16, v80, v16
	v_mad_u64_u32 v[65:66], s[16:17], v114, v99, v[63:64]
	v_cvt_f32_i32_e32 v66, v115
	v_cvt_f32_i32_e32 v64, v64
	;; [unrolled: 1-line block ×4, first 2 shown]
	v_mul_f32_e32 v66, v72, v66
	buffer_load_dword v115, off, s[20:23], 0 offset:4 ; 4-byte Folded Reload
	v_mov_b32_e32 v126, v120
	v_mul_f32_e32 v65, v72, v65
	v_fma_mix_f32 v64, v1, v64, -v65 op_sel_hi:[1,0,0]
	v_fma_mix_f32 v1, v1, v63, -v66 op_sel_hi:[1,0,0]
	v_fma_f32 v14, v45, v1, v14
	v_dot4_i32_i8 v1, v70, v6, 0
	v_dot4_i32_i8 v63, v108, v6, 0
	;; [unrolled: 1-line block ×6, first 2 shown]
	v_fmac_f32_e32 v13, v46, v64
	v_dot4_i32_i8 v64, v82, v9, v1
	v_dot4_i32_i8 v1, v108, v9, v63
	;; [unrolled: 1-line block ×9, first 2 shown]
	v_mul_lo_u32 v63, v64, v107
	v_dot4_i32_i8 v66, v106, v5, v1
	v_mul_lo_u32 v1, v113, v109
                                        ; kill: def $vgpr64 killed $sgpr0 killed $exec
	v_mad_u64_u32 v[63:64], s[16:17], v65, v109, v[63:64]
	v_mad_u64_u32 v[64:65], s[16:17], v57, v107, v[1:2]
	v_cvt_f32_i32_e32 v57, v63
	v_cvt_f32_i32_e32 v63, v66
	;; [unrolled: 1-line block ×3, first 2 shown]
	v_mul_f32_e32 v63, v88, v63
	v_fma_mix_f32 v1, v55, v1, -v58 op_sel_hi:[1,0,0]
	v_fma_mix_f32 v57, v55, v57, -v63 op_sel_hi:[1,0,0]
	v_fma_f32 v18, v45, v1, v18
	v_dot4_i32_i8 v1, v96, v6, 0
	v_dot4_i32_i8 v55, v93, v6, 0
	;; [unrolled: 1-line block ×6, first 2 shown]
	v_fmac_f32_e32 v17, v46, v57
	v_dot4_i32_i8 v57, v60, v9, v1
	v_dot4_i32_i8 v1, v93, v9, v55
	;; [unrolled: 1-line block ×9, first 2 shown]
	v_mul_lo_u32 v55, v57, v92
	v_dot4_i32_i8 v59, v91, v5, v1
	v_mul_lo_u32 v1, v56, v94
                                        ; kill: def $vgpr56 killed $sgpr0 killed $exec
	v_mad_u64_u32 v[55:56], s[16:17], v58, v94, v[55:56]
	v_mad_u64_u32 v[56:57], s[16:17], v15, v92, v[1:2]
	v_cvt_f32_i32_e32 v15, v55
	v_cvt_f32_i32_e32 v55, v59
	;; [unrolled: 1-line block ×3, first 2 shown]
	buffer_load_dword v58, off, s[20:23], 0 offset:8 ; 4-byte Folded Reload
	v_mov_b32_e32 v56, v122
	v_mul_f32_e32 v55, v80, v55
	v_fma_mix_f32 v1, v12, v1, -v16 op_sel_hi:[1,0,0]
	v_fma_f32 v20, v45, v1, v20
	v_dot4_i32_i8 v1, v79, v6, 0
	v_dot4_i32_i8 v6, v90, v6, 0
	;; [unrolled: 1-line block ×12, first 2 shown]
	v_mul_lo_u32 v1, v1, v54
	v_dot4_i32_i8 v0, v0, v4, v6
	v_dot4_i32_i8 v2, v75, v4, v2
	v_mul_lo_u32 v4, v112, v73
	v_dot4_i32_i8 v3, v51, v5, v0
	v_dot4_i32_i8 v0, v75, v5, v2
                                        ; kill: def $vgpr2 killed $sgpr0 killed $exec
	v_cvt_f32_i32_e32 v0, v0
	v_mad_u64_u32 v[2:3], s[16:17], v3, v73, v[1:2]
	v_mad_u64_u32 v[3:4], s[16:17], v111, v54, v[4:5]
	v_fma_mix_f32 v15, v12, v15, -v55 op_sel_hi:[1,0,0]
	v_fmac_f32_e32 v19, v46, v15
	v_cvt_f32_i32_e32 v1, v3
	v_cvt_f32_i32_e32 v3, v110
	buffer_load_dword v15, off, s[20:23], 0 offset:20 ; 4-byte Folded Reload
	v_mul_f32_e32 v0, v50, v0
	v_cvt_f32_i32_e32 v2, v2
	v_mul_f32_e32 v3, v50, v3
	buffer_load_dword v50, off, s[20:23], 0 ; 4-byte Folded Reload
	v_fma_mix_f32 v1, v49, v1, -v3 op_sel_hi:[1,0,0]
	v_fma_mix_f32 v0, v49, v2, -v0 op_sel_hi:[1,0,0]
	v_mov_b32_e32 v16, v98
	v_mov_b32_e32 v12, v124
	;; [unrolled: 1-line block ×6, first 2 shown]
	v_fma_f32 v22, v45, v1, v22
	v_fmac_f32_e32 v21, v46, v0
	s_cbranch_scc1 .LBB147_15
; %bb.16:                               ;   in Loop: Header=BB147_7 Depth=1
	s_waitcnt vmcnt(0)
	s_barrier
	buffer_load_dword v52, off, s[20:23], 0 offset:32 ; 4-byte Folded Reload
	v_mov_b32_e32 v91, 4
	s_branch .LBB147_6
.LBB147_17:
	v_cvt_f16_f32_e32 v2, v40
	v_cvt_f16_f32_e32 v3, v39
	;; [unrolled: 1-line block ×5, first 2 shown]
	v_pack_b32_f16 v41, v3, v2
	v_cvt_f16_f32_e32 v2, v34
	v_pack_b32_f16 v40, v5, v4
	v_cvt_f16_f32_e32 v3, v33
	v_cvt_f16_f32_e32 v4, v36
	;; [unrolled: 1-line block ×4, first 2 shown]
	v_pack_b32_f16 v16, v3, v2
	v_cvt_f16_f32_e32 v2, v26
	v_pack_b32_f16 v15, v5, v4
	v_cvt_f16_f32_e32 v3, v25
	v_cvt_f16_f32_e32 v4, v28
	;; [unrolled: 1-line block ×4, first 2 shown]
	v_pack_b32_f16 v39, v7, v6
	v_cvt_f16_f32_e32 v6, v38
	v_cvt_f16_f32_e32 v7, v37
	v_pack_b32_f16 v10, v3, v2
	v_pack_b32_f16 v9, v5, v4
	v_cvt_f16_f32_e32 v2, v18
	v_cvt_f16_f32_e32 v4, v17
	v_pack_b32_f16 v12, v7, v6
	v_cvt_f16_f32_e32 v6, v30
	v_cvt_f16_f32_e32 v0, v11
	v_pack_b32_f16 v2, v4, v2
	buffer_load_dword v4, off, s[20:23], 0 offset:292 ; 4-byte Folded Reload
	buffer_load_dword v30, off, s[20:23], 0 offset:288 ; 4-byte Folded Reload
	v_cvt_f16_f32_e32 v7, v29
	v_pack_b32_f16 v42, v1, v0
	v_cvt_f16_f32_e32 v0, v32
	v_cvt_f16_f32_e32 v1, v31
	v_pack_b32_f16 v8, v7, v6
	v_cvt_f16_f32_e32 v5, v20
	;; [unrolled: 3-line block ×3, first 2 shown]
	v_cvt_f16_f32_e32 v1, v23
	v_cvt_f16_f32_e32 v7, v22
	v_pack_b32_f16 v11, v1, v0
	v_cvt_f16_f32_e32 v0, v14
	v_cvt_f16_f32_e32 v1, v13
	;; [unrolled: 1-line block ×3, first 2 shown]
	v_pack_b32_f16 v3, v1, v0
	v_pack_b32_f16 v1, v6, v5
	;; [unrolled: 1-line block ×3, first 2 shown]
.LBB147_18:
	s_waitcnt vmcnt(1)
	v_cmp_gt_u32_e32 vcc, s8, v4
	s_and_saveexec_b64 s[0:1], vcc
	s_cbranch_execz .LBB147_69
; %bb.19:
	v_mul_lo_u32 v13, v4, s10
	s_waitcnt vmcnt(0)
	v_add_u32_e32 v4, s6, v30
	v_cmp_gt_u32_e32 vcc, s10, v4
	s_and_saveexec_b64 s[2:3], vcc
	s_cbranch_execz .LBB147_21
; %bb.20:
	v_add_u32_e32 v5, v4, v13
	v_mov_b32_e32 v6, 0
	v_lshlrev_b64 v[5:6], 1, v[5:6]
	s_waitcnt lgkmcnt(0)
	v_mov_b32_e32 v7, s13
	v_add_co_u32_e64 v5, s[0:1], s12, v5
	v_addc_co_u32_e64 v6, s[0:1], v7, v6, s[0:1]
	global_store_short_d16_hi v[5:6], v42, off
.LBB147_21:
	s_or_b64 exec, exec, s[2:3]
	v_add_u32_e32 v5, 32, v4
	v_cmp_gt_u32_e64 s[0:1], s10, v5
	s_and_saveexec_b64 s[4:5], s[0:1]
	s_cbranch_execz .LBB147_23
; %bb.22:
	v_add_u32_e32 v6, v5, v13
	v_mov_b32_e32 v7, 0
	v_lshlrev_b64 v[6:7], 1, v[6:7]
	s_waitcnt lgkmcnt(0)
	v_mov_b32_e32 v14, s13
	v_add_co_u32_e64 v6, s[2:3], s12, v6
	v_addc_co_u32_e64 v7, s[2:3], v14, v7, s[2:3]
	global_store_short_d16_hi v[6:7], v41, off
.LBB147_23:
	s_or_b64 exec, exec, s[4:5]
	v_add_u32_e32 v6, 64, v4
	v_cmp_gt_u32_e64 s[2:3], s10, v6
	s_and_saveexec_b64 s[6:7], s[2:3]
	;; [unrolled: 15-line block ×3, first 2 shown]
	s_cbranch_execz .LBB147_27
; %bb.26:
	v_add_u32_e32 v13, v7, v13
	v_mov_b32_e32 v14, 0
	v_lshlrev_b64 v[13:14], 1, v[13:14]
	s_waitcnt lgkmcnt(0)
	v_mov_b32_e32 v17, s13
	v_add_co_u32_e64 v13, s[6:7], s12, v13
	v_addc_co_u32_e64 v14, s[6:7], v17, v14, s[6:7]
	global_store_short_d16_hi v[13:14], v39, off
.LBB147_27:
	s_or_b64 exec, exec, s[14:15]
	v_add3_u32 v13, v45, s11, 8
	v_cmp_gt_u32_e64 s[6:7], s8, v13
	s_and_b64 exec, exec, s[6:7]
	s_cbranch_execz .LBB147_69
; %bb.28:
	v_mul_lo_u32 v13, v13, s10
	s_and_saveexec_b64 s[14:15], vcc
	s_cbranch_execnz .LBB147_70
; %bb.29:
	s_or_b64 exec, exec, s[14:15]
	s_and_saveexec_b64 s[14:15], s[0:1]
	s_cbranch_execnz .LBB147_71
.LBB147_30:
	s_or_b64 exec, exec, s[14:15]
	s_and_saveexec_b64 s[14:15], s[2:3]
	s_cbranch_execnz .LBB147_72
.LBB147_31:
	s_or_b64 exec, exec, s[14:15]
	s_and_saveexec_b64 s[14:15], s[4:5]
	s_cbranch_execz .LBB147_33
.LBB147_32:
	v_add_u32_e32 v13, v13, v7
	v_mov_b32_e32 v14, 0
	v_lshlrev_b64 v[13:14], 1, v[13:14]
	s_waitcnt lgkmcnt(0)
	v_mov_b32_e32 v17, s13
	v_add_co_u32_e64 v13, s[6:7], s12, v13
	v_addc_co_u32_e64 v14, s[6:7], v17, v14, s[6:7]
	global_store_short v[13:14], v39, off
.LBB147_33:
	s_or_b64 exec, exec, s[14:15]
	v_add3_u32 v13, v45, s11, 16
	v_cmp_gt_u32_e64 s[6:7], s8, v13
	s_and_b64 exec, exec, s[6:7]
	s_cbranch_execz .LBB147_69
; %bb.34:
	v_mul_lo_u32 v13, v13, s10
	s_and_saveexec_b64 s[14:15], vcc
	s_cbranch_execnz .LBB147_73
; %bb.35:
	s_or_b64 exec, exec, s[14:15]
	s_and_saveexec_b64 s[14:15], s[0:1]
	s_cbranch_execnz .LBB147_74
.LBB147_36:
	s_or_b64 exec, exec, s[14:15]
	s_and_saveexec_b64 s[14:15], s[2:3]
	s_cbranch_execnz .LBB147_75
.LBB147_37:
	s_or_b64 exec, exec, s[14:15]
	s_and_saveexec_b64 s[14:15], s[4:5]
	s_cbranch_execz .LBB147_39
.LBB147_38:
	v_add_u32_e32 v13, v13, v7
	v_mov_b32_e32 v14, 0
	v_lshlrev_b64 v[13:14], 1, v[13:14]
	s_waitcnt lgkmcnt(0)
	v_mov_b32_e32 v17, s13
	v_add_co_u32_e64 v13, s[6:7], s12, v13
	v_addc_co_u32_e64 v14, s[6:7], v17, v14, s[6:7]
	global_store_short_d16_hi v[13:14], v12, off
.LBB147_39:
	s_or_b64 exec, exec, s[14:15]
	v_add3_u32 v13, v45, s11, 24
	v_cmp_gt_u32_e64 s[6:7], s8, v13
	s_and_b64 exec, exec, s[6:7]
	s_cbranch_execz .LBB147_69
; %bb.40:
	v_mul_lo_u32 v13, v13, s10
	s_and_saveexec_b64 s[14:15], vcc
	s_cbranch_execnz .LBB147_76
; %bb.41:
	s_or_b64 exec, exec, s[14:15]
	s_and_saveexec_b64 s[14:15], s[0:1]
	s_cbranch_execnz .LBB147_77
.LBB147_42:
	s_or_b64 exec, exec, s[14:15]
	s_and_saveexec_b64 s[14:15], s[2:3]
	s_cbranch_execnz .LBB147_78
.LBB147_43:
	s_or_b64 exec, exec, s[14:15]
	s_and_saveexec_b64 s[14:15], s[4:5]
	s_cbranch_execz .LBB147_45
.LBB147_44:
	v_add_u32_e32 v13, v13, v7
	v_mov_b32_e32 v14, 0
	v_lshlrev_b64 v[13:14], 1, v[13:14]
	s_waitcnt lgkmcnt(0)
	v_mov_b32_e32 v15, s13
	v_add_co_u32_e64 v13, s[6:7], s12, v13
	v_addc_co_u32_e64 v14, s[6:7], v15, v14, s[6:7]
	global_store_short v[13:14], v12, off
.LBB147_45:
	s_or_b64 exec, exec, s[14:15]
	v_add3_u32 v12, v45, s11, 32
	v_cmp_gt_u32_e64 s[6:7], s8, v12
	s_and_b64 exec, exec, s[6:7]
	s_cbranch_execz .LBB147_69
; %bb.46:
	v_mul_lo_u32 v12, v12, s10
	s_and_saveexec_b64 s[14:15], vcc
	s_cbranch_execnz .LBB147_79
; %bb.47:
	s_or_b64 exec, exec, s[14:15]
	s_and_saveexec_b64 s[14:15], s[0:1]
	s_cbranch_execnz .LBB147_80
.LBB147_48:
	s_or_b64 exec, exec, s[14:15]
	s_and_saveexec_b64 s[14:15], s[2:3]
	s_cbranch_execnz .LBB147_81
.LBB147_49:
	s_or_b64 exec, exec, s[14:15]
	s_and_saveexec_b64 s[14:15], s[4:5]
	s_cbranch_execz .LBB147_51
.LBB147_50:
	v_add_u32_e32 v12, v12, v7
	v_mov_b32_e32 v13, 0
	v_lshlrev_b64 v[12:13], 1, v[12:13]
	s_waitcnt lgkmcnt(0)
	v_mov_b32_e32 v14, s13
	v_add_co_u32_e64 v12, s[6:7], s12, v12
	v_addc_co_u32_e64 v13, s[6:7], v14, v13, s[6:7]
	global_store_short_d16_hi v[12:13], v8, off
.LBB147_51:
	s_or_b64 exec, exec, s[14:15]
	v_add3_u32 v12, v45, s11, 40
	v_cmp_gt_u32_e64 s[6:7], s8, v12
	s_and_b64 exec, exec, s[6:7]
	s_cbranch_execz .LBB147_69
; %bb.52:
	v_mul_lo_u32 v12, v12, s10
	s_and_saveexec_b64 s[14:15], vcc
	s_cbranch_execnz .LBB147_82
; %bb.53:
	s_or_b64 exec, exec, s[14:15]
	s_and_saveexec_b64 s[14:15], s[0:1]
	s_cbranch_execnz .LBB147_83
.LBB147_54:
	s_or_b64 exec, exec, s[14:15]
	s_and_saveexec_b64 s[14:15], s[2:3]
	s_cbranch_execnz .LBB147_84
.LBB147_55:
	s_or_b64 exec, exec, s[14:15]
	s_and_saveexec_b64 s[14:15], s[4:5]
	s_cbranch_execz .LBB147_57
.LBB147_56:
	v_add_u32_e32 v9, v12, v7
	v_mov_b32_e32 v10, 0
	v_lshlrev_b64 v[9:10], 1, v[9:10]
	s_waitcnt lgkmcnt(0)
	v_mov_b32_e32 v11, s13
	v_add_co_u32_e64 v9, s[6:7], s12, v9
	v_addc_co_u32_e64 v10, s[6:7], v11, v10, s[6:7]
	global_store_short v[9:10], v8, off
.LBB147_57:
	s_or_b64 exec, exec, s[14:15]
	v_add3_u32 v8, v45, s11, 48
	v_cmp_gt_u32_e64 s[6:7], s8, v8
	s_and_b64 exec, exec, s[6:7]
	s_cbranch_execz .LBB147_69
; %bb.58:
	v_mul_lo_u32 v8, v8, s10
	s_and_saveexec_b64 s[14:15], vcc
	s_cbranch_execnz .LBB147_85
; %bb.59:
	s_or_b64 exec, exec, s[14:15]
	s_and_saveexec_b64 s[14:15], s[0:1]
	s_cbranch_execnz .LBB147_86
.LBB147_60:
	s_or_b64 exec, exec, s[14:15]
	s_and_saveexec_b64 s[14:15], s[2:3]
	s_cbranch_execnz .LBB147_87
.LBB147_61:
	s_or_b64 exec, exec, s[14:15]
	s_and_saveexec_b64 s[14:15], s[4:5]
	s_cbranch_execz .LBB147_63
.LBB147_62:
	v_add_u32_e32 v8, v8, v7
	v_mov_b32_e32 v9, 0
	v_lshlrev_b64 v[8:9], 1, v[8:9]
	s_waitcnt lgkmcnt(0)
	v_mov_b32_e32 v10, s13
	v_add_co_u32_e64 v8, s[6:7], s12, v8
	v_addc_co_u32_e64 v9, s[6:7], v10, v9, s[6:7]
	global_store_short_d16_hi v[8:9], v0, off
.LBB147_63:
	s_or_b64 exec, exec, s[14:15]
	v_add3_u32 v8, v45, s11, 56
	v_cmp_gt_u32_e64 s[6:7], s8, v8
	s_and_b64 exec, exec, s[6:7]
	s_cbranch_execz .LBB147_69
; %bb.64:
	v_mul_lo_u32 v8, v8, s10
	s_and_saveexec_b64 s[6:7], vcc
	s_cbranch_execnz .LBB147_88
; %bb.65:
	s_or_b64 exec, exec, s[6:7]
	s_and_saveexec_b64 s[6:7], s[0:1]
	s_cbranch_execnz .LBB147_89
.LBB147_66:
	s_or_b64 exec, exec, s[6:7]
	s_and_saveexec_b64 s[0:1], s[2:3]
	s_cbranch_execnz .LBB147_90
.LBB147_67:
	s_or_b64 exec, exec, s[0:1]
	s_and_b64 exec, exec, s[4:5]
	s_cbranch_execz .LBB147_69
.LBB147_68:
	v_add_u32_e32 v1, v8, v7
	v_mov_b32_e32 v2, 0
	v_lshlrev_b64 v[1:2], 1, v[1:2]
	s_waitcnt lgkmcnt(0)
	v_mov_b32_e32 v3, s13
	v_add_co_u32_e32 v1, vcc, s12, v1
	v_addc_co_u32_e32 v2, vcc, v3, v2, vcc
	global_store_short v[1:2], v0, off
.LBB147_69:
	s_endpgm
.LBB147_70:
	v_add_u32_e32 v17, v13, v4
	v_mov_b32_e32 v18, 0
	v_lshlrev_b64 v[17:18], 1, v[17:18]
	s_waitcnt lgkmcnt(0)
	v_mov_b32_e32 v14, s13
	v_add_co_u32_e64 v17, s[6:7], s12, v17
	v_addc_co_u32_e64 v18, s[6:7], v14, v18, s[6:7]
	global_store_short v[17:18], v42, off
	s_or_b64 exec, exec, s[14:15]
	s_and_saveexec_b64 s[14:15], s[0:1]
	s_cbranch_execz .LBB147_30
.LBB147_71:
	v_add_u32_e32 v17, v13, v5
	v_mov_b32_e32 v18, 0
	v_lshlrev_b64 v[17:18], 1, v[17:18]
	s_waitcnt lgkmcnt(0)
	v_mov_b32_e32 v14, s13
	v_add_co_u32_e64 v17, s[6:7], s12, v17
	v_addc_co_u32_e64 v18, s[6:7], v14, v18, s[6:7]
	global_store_short v[17:18], v41, off
	s_or_b64 exec, exec, s[14:15]
	s_and_saveexec_b64 s[14:15], s[2:3]
	s_cbranch_execz .LBB147_31
.LBB147_72:
	v_add_u32_e32 v17, v13, v6
	v_mov_b32_e32 v18, 0
	v_lshlrev_b64 v[17:18], 1, v[17:18]
	s_waitcnt lgkmcnt(0)
	v_mov_b32_e32 v14, s13
	v_add_co_u32_e64 v17, s[6:7], s12, v17
	v_addc_co_u32_e64 v18, s[6:7], v14, v18, s[6:7]
	global_store_short v[17:18], v40, off
	s_or_b64 exec, exec, s[14:15]
	s_and_saveexec_b64 s[14:15], s[4:5]
	s_cbranch_execnz .LBB147_32
	s_branch .LBB147_33
.LBB147_73:
	v_add_u32_e32 v17, v13, v4
	v_mov_b32_e32 v18, 0
	v_lshlrev_b64 v[17:18], 1, v[17:18]
	s_waitcnt lgkmcnt(0)
	v_mov_b32_e32 v14, s13
	v_add_co_u32_e64 v17, s[6:7], s12, v17
	v_addc_co_u32_e64 v18, s[6:7], v14, v18, s[6:7]
	global_store_short_d16_hi v[17:18], v31, off
	s_or_b64 exec, exec, s[14:15]
	s_and_saveexec_b64 s[14:15], s[0:1]
	s_cbranch_execz .LBB147_36
.LBB147_74:
	v_add_u32_e32 v17, v13, v5
	v_mov_b32_e32 v18, 0
	v_lshlrev_b64 v[17:18], 1, v[17:18]
	s_waitcnt lgkmcnt(0)
	v_mov_b32_e32 v14, s13
	v_add_co_u32_e64 v17, s[6:7], s12, v17
	v_addc_co_u32_e64 v18, s[6:7], v14, v18, s[6:7]
	global_store_short_d16_hi v[17:18], v16, off
	s_or_b64 exec, exec, s[14:15]
	s_and_saveexec_b64 s[14:15], s[2:3]
	s_cbranch_execz .LBB147_37
.LBB147_75:
	v_add_u32_e32 v17, v13, v6
	v_mov_b32_e32 v18, 0
	v_lshlrev_b64 v[17:18], 1, v[17:18]
	s_waitcnt lgkmcnt(0)
	v_mov_b32_e32 v14, s13
	v_add_co_u32_e64 v17, s[6:7], s12, v17
	v_addc_co_u32_e64 v18, s[6:7], v14, v18, s[6:7]
	global_store_short_d16_hi v[17:18], v15, off
	s_or_b64 exec, exec, s[14:15]
	s_and_saveexec_b64 s[14:15], s[4:5]
	s_cbranch_execnz .LBB147_38
	s_branch .LBB147_39
.LBB147_76:
	v_add_u32_e32 v17, v13, v4
	v_mov_b32_e32 v18, 0
	v_lshlrev_b64 v[17:18], 1, v[17:18]
	s_waitcnt lgkmcnt(0)
	v_mov_b32_e32 v14, s13
	v_add_co_u32_e64 v17, s[6:7], s12, v17
	v_addc_co_u32_e64 v18, s[6:7], v14, v18, s[6:7]
	global_store_short v[17:18], v31, off
	s_or_b64 exec, exec, s[14:15]
	s_and_saveexec_b64 s[14:15], s[0:1]
	s_cbranch_execz .LBB147_42
.LBB147_77:
	v_add_u32_e32 v17, v13, v5
	v_mov_b32_e32 v18, 0
	v_lshlrev_b64 v[17:18], 1, v[17:18]
	s_waitcnt lgkmcnt(0)
	v_mov_b32_e32 v14, s13
	v_add_co_u32_e64 v17, s[6:7], s12, v17
	v_addc_co_u32_e64 v18, s[6:7], v14, v18, s[6:7]
	global_store_short v[17:18], v16, off
	s_or_b64 exec, exec, s[14:15]
	s_and_saveexec_b64 s[14:15], s[2:3]
	s_cbranch_execz .LBB147_43
.LBB147_78:
	v_add_u32_e32 v16, v13, v6
	v_mov_b32_e32 v17, 0
	v_lshlrev_b64 v[16:17], 1, v[16:17]
	s_waitcnt lgkmcnt(0)
	v_mov_b32_e32 v14, s13
	v_add_co_u32_e64 v16, s[6:7], s12, v16
	v_addc_co_u32_e64 v17, s[6:7], v14, v17, s[6:7]
	global_store_short v[16:17], v15, off
	s_or_b64 exec, exec, s[14:15]
	s_and_saveexec_b64 s[14:15], s[4:5]
	s_cbranch_execnz .LBB147_44
	s_branch .LBB147_45
.LBB147_79:
	v_add_u32_e32 v13, v12, v4
	v_mov_b32_e32 v14, 0
	v_lshlrev_b64 v[13:14], 1, v[13:14]
	s_waitcnt lgkmcnt(0)
	v_mov_b32_e32 v15, s13
	v_add_co_u32_e64 v13, s[6:7], s12, v13
	v_addc_co_u32_e64 v14, s[6:7], v15, v14, s[6:7]
	global_store_short_d16_hi v[13:14], v11, off
	s_or_b64 exec, exec, s[14:15]
	s_and_saveexec_b64 s[14:15], s[0:1]
	s_cbranch_execz .LBB147_48
.LBB147_80:
	v_add_u32_e32 v13, v12, v5
	v_mov_b32_e32 v14, 0
	v_lshlrev_b64 v[13:14], 1, v[13:14]
	s_waitcnt lgkmcnt(0)
	v_mov_b32_e32 v15, s13
	v_add_co_u32_e64 v13, s[6:7], s12, v13
	v_addc_co_u32_e64 v14, s[6:7], v15, v14, s[6:7]
	global_store_short_d16_hi v[13:14], v10, off
	s_or_b64 exec, exec, s[14:15]
	s_and_saveexec_b64 s[14:15], s[2:3]
	s_cbranch_execz .LBB147_49
.LBB147_81:
	v_add_u32_e32 v13, v12, v6
	v_mov_b32_e32 v14, 0
	v_lshlrev_b64 v[13:14], 1, v[13:14]
	s_waitcnt lgkmcnt(0)
	v_mov_b32_e32 v15, s13
	v_add_co_u32_e64 v13, s[6:7], s12, v13
	v_addc_co_u32_e64 v14, s[6:7], v15, v14, s[6:7]
	global_store_short_d16_hi v[13:14], v9, off
	s_or_b64 exec, exec, s[14:15]
	s_and_saveexec_b64 s[14:15], s[4:5]
	s_cbranch_execnz .LBB147_50
	s_branch .LBB147_51
.LBB147_82:
	v_add_u32_e32 v13, v12, v4
	v_mov_b32_e32 v14, 0
	v_lshlrev_b64 v[13:14], 1, v[13:14]
	s_waitcnt lgkmcnt(0)
	v_mov_b32_e32 v15, s13
	v_add_co_u32_e64 v13, s[6:7], s12, v13
	v_addc_co_u32_e64 v14, s[6:7], v15, v14, s[6:7]
	global_store_short v[13:14], v11, off
	s_or_b64 exec, exec, s[14:15]
	s_and_saveexec_b64 s[14:15], s[0:1]
	s_cbranch_execz .LBB147_54
.LBB147_83:
	v_add_u32_e32 v13, v12, v5
	v_mov_b32_e32 v14, 0
	v_lshlrev_b64 v[13:14], 1, v[13:14]
	s_waitcnt lgkmcnt(0)
	v_mov_b32_e32 v11, s13
	v_add_co_u32_e64 v13, s[6:7], s12, v13
	v_addc_co_u32_e64 v14, s[6:7], v11, v14, s[6:7]
	global_store_short v[13:14], v10, off
	s_or_b64 exec, exec, s[14:15]
	s_and_saveexec_b64 s[14:15], s[2:3]
	s_cbranch_execz .LBB147_55
.LBB147_84:
	v_add_u32_e32 v10, v12, v6
	v_mov_b32_e32 v11, 0
	v_lshlrev_b64 v[10:11], 1, v[10:11]
	s_waitcnt lgkmcnt(0)
	v_mov_b32_e32 v13, s13
	v_add_co_u32_e64 v10, s[6:7], s12, v10
	v_addc_co_u32_e64 v11, s[6:7], v13, v11, s[6:7]
	global_store_short v[10:11], v9, off
	s_or_b64 exec, exec, s[14:15]
	s_and_saveexec_b64 s[14:15], s[4:5]
	s_cbranch_execnz .LBB147_56
	s_branch .LBB147_57
.LBB147_85:
	v_add_u32_e32 v9, v8, v4
	v_mov_b32_e32 v10, 0
	v_lshlrev_b64 v[9:10], 1, v[9:10]
	s_waitcnt lgkmcnt(0)
	v_mov_b32_e32 v11, s13
	v_add_co_u32_e64 v9, s[6:7], s12, v9
	v_addc_co_u32_e64 v10, s[6:7], v11, v10, s[6:7]
	global_store_short_d16_hi v[9:10], v3, off
	s_or_b64 exec, exec, s[14:15]
	s_and_saveexec_b64 s[14:15], s[0:1]
	s_cbranch_execz .LBB147_60
.LBB147_86:
	v_add_u32_e32 v9, v8, v5
	v_mov_b32_e32 v10, 0
	v_lshlrev_b64 v[9:10], 1, v[9:10]
	s_waitcnt lgkmcnt(0)
	v_mov_b32_e32 v11, s13
	v_add_co_u32_e64 v9, s[6:7], s12, v9
	v_addc_co_u32_e64 v10, s[6:7], v11, v10, s[6:7]
	global_store_short_d16_hi v[9:10], v2, off
	s_or_b64 exec, exec, s[14:15]
	s_and_saveexec_b64 s[14:15], s[2:3]
	s_cbranch_execz .LBB147_61
.LBB147_87:
	v_add_u32_e32 v9, v8, v6
	v_mov_b32_e32 v10, 0
	v_lshlrev_b64 v[9:10], 1, v[9:10]
	s_waitcnt lgkmcnt(0)
	v_mov_b32_e32 v11, s13
	v_add_co_u32_e64 v9, s[6:7], s12, v9
	v_addc_co_u32_e64 v10, s[6:7], v11, v10, s[6:7]
	global_store_short_d16_hi v[9:10], v1, off
	s_or_b64 exec, exec, s[14:15]
	s_and_saveexec_b64 s[14:15], s[4:5]
	s_cbranch_execnz .LBB147_62
	s_branch .LBB147_63
.LBB147_88:
	v_add_u32_e32 v9, v8, v4
	v_mov_b32_e32 v10, 0
	v_lshlrev_b64 v[9:10], 1, v[9:10]
	s_waitcnt lgkmcnt(0)
	v_mov_b32_e32 v4, s13
	v_add_co_u32_e32 v9, vcc, s12, v9
	v_addc_co_u32_e32 v10, vcc, v4, v10, vcc
	global_store_short v[9:10], v3, off
	s_or_b64 exec, exec, s[6:7]
	s_and_saveexec_b64 s[6:7], s[0:1]
	s_cbranch_execz .LBB147_66
.LBB147_89:
	v_add_u32_e32 v3, v8, v5
	v_mov_b32_e32 v4, 0
	v_lshlrev_b64 v[3:4], 1, v[3:4]
	s_waitcnt lgkmcnt(0)
	v_mov_b32_e32 v5, s13
	v_add_co_u32_e32 v3, vcc, s12, v3
	v_addc_co_u32_e32 v4, vcc, v5, v4, vcc
	global_store_short v[3:4], v2, off
	s_or_b64 exec, exec, s[6:7]
	s_and_saveexec_b64 s[0:1], s[2:3]
	s_cbranch_execz .LBB147_67
.LBB147_90:
	v_add_u32_e32 v2, v8, v6
	v_mov_b32_e32 v3, 0
	v_lshlrev_b64 v[2:3], 1, v[2:3]
	s_waitcnt lgkmcnt(0)
	v_mov_b32_e32 v4, s13
	v_add_co_u32_e32 v2, vcc, s12, v2
	v_addc_co_u32_e32 v3, vcc, v4, v3, vcc
	global_store_short v[2:3], v1, off
	s_or_b64 exec, exec, s[0:1]
	s_and_b64 exec, exec, s[4:5]
	s_cbranch_execnz .LBB147_68
	s_branch .LBB147_69
	.section	.rodata,"a",@progbits
	.p2align	6, 0x0
	.amdhsa_kernel _ZL12mul_mat_q2_KIN3c104HalfELb0EEvPKvS3_PT_iiiii
		.amdhsa_group_segment_fixed_size 31392
		.amdhsa_private_segment_fixed_size 300
		.amdhsa_kernarg_size 44
		.amdhsa_user_sgpr_count 6
		.amdhsa_user_sgpr_private_segment_buffer 1
		.amdhsa_user_sgpr_dispatch_ptr 0
		.amdhsa_user_sgpr_queue_ptr 0
		.amdhsa_user_sgpr_kernarg_segment_ptr 1
		.amdhsa_user_sgpr_dispatch_id 0
		.amdhsa_user_sgpr_flat_scratch_init 0
		.amdhsa_user_sgpr_private_segment_size 0
		.amdhsa_uses_dynamic_stack 0
		.amdhsa_system_sgpr_private_segment_wavefront_offset 1
		.amdhsa_system_sgpr_workgroup_id_x 1
		.amdhsa_system_sgpr_workgroup_id_y 1
		.amdhsa_system_sgpr_workgroup_id_z 0
		.amdhsa_system_sgpr_workgroup_info 0
		.amdhsa_system_vgpr_workitem_id 1
		.amdhsa_next_free_vgpr 128
		.amdhsa_next_free_sgpr 98
		.amdhsa_reserve_vcc 1
		.amdhsa_reserve_flat_scratch 0
		.amdhsa_float_round_mode_32 0
		.amdhsa_float_round_mode_16_64 0
		.amdhsa_float_denorm_mode_32 3
		.amdhsa_float_denorm_mode_16_64 3
		.amdhsa_dx10_clamp 1
		.amdhsa_ieee_mode 1
		.amdhsa_fp16_overflow 0
		.amdhsa_exception_fp_ieee_invalid_op 0
		.amdhsa_exception_fp_denorm_src 0
		.amdhsa_exception_fp_ieee_div_zero 0
		.amdhsa_exception_fp_ieee_overflow 0
		.amdhsa_exception_fp_ieee_underflow 0
		.amdhsa_exception_fp_ieee_inexact 0
		.amdhsa_exception_int_div_zero 0
	.end_amdhsa_kernel
	.section	.text._ZL12mul_mat_q2_KIN3c104HalfELb0EEvPKvS3_PT_iiiii,"axG",@progbits,_ZL12mul_mat_q2_KIN3c104HalfELb0EEvPKvS3_PT_iiiii,comdat
.Lfunc_end147:
	.size	_ZL12mul_mat_q2_KIN3c104HalfELb0EEvPKvS3_PT_iiiii, .Lfunc_end147-_ZL12mul_mat_q2_KIN3c104HalfELb0EEvPKvS3_PT_iiiii
                                        ; -- End function
	.set _ZL12mul_mat_q2_KIN3c104HalfELb0EEvPKvS3_PT_iiiii.num_vgpr, 128
	.set _ZL12mul_mat_q2_KIN3c104HalfELb0EEvPKvS3_PT_iiiii.num_agpr, 0
	.set _ZL12mul_mat_q2_KIN3c104HalfELb0EEvPKvS3_PT_iiiii.numbered_sgpr, 24
	.set _ZL12mul_mat_q2_KIN3c104HalfELb0EEvPKvS3_PT_iiiii.num_named_barrier, 0
	.set _ZL12mul_mat_q2_KIN3c104HalfELb0EEvPKvS3_PT_iiiii.private_seg_size, 300
	.set _ZL12mul_mat_q2_KIN3c104HalfELb0EEvPKvS3_PT_iiiii.uses_vcc, 1
	.set _ZL12mul_mat_q2_KIN3c104HalfELb0EEvPKvS3_PT_iiiii.uses_flat_scratch, 0
	.set _ZL12mul_mat_q2_KIN3c104HalfELb0EEvPKvS3_PT_iiiii.has_dyn_sized_stack, 0
	.set _ZL12mul_mat_q2_KIN3c104HalfELb0EEvPKvS3_PT_iiiii.has_recursion, 0
	.set _ZL12mul_mat_q2_KIN3c104HalfELb0EEvPKvS3_PT_iiiii.has_indirect_call, 0
	.section	.AMDGPU.csdata,"",@progbits
; Kernel info:
; codeLenInByte = 35996
; TotalNumSgprs: 28
; NumVgprs: 128
; ScratchSize: 300
; MemoryBound: 0
; FloatMode: 240
; IeeeMode: 1
; LDSByteSize: 31392 bytes/workgroup (compile time only)
; SGPRBlocks: 12
; VGPRBlocks: 31
; NumSGPRsForWavesPerEU: 102
; NumVGPRsForWavesPerEU: 128
; Occupancy: 2
; WaveLimiterHint : 0
; COMPUTE_PGM_RSRC2:SCRATCH_EN: 1
; COMPUTE_PGM_RSRC2:USER_SGPR: 6
; COMPUTE_PGM_RSRC2:TRAP_HANDLER: 0
; COMPUTE_PGM_RSRC2:TGID_X_EN: 1
; COMPUTE_PGM_RSRC2:TGID_Y_EN: 1
; COMPUTE_PGM_RSRC2:TGID_Z_EN: 0
; COMPUTE_PGM_RSRC2:TIDIG_COMP_CNT: 1
	.section	.text._ZL12mul_mat_q2_KIN3c104HalfELb1EEvPKvS3_PT_iiiii,"axG",@progbits,_ZL12mul_mat_q2_KIN3c104HalfELb1EEvPKvS3_PT_iiiii,comdat
	.globl	_ZL12mul_mat_q2_KIN3c104HalfELb1EEvPKvS3_PT_iiiii ; -- Begin function _ZL12mul_mat_q2_KIN3c104HalfELb1EEvPKvS3_PT_iiiii
	.p2align	8
	.type	_ZL12mul_mat_q2_KIN3c104HalfELb1EEvPKvS3_PT_iiiii,@function
_ZL12mul_mat_q2_KIN3c104HalfELb1EEvPKvS3_PT_iiiii: ; @_ZL12mul_mat_q2_KIN3c104HalfELb1EEvPKvS3_PT_iiiii
; %bb.0:
	s_mov_b64 s[22:23], s[2:3]
	s_mov_b64 s[20:21], s[0:1]
	s_add_u32 s20, s20, s8
	s_load_dwordx4 s[8:11], s[4:5], 0x18
	s_load_dword s14, s[4:5], 0x28
	s_addc_u32 s21, s21, 0
	v_mov_b32_e32 v32, v1
	s_lshl_b32 s15, s7, 6
	v_mov_b32_e32 v34, v0
	s_waitcnt lgkmcnt(0)
	s_cmpk_gt_i32 s8, 0xff
	v_add_u32_e32 v33, s15, v32
	s_cbranch_scc1 .LBB148_2
; %bb.1:
	v_add_u32_e32 v4, s15, v32
	s_mov_b64 s[0:1], 0
	s_branch .LBB148_3
.LBB148_2:
	s_mov_b64 s[0:1], -1
                                        ; implicit-def: $vgpr4
.LBB148_3:
	s_load_dwordx2 s[12:13], s[4:5], 0x10
	s_lshl_b32 s6, s6, 7
	s_mov_b32 s7, 0
	v_mov_b32_e32 v0, 0
	s_andn2_b64 vcc, exec, s[0:1]
	v_mov_b32_e32 v8, 0
	v_mov_b32_e32 v12, 0
	;; [unrolled: 1-line block ×15, first 2 shown]
	s_cbranch_vccnz .LBB148_17
; %bb.4:
	s_load_dwordx4 s[0:3], s[4:5], 0x0
	s_ashr_i32 s4, s8, 31
	s_lshr_b32 s4, s4, 24
	s_add_i32 s4, s8, s4
	s_ashr_i32 s5, s11, 31
	s_ashr_i32 s4, s4, 8
	s_lshr_b32 s5, s5, 27
	s_add_i32 s5, s11, s5
	s_mul_i32 s11, s4, s6
	s_ashr_i32 s8, s5, 5
	s_mul_hi_i32 s16, s11, 0x54
	s_mulk_i32 s11, 0x54
	s_waitcnt lgkmcnt(0)
	s_add_u32 s0, s0, s11
	s_addc_u32 s1, s1, s16
	s_not_b32 s11, s6
	v_lshlrev_b32_e32 v0, 2, v34
	s_add_i32 s9, s9, s11
	v_and_b32_e32 v1, 60, v0
	buffer_store_dword v1, off, s[20:23], 0 offset:120 ; 4-byte Folded Spill
	v_min_i32_e32 v1, s9, v32
	v_mul_lo_u32 v2, v1, s4
	s_movk_i32 s11, 0x84
	v_add_u32_e32 v9, 8, v32
	v_add_u32_e32 v11, 16, v32
	buffer_store_dword v2, off, s[20:23], 0 offset:124 ; 4-byte Folded Spill
	v_mad_u64_u32 v[1:2], s[16:17], v1, s11, v[0:1]
	buffer_store_dword v1, off, s[20:23], 0 offset:128 ; 4-byte Folded Spill
	s_nop 0
	buffer_store_dword v2, off, s[20:23], 0 offset:132 ; 4-byte Folded Spill
	v_min_i32_e32 v1, s9, v9
	v_mul_lo_u32 v2, v1, s4
	v_add_u32_e32 v15, 24, v32
	v_add_u32_e32 v16, 32, v32
	;; [unrolled: 1-line block ×3, first 2 shown]
	buffer_store_dword v2, off, s[20:23], 0 offset:136 ; 4-byte Folded Spill
	v_mad_u64_u32 v[1:2], s[16:17], v1, s11, v[0:1]
	buffer_store_dword v1, off, s[20:23], 0 offset:140 ; 4-byte Folded Spill
	s_nop 0
	buffer_store_dword v2, off, s[20:23], 0 offset:144 ; 4-byte Folded Spill
	v_min_i32_e32 v1, s9, v11
	v_mul_lo_u32 v2, v1, s4
	v_add_u32_e32 v18, 48, v32
	v_add_u32_e32 v19, 56, v32
	v_lshlrev_b32_e32 v20, 4, v32
	buffer_store_dword v2, off, s[20:23], 0 offset:148 ; 4-byte Folded Spill
	v_mad_u64_u32 v[1:2], s[16:17], v1, s11, v[0:1]
	buffer_store_dword v1, off, s[20:23], 0 offset:152 ; 4-byte Folded Spill
	s_nop 0
	buffer_store_dword v2, off, s[20:23], 0 offset:156 ; 4-byte Folded Spill
	v_min_i32_e32 v1, s9, v15
	v_mul_lo_u32 v2, v1, s4
	v_and_b32_e32 v3, 1, v34
	v_and_b32_e32 v31, 28, v0
	v_add_u32_e32 v5, 8, v33
	buffer_store_dword v2, off, s[20:23], 0 offset:160 ; 4-byte Folded Spill
	v_mad_u64_u32 v[1:2], s[16:17], v1, s11, v[0:1]
	buffer_store_dword v1, off, s[20:23], 0 offset:164 ; 4-byte Folded Spill
	s_nop 0
	buffer_store_dword v2, off, s[20:23], 0 offset:168 ; 4-byte Folded Spill
	v_min_i32_e32 v1, s9, v16
	v_mul_lo_u32 v2, v1, s4
	v_cvt_f64_u32_e32 v[5:6], v5
	v_add_u32_e32 v7, 16, v33
	v_cvt_f64_u32_e32 v[7:8], v7
	buffer_store_dword v2, off, s[20:23], 0 offset:172 ; 4-byte Folded Spill
	v_mad_u64_u32 v[1:2], s[16:17], v1, s11, v[0:1]
	buffer_store_dword v1, off, s[20:23], 0 offset:176 ; 4-byte Folded Spill
	s_nop 0
	buffer_store_dword v2, off, s[20:23], 0 offset:180 ; 4-byte Folded Spill
	v_min_i32_e32 v1, s9, v17
	v_mul_lo_u32 v2, v1, s4
	v_lshlrev_b32_e32 v36, 7, v32
	v_lshlrev_b32_e32 v9, 7, v9
	v_mov_b32_e32 v10, 0
	buffer_store_dword v2, off, s[20:23], 0 offset:184 ; 4-byte Folded Spill
	v_mad_u64_u32 v[1:2], s[16:17], v1, s11, v[0:1]
	buffer_store_dword v1, off, s[20:23], 0 offset:188 ; 4-byte Folded Spill
	s_nop 0
	buffer_store_dword v2, off, s[20:23], 0 offset:192 ; 4-byte Folded Spill
	v_min_i32_e32 v1, s9, v18
	v_mul_lo_u32 v2, v1, s4
	v_lshrrev_b32_e32 v127, 4, v34
	s_movk_i32 s5, 0x54
	buffer_store_dword v2, off, s[20:23], 0 offset:196 ; 4-byte Folded Spill
	v_mad_u64_u32 v[1:2], s[16:17], v1, s11, v[0:1]
	buffer_store_dword v1, off, s[20:23], 0 offset:200 ; 4-byte Folded Spill
	s_nop 0
	buffer_store_dword v2, off, s[20:23], 0 offset:204 ; 4-byte Folded Spill
	v_min_i32_e32 v1, s9, v19
	v_mul_lo_u32 v2, v1, s4
	buffer_store_dword v2, off, s[20:23], 0 offset:208 ; 4-byte Folded Spill
	v_mad_u64_u32 v[1:2], s[16:17], v1, s11, v[0:1]
	buffer_store_dword v1, off, s[20:23], 0 offset:212 ; 4-byte Folded Spill
	s_nop 0
	buffer_store_dword v2, off, s[20:23], 0 offset:216 ; 4-byte Folded Spill
	v_add_u32_e32 v1, 64, v32
	v_min_i32_e32 v1, s9, v1
	v_mul_lo_u32 v2, v1, s4
	buffer_store_dword v2, off, s[20:23], 0 offset:220 ; 4-byte Folded Spill
	v_mad_u64_u32 v[1:2], s[16:17], v1, s11, v[0:1]
	buffer_store_dword v1, off, s[20:23], 0 offset:224 ; 4-byte Folded Spill
	s_nop 0
	buffer_store_dword v2, off, s[20:23], 0 offset:228 ; 4-byte Folded Spill
	v_add_u32_e32 v1, 0x48, v32
	;; [unrolled: 8-line block ×8, first 2 shown]
	v_min_i32_e32 v1, s9, v1
	v_mul_lo_u32 v2, v1, s4
	buffer_store_dword v2, off, s[20:23], 0 offset:304 ; 4-byte Folded Spill
	v_mad_u64_u32 v[1:2], s[16:17], v1, s11, v[0:1]
	buffer_store_dword v1, off, s[20:23], 0 offset:308 ; 4-byte Folded Spill
	s_nop 0
	buffer_store_dword v2, off, s[20:23], 0 offset:312 ; 4-byte Folded Spill
	v_lshrrev_b32_e32 v1, 1, v34
	v_add_u32_e32 v1, v1, v20
	v_and_b32_e32 v1, 0x7f, v1
	v_min_i32_e32 v1, s9, v1
	v_mul_lo_u32 v2, v1, s4
	buffer_store_dword v3, off, s[20:23], 0 offset:316 ; 4-byte Folded Spill
	v_lshlrev_b32_e32 v3, 2, v3
	s_movk_i32 s11, 0x7280
	buffer_store_dword v2, off, s[20:23], 0 offset:320 ; 4-byte Folded Spill
	v_ashrrev_i32_e32 v2, 31, v1
	v_lshrrev_b32_e32 v2, 28, v2
	v_add_u32_e32 v2, v1, v2
	v_ashrrev_i32_e32 v2, 4, v2
	v_lshlrev_b32_e32 v2, 2, v2
	v_add3_u32 v21, v2, v3, s11
	v_and_b32_e32 v2, 7, v34
	v_cmp_lt_u32_e32 vcc, 3, v2
	v_lshlrev_b32_e32 v22, 3, v1
	v_lshrrev_b32_e32 v1, 3, v34
	v_cndmask_b32_e64 v3, 0, 1, vcc
	buffer_store_dword v1, off, s[20:23], 0 offset:324 ; 4-byte Folded Spill
	v_lshl_add_u32 v1, v32, 2, v1
	buffer_store_dword v3, off, s[20:23], 0 offset:328 ; 4-byte Folded Spill
	v_and_b32_e32 v3, 12, v0
	buffer_store_dword v3, off, s[20:23], 0 offset:332 ; 4-byte Folded Spill
	v_min_i32_e32 v3, s9, v1
	v_mul_lo_u32 v4, v3, s4
	v_lshlrev_b32_e32 v24, 5, v3
	v_lshlrev_b32_e32 v2, 2, v2
	s_movk_i32 s11, 0x6200
	buffer_store_dword v4, off, s[20:23], 0 offset:336 ; 4-byte Folded Spill
	v_ashrrev_i32_e32 v4, 31, v3
	v_lshrrev_b32_e32 v4, 30, v4
	v_add_u32_e32 v4, v3, v4
	v_add_u32_e32 v3, 32, v1
	v_and_b32_e32 v4, -4, v4
	v_min_i32_e32 v3, s9, v3
	v_add3_u32 v23, v4, v2, s11
	v_mul_lo_u32 v4, v3, s4
	v_lshlrev_b32_e32 v26, 5, v3
	v_mov_b32_e32 v0, 0x4200
	v_add_co_u32_e32 v37, vcc, s2, v31
	buffer_store_dword v4, off, s[20:23], 0 offset:340 ; 4-byte Folded Spill
	v_ashrrev_i32_e32 v4, 31, v3
	v_lshrrev_b32_e32 v4, 30, v4
	v_add_u32_e32 v4, v3, v4
	v_add_u32_e32 v3, 64, v1
	v_and_b32_e32 v4, -4, v4
	v_min_i32_e32 v3, s9, v3
	v_add3_u32 v25, v4, v2, s11
	v_mul_lo_u32 v4, v3, s4
	v_add_u32_e32 v1, 0x60, v1
	v_min_i32_e32 v1, s9, v1
	v_lshlrev_b32_e32 v28, 5, v3
	buffer_store_dword v4, off, s[20:23], 0 offset:344 ; 4-byte Folded Spill
	v_ashrrev_i32_e32 v4, 31, v3
	v_lshrrev_b32_e32 v4, 30, v4
	v_add_u32_e32 v4, v3, v4
	v_mul_lo_u32 v3, v1, s4
	v_and_b32_e32 v4, -4, v4
	s_add_i32 s9, s10, -1
	v_add3_u32 v27, v4, v2, s11
	buffer_store_dword v3, off, s[20:23], 0 offset:348 ; 4-byte Folded Spill
	v_ashrrev_i32_e32 v3, 31, v1
	v_lshrrev_b32_e32 v3, 30, v3
	v_add_u32_e32 v3, v1, v3
	v_and_b32_e32 v3, -4, v3
	v_add3_u32 v29, v3, v2, s11
	v_and_b32_e32 v3, 31, v34
	v_lshlrev_b32_e32 v30, 5, v1
	v_cvt_f64_i32_e32 v[1:2], s9
	v_lshl_or_b32 v35, v3, 2, v0
	v_cvt_f64_u32_e32 v[3:4], v33
	v_lshrrev_b32_e32 v0, 2, v34
	v_lshl_add_u32 v0, v32, 3, v0
	v_min_f64 v[5:6], v[5:6], v[1:2]
	v_min_f64 v[3:4], v[3:4], v[1:2]
	v_and_b32_e32 v12, 63, v0
	v_or_b32_e32 v13, s15, v12
	v_and_b32_e32 v0, 3, v34
	v_min_i32_e32 v13, s9, v13
	v_min_f64 v[7:8], v[7:8], v[1:2]
	v_mad_u64_u32 v[13:14], s[16:17], v13, s8, v[0:1]
	v_cvt_i32_f64_e32 v3, v[3:4]
	v_lshlrev_b32_e32 v0, 2, v0
	v_lshl_or_b32 v0, v12, 4, v0
	v_add_u32_e32 v0, 0x76a0, v0
	buffer_store_dword v13, off, s[20:23], 0 offset:356 ; 4-byte Folded Spill
	s_nop 0
	buffer_store_dword v14, off, s[20:23], 0 offset:360 ; 4-byte Folded Spill
	buffer_store_dword v0, off, s[20:23], 0 offset:28 ; 4-byte Folded Spill
	v_cvt_i32_f64_e32 v0, v[5:6]
	v_mul_lo_u32 v3, s8, v3
	buffer_store_dword v32, off, s[20:23], 0 offset:400 ; 4-byte Folded Spill
	v_lshlrev_b32_e32 v32, 7, v11
	v_mul_lo_u32 v0, s8, v0
	buffer_store_dword v3, off, s[20:23], 0 offset:32 ; 4-byte Folded Spill
	v_cvt_i32_f64_e32 v3, v[7:8]
	buffer_store_dword v33, off, s[20:23], 0 offset:408 ; 4-byte Folded Spill
	buffer_store_dword v0, off, s[20:23], 0 offset:36 ; 4-byte Folded Spill
	v_mul_lo_u32 v0, s8, v3
	buffer_store_dword v0, off, s[20:23], 0 offset:40 ; 4-byte Folded Spill
	v_add_u32_e32 v0, 24, v33
	v_cvt_f64_u32_e32 v[3:4], v0
	v_add_u32_e32 v0, 32, v33
	v_cvt_f64_u32_e32 v[5:6], v0
	v_add_u32_e32 v0, 40, v33
	v_min_f64 v[3:4], v[3:4], v[1:2]
	v_cvt_f64_u32_e32 v[7:8], v0
	v_add_u32_e32 v0, 48, v33
	v_cvt_f64_u32_e32 v[11:12], v0
	v_add_u32_e32 v0, 56, v33
	v_cvt_f64_u32_e32 v[13:14], v0
	v_min_f64 v[5:6], v[5:6], v[1:2]
	v_min_f64 v[7:8], v[7:8], v[1:2]
	v_cvt_i32_f64_e32 v33, v[3:4]
	v_min_f64 v[3:4], v[11:12], v[1:2]
	v_min_f64 v[0:1], v[13:14], v[1:2]
	v_add_u32_e32 v11, 64, v34
	v_mul_lo_u32 v2, s8, v33
	v_lshlrev_b32_e32 v13, 1, v11
	v_cvt_i32_f64_e32 v5, v[5:6]
	v_cvt_i32_f64_e32 v6, v[7:8]
	v_add_u32_e32 v7, 32, v34
	v_cvt_i32_f64_e32 v3, v[3:4]
	v_cvt_i32_f64_e32 v0, v[0:1]
	v_mul_lo_u32 v4, s8, v6
	buffer_store_dword v2, off, s[20:23], 0 offset:44 ; 4-byte Folded Spill
	v_mul_lo_u32 v3, s8, v3
	v_mul_lo_u32 v0, s8, v0
	v_lshlrev_b32_e32 v2, 7, v15
	v_mul_lo_u32 v5, s8, v5
	buffer_store_dword v3, off, s[20:23], 0 offset:56 ; 4-byte Folded Spill
	v_lshlrev_b32_e32 v3, 7, v18
	v_lshrrev_b32_e32 v18, 3, v7
	v_add_u32_e32 v15, 0x60, v34
	buffer_store_dword v18, off, s[20:23], 0 offset:368 ; 4-byte Folded Spill
	v_lshrrev_b32_e32 v18, 3, v11
	buffer_store_dword v18, off, s[20:23], 0 offset:392 ; 4-byte Folded Spill
	v_lshrrev_b32_e32 v18, 3, v15
	buffer_store_dword v4, off, s[20:23], 0 offset:52 ; 4-byte Folded Spill
	v_mul_u32_u24_e32 v4, 33, v34
	buffer_store_dword v18, off, s[20:23], 0 offset:396 ; 4-byte Folded Spill
	v_mov_b32_e32 v18, s3
	buffer_store_dword v0, off, s[20:23], 0 offset:60 ; 4-byte Folded Spill
	v_lshlrev_b32_e32 v0, 7, v19
	v_addc_co_u32_e32 v38, vcc, 0, v18, vcc
	v_lshlrev_b32_e32 v19, 2, v4
	v_add_u32_e32 v4, 0x76a0, v20
	buffer_store_dword v5, off, s[20:23], 0 offset:48 ; 4-byte Folded Spill
	buffer_store_dword v37, off, s[20:23], 0 offset:64 ; 4-byte Folded Spill
	s_nop 0
	buffer_store_dword v38, off, s[20:23], 0 offset:68 ; 4-byte Folded Spill
	buffer_store_dword v4, off, s[20:23], 0 offset:72 ; 4-byte Folded Spill
	;; [unrolled: 1-line block ×3, first 2 shown]
	v_add_u32_e32 v4, 0x4200, v36
	v_lshlrev_b32_e32 v8, 1, v7
	v_lshrrev_b32_e32 v12, 4, v7
	buffer_store_dword v4, off, s[20:23], 0 offset:76 ; 4-byte Folded Spill
	v_lshlrev_b32_e32 v4, 5, v34
	v_and_b32_e32 v7, 0x1fc, v7
	v_add_u32_e32 v20, v4, v7
	v_and_b32_e32 v7, 0x1fc, v11
	v_and_b32_e32 v18, 0xfc, v34
	v_add_u32_e32 v65, v4, v7
	v_and_b32_e32 v7, 0x1fc, v15
	v_add_u32_e32 v18, v4, v18
	v_add_u32_e32 v75, v4, v7
	;; [unrolled: 1-line block ×3, first 2 shown]
	buffer_store_dword v4, off, s[20:23], 0 offset:372 ; 4-byte Folded Spill
	v_add_u32_e32 v4, v23, v24
	buffer_store_dword v4, off, s[20:23], 0 offset:376 ; 4-byte Folded Spill
	v_add_u32_e32 v4, v25, v26
	;; [unrolled: 2-line block ×3, first 2 shown]
	v_lshlrev_b32_e32 v1, 7, v17
	buffer_store_dword v4, off, s[20:23], 0 offset:384 ; 4-byte Folded Spill
	v_add_u32_e32 v4, v29, v30
	v_lshlrev_b32_e32 v5, 7, v16
	buffer_store_dword v4, off, s[20:23], 0 offset:388 ; 4-byte Folded Spill
	v_add_u32_e32 v4, v35, v9
	v_add_u32_e32 v2, v35, v2
	;; [unrolled: 1-line block ×3, first 2 shown]
	v_lshrrev_b32_e32 v14, 4, v11
	v_mov_b32_e32 v11, v10
	buffer_store_dword v4, off, s[20:23], 0 offset:80 ; 4-byte Folded Spill
	v_add_u32_e32 v4, v35, v32
	buffer_store_dword v2, off, s[20:23], 0 offset:88 ; 4-byte Folded Spill
	v_add_u32_e32 v2, v35, v5
	;; [unrolled: 2-line block ×3, first 2 shown]
	v_lshlrev_b32_e32 v6, 1, v34
	v_lshlrev_b32_e32 v16, 1, v15
	v_lshrrev_b32_e32 v17, 4, v15
	buffer_store_dword v34, off, s[20:23], 0 offset:404 ; 4-byte Folded Spill
	buffer_store_dword v4, off, s[20:23], 0 offset:84 ; 4-byte Folded Spill
	;; [unrolled: 1-line block ×5, first 2 shown]
	v_add_u32_e32 v0, v35, v0
	v_mov_b32_e32 v48, v11
	v_mov_b32_e32 v40, v11
	;; [unrolled: 1-line block ×15, first 2 shown]
	s_mov_b32 s8, 0x1010101
	v_lshlrev_b32_e32 v21, 2, v6
	v_lshlrev_b32_e32 v22, 2, v12
	;; [unrolled: 1-line block ×7, first 2 shown]
	v_mov_b32_e32 v47, v10
	v_mov_b32_e32 v39, v10
	;; [unrolled: 1-line block ×15, first 2 shown]
	buffer_store_dword v0, off, s[20:23], 0 offset:104 ; 4-byte Folded Spill
	buffer_store_dword v127, off, s[20:23], 0 offset:116 ; 4-byte Folded Spill
	buffer_store_dword v18, off, s[20:23], 0 ; 4-byte Folded Spill
	buffer_store_dword v23, off, s[20:23], 0 offset:4 ; 4-byte Folded Spill
	buffer_store_dword v22, off, s[20:23], 0 offset:8 ; 4-byte Folded Spill
	;; [unrolled: 1-line block ×6, first 2 shown]
	s_branch .LBB148_6
.LBB148_5:                              ;   in Loop: Header=BB148_6 Depth=1
	buffer_load_dword v127, off, s[20:23], 0 offset:116 ; 4-byte Folded Reload
	s_add_i32 s7, s7, 2
	s_cmp_ge_i32 s7, s4
	s_cbranch_scc1 .LBB148_16
.LBB148_6:                              ; =>This Loop Header: Depth=1
                                        ;     Child Loop BB148_7 Depth 2
                                        ;     Child Loop BB148_9 Depth 2
	;; [unrolled: 1-line block ×4, first 2 shown]
	buffer_load_dword v6, off, s[20:23], 0 offset:124 ; 4-byte Folded Reload
	buffer_load_dword v8, off, s[20:23], 0 offset:120 ; 4-byte Folded Reload
	s_mul_i32 s11, s7, 0x54
	s_mul_hi_u32 s9, s7, 0x54
	s_add_u32 s16, s0, s11
	s_addc_u32 s17, s1, s9
	v_mov_b32_e32 v2, s16
	v_mov_b32_e32 v3, s17
	s_waitcnt vmcnt(2)
	v_mad_u64_u32 v[4:5], s[16:17], v127, s5, v[2:3]
	s_lshl_b32 s9, s7, 3
	s_mov_b32 s11, 0
	v_mov_b32_e32 v112, 15
	s_waitcnt vmcnt(1)
	v_mad_i64_i32 v[6:7], s[16:17], v6, s5, v[4:5]
	s_waitcnt vmcnt(0)
	v_add_co_u32_e32 v6, vcc, v6, v8
	v_addc_co_u32_e32 v7, vcc, 0, v7, vcc
	global_load_dword v6, v[6:7], off offset:16
	s_nop 0
	buffer_load_dword v14, off, s[20:23], 0 offset:128 ; 4-byte Folded Reload
	buffer_load_dword v15, off, s[20:23], 0 offset:132 ; 4-byte Folded Reload
	s_waitcnt vmcnt(1)
	ds_write_b32 v14, v6
	buffer_load_dword v6, off, s[20:23], 0 offset:136 ; 4-byte Folded Reload
	s_waitcnt vmcnt(0)
	v_mad_i64_i32 v[6:7], s[16:17], v6, s5, v[4:5]
	v_add_co_u32_e32 v6, vcc, v6, v8
	v_addc_co_u32_e32 v7, vcc, 0, v7, vcc
	global_load_dword v6, v[6:7], off offset:16
	s_nop 0
	buffer_load_dword v14, off, s[20:23], 0 offset:140 ; 4-byte Folded Reload
	buffer_load_dword v15, off, s[20:23], 0 offset:144 ; 4-byte Folded Reload
	s_waitcnt vmcnt(1)
	ds_write_b32 v14, v6
	buffer_load_dword v6, off, s[20:23], 0 offset:148 ; 4-byte Folded Reload
	s_waitcnt vmcnt(0)
	v_mad_i64_i32 v[6:7], s[16:17], v6, s5, v[4:5]
	;; [unrolled: 11-line block ×15, first 2 shown]
	v_add_co_u32_e32 v4, vcc, v4, v8
	v_addc_co_u32_e32 v5, vcc, 0, v5, vcc
	global_load_dword v4, v[4:5], off offset:16
	s_nop 0
	buffer_load_dword v5, off, s[20:23], 0 offset:308 ; 4-byte Folded Reload
	buffer_load_dword v6, off, s[20:23], 0 offset:312 ; 4-byte Folded Reload
	;; [unrolled: 1-line block ×4, first 2 shown]
	s_waitcnt vmcnt(3)
	ds_write_b32 v5, v4
	buffer_load_dword v4, off, s[20:23], 0 offset:320 ; 4-byte Folded Reload
	s_waitcnt vmcnt(0)
	v_mad_i64_i32 v[4:5], s[16:17], v4, s5, v[2:3]
	v_mad_u64_u32 v[4:5], s[16:17], v6, s5, v[4:5]
	global_load_dword v4, v[4:5], off offset:80
	s_waitcnt vmcnt(0)
	ds_write_b32 v0, v4
	buffer_load_dword v4, off, s[20:23], 0 offset:328 ; 4-byte Folded Reload
	buffer_load_dword v0, off, s[20:23], 0 offset:376 ; 4-byte Folded Reload
	s_waitcnt vmcnt(1)
	v_mad_u64_u32 v[2:3], s[16:17], v4, s5, v[2:3]
	buffer_load_dword v4, off, s[20:23], 0 offset:332 ; 4-byte Folded Reload
	s_waitcnt vmcnt(0)
	v_add_co_u32_e32 v2, vcc, v2, v4
	buffer_load_dword v4, off, s[20:23], 0 offset:336 ; 4-byte Folded Reload
	v_addc_co_u32_e32 v3, vcc, 0, v3, vcc
	s_waitcnt vmcnt(0)
	v_mad_i64_i32 v[4:5], s[16:17], v4, s5, v[2:3]
	global_load_dword v4, v[4:5], off
	s_waitcnt vmcnt(0)
	ds_write_b32 v0, v4
	buffer_load_dword v4, off, s[20:23], 0 offset:340 ; 4-byte Folded Reload
	buffer_load_dword v0, off, s[20:23], 0 offset:380 ; 4-byte Folded Reload
	s_waitcnt vmcnt(1)
	v_mad_i64_i32 v[4:5], s[16:17], v4, s5, v[2:3]
	global_load_dword v4, v[4:5], off
	s_waitcnt vmcnt(0)
	ds_write_b32 v0, v4
	buffer_load_dword v4, off, s[20:23], 0 offset:344 ; 4-byte Folded Reload
	buffer_load_dword v0, off, s[20:23], 0 offset:384 ; 4-byte Folded Reload
	;; [unrolled: 7-line block ×4, first 2 shown]
	s_waitcnt vmcnt(1)
	v_add_u32_e32 v1, s9, v2
	buffer_load_dword v2, off, s[20:23], 0 offset:324 ; 4-byte Folded Reload
	s_waitcnt vmcnt(0)
	v_add_u32_e32 v4, s9, v2
	buffer_load_dword v2, off, s[20:23], 0 offset:32 ; 4-byte Folded Reload
	buffer_load_dword v6, off, s[20:23], 0 offset:64 ; 4-byte Folded Reload
	;; [unrolled: 1-line block ×3, first 2 shown]
	s_waitcnt vmcnt(2)
	v_add_u32_e32 v2, v4, v2
	s_waitcnt vmcnt(0)
	v_mad_i64_i32 v[2:3], s[16:17], v2, 36, v[6:7]
	global_load_dword v2, v[2:3], off offset:4
	s_nop 0
	buffer_load_dword v3, off, s[20:23], 0 offset:352 ; 4-byte Folded Reload
	buffer_load_dword v5, off, s[20:23], 0 offset:364 ; 4-byte Folded Reload
	s_waitcnt vmcnt(0)
	v_add_u32_e32 v0, v3, v5
	ds_write_b32 v0, v2
	buffer_load_dword v2, off, s[20:23], 0 offset:36 ; 4-byte Folded Reload
	s_nop 0
	buffer_store_dword v0, off, s[20:23], 0 offset:112 ; 4-byte Folded Spill
	buffer_load_dword v0, off, s[20:23], 0 offset:80 ; 4-byte Folded Reload
	s_waitcnt vmcnt(2)
	v_add_u32_e32 v2, v4, v2
	v_mad_i64_i32 v[2:3], s[16:17], v2, 36, v[6:7]
	buffer_store_dword v1, off, s[20:23], 0 offset:108 ; 4-byte Folded Spill
	global_load_dword v2, v[2:3], off offset:4
	s_waitcnt vmcnt(0)
	ds_write_b32 v0, v2
	buffer_load_dword v2, off, s[20:23], 0 offset:40 ; 4-byte Folded Reload
	buffer_load_dword v0, off, s[20:23], 0 offset:84 ; 4-byte Folded Reload
	s_waitcnt vmcnt(1)
	v_add_u32_e32 v2, v4, v2
	v_mad_i64_i32 v[2:3], s[16:17], v2, 36, v[6:7]
	global_load_dword v2, v[2:3], off offset:4
	s_waitcnt vmcnt(0)
	ds_write_b32 v0, v2
	buffer_load_dword v2, off, s[20:23], 0 offset:44 ; 4-byte Folded Reload
	buffer_load_dword v0, off, s[20:23], 0 offset:88 ; 4-byte Folded Reload
	s_waitcnt vmcnt(1)
	v_add_u32_e32 v2, v4, v2
	v_mad_i64_i32 v[2:3], s[16:17], v2, 36, v[6:7]
	;; [unrolled: 8-line block ×6, first 2 shown]
	global_load_dword v2, v[2:3], off offset:4
	s_waitcnt vmcnt(0)
	ds_write_b32 v0, v2
	v_mad_u64_u32 v[2:3], s[16:17], v1, 36, s[2:3]
	v_mov_b32_e32 v1, 4
	global_load_dword v2, v[2:3], off
	s_nop 0
	buffer_load_dword v3, off, s[20:23], 0 offset:28 ; 4-byte Folded Reload
	s_waitcnt vmcnt(1)
	v_cvt_f32_f16_e32 v2, v2
	s_waitcnt vmcnt(0)
	ds_write_b32 v3, v2
	s_waitcnt lgkmcnt(0)
	s_barrier
	buffer_load_dword v63, off, s[20:23], 0 offset:76 ; 4-byte Folded Reload
	buffer_load_dword v64, off, s[20:23], 0 offset:72 ; 4-byte Folded Reload
.LBB148_7:                              ;   Parent Loop BB148_6 Depth=1
                                        ; =>  This Inner Loop Header: Depth=2
	s_and_b32 s17, s11, 0x3ffffff8
	v_mov_b32_e32 v113, v19
	v_lshl_add_u32 v19, s17, 2, v113
	s_waitcnt vmcnt(0)
	ds_read2_b32 v[61:62], v64 offset1:32
	ds_read_b128 v[6:9], v63
	ds_read_b128 v[2:5], v63 offset:16
	ds_read2_b32 v[14:15], v19 offset1:1
	s_and_b32 s16, s11, -16
	s_lshr_b32 s17, s11, 2
	s_add_i32 s16, s11, s16
	s_and_b32 s17, s17, 0x3ffffffc
	s_waitcnt lgkmcnt(0)
	v_ashrrev_i32_e32 v14, s11, v14
	v_and_b32_e32 v115, 0x3030303, v14
	v_ashrrev_i32_e32 v14, s11, v15
	v_and_b32_e32 v114, 0x3030303, v14
	ds_read2_b32 v[14:15], v19 offset0:2 offset1:3
	s_addk_i32 s17, 0x7280
	ds_read_b128 v[116:119], v63 offset:1024
	v_mov_b32_e32 v111, v75
	v_mov_b32_e32 v13, v76
	s_waitcnt lgkmcnt(1)
	v_ashrrev_i32_e32 v14, s11, v14
	v_and_b32_e32 v84, 0x3030303, v14
	v_ashrrev_i32_e32 v14, s11, v15
	v_and_b32_e32 v85, 0x3030303, v14
	ds_read2_b32 v[14:15], v19 offset0:4 offset1:5
	v_mov_b32_e32 v0, v30
	v_mov_b32_e32 v12, v65
	s_waitcnt lgkmcnt(0)
	v_ashrrev_i32_e32 v14, s11, v14
	v_and_b32_e32 v86, 0x3030303, v14
	v_ashrrev_i32_e32 v14, s11, v15
	v_and_b32_e32 v87, 0x3030303, v14
	ds_read2_b32 v[14:15], v19 offset0:6 offset1:7
	s_waitcnt lgkmcnt(0)
	v_ashrrev_i32_e32 v14, s11, v14
	v_and_b32_e32 v88, 0x3030303, v14
	v_ashrrev_i32_e32 v14, s11, v15
	v_and_b32_e32 v89, 0x3030303, v14
	v_add_u32_e32 v14, 0x6200, v18
	v_add_u32_e32 v69, s16, v14
	v_lshlrev_b32_e32 v14, 2, v127
	v_add3_u32 v15, s17, v14, v21
	ds_read_b32 v91, v15
	v_dot4_i32_i8 v15, v115, v6, 0
	v_dot4_i32_i8 v15, v114, v7, v15
	;; [unrolled: 1-line block ×8, first 2 shown]
	v_add_u32_e32 v15, 0x1080, v19
	ds_read2_b32 v[17:18], v15 offset1:1
	s_waitcnt lgkmcnt(1)
	v_cvt_f32_f16_sdwa v95, v91 dst_sel:DWORD dst_unused:UNUSED_PAD src0_sel:WORD_1
	s_waitcnt lgkmcnt(0)
	v_ashrrev_i32_e32 v15, s11, v17
	v_and_b32_e32 v93, 0x3030303, v15
	v_ashrrev_i32_e32 v15, s11, v18
	v_and_b32_e32 v94, 0x3030303, v15
	v_add_u32_e32 v15, 0x1088, v19
	ds_read2_b32 v[17:18], v15 offset1:1
	s_waitcnt lgkmcnt(0)
	v_ashrrev_i32_e32 v15, s11, v17
	v_and_b32_e32 v96, 0x3030303, v15
	v_ashrrev_i32_e32 v15, s11, v18
	v_and_b32_e32 v97, 0x3030303, v15
	v_add_u32_e32 v15, 0x1090, v19
	ds_read2_b32 v[17:18], v15 offset1:1
	;; [unrolled: 7-line block ×3, first 2 shown]
	s_waitcnt lgkmcnt(0)
	v_ashrrev_i32_e32 v15, s11, v17
	v_and_b32_e32 v110, 0x3030303, v15
	v_ashrrev_i32_e32 v15, s11, v18
	v_and_b32_e32 v120, 0x3030303, v15
	v_add_u32_e32 v15, 0x6600, v20
	v_add_u32_e32 v77, s16, v15
	v_add3_u32 v15, s17, v22, v23
	v_add_u32_e32 v17, 0x2100, v19
	ds_read_b32 v121, v15
	ds_read2_b32 v[17:18], v17 offset1:1
	v_dot4_i32_i8 v15, v93, v6, 0
	v_dot4_i32_i8 v15, v94, v7, v15
	;; [unrolled: 1-line block ×4, first 2 shown]
	s_waitcnt lgkmcnt(0)
	v_ashrrev_i32_e32 v17, s11, v17
	v_and_b32_e32 v81, 0x3030303, v17
	v_ashrrev_i32_e32 v17, s11, v18
	v_and_b32_e32 v80, 0x3030303, v17
	v_add_u32_e32 v17, 0x2108, v19
	ds_read2_b32 v[17:18], v17 offset1:1
	v_dot4_i32_i8 v15, v98, v2, 0
	v_dot4_i32_i8 v15, v28, v3, v15
	;; [unrolled: 1-line block ×4, first 2 shown]
	s_waitcnt lgkmcnt(0)
	v_ashrrev_i32_e32 v17, s11, v17
	v_and_b32_e32 v23, 0x3030303, v17
	v_ashrrev_i32_e32 v17, s11, v18
	v_and_b32_e32 v24, 0x3030303, v17
	v_add_u32_e32 v17, 0x2110, v19
	ds_read2_b32 v[17:18], v17 offset1:1
	v_cvt_f32_f16_sdwa v15, v121 dst_sel:DWORD dst_unused:UNUSED_PAD src0_sel:WORD_1
	s_waitcnt lgkmcnt(0)
	v_ashrrev_i32_e32 v17, s11, v17
	v_and_b32_e32 v25, 0x3030303, v17
	v_ashrrev_i32_e32 v17, s11, v18
	v_and_b32_e32 v26, 0x3030303, v17
	v_add_u32_e32 v17, 0x2118, v19
	ds_read2_b32 v[17:18], v17 offset1:1
	s_waitcnt lgkmcnt(0)
	v_ashrrev_i32_e32 v17, s11, v17
	v_and_b32_e32 v27, 0x3030303, v17
	v_ashrrev_i32_e32 v17, s11, v18
	v_and_b32_e32 v79, 0x3030303, v17
	v_add_u32_e32 v17, 0x6a00, v65
	v_add_u32_e32 v99, s16, v17
	v_add3_u32 v17, s17, v30, v66
	ds_read_b32 v82, v17
	v_dot4_i32_i8 v17, v81, v6, 0
	v_dot4_i32_i8 v17, v80, v7, v17
	;; [unrolled: 1-line block ×8, first 2 shown]
	v_add_u32_e32 v17, 0x3180, v19
	ds_read2_b32 v[17:18], v17 offset1:1
	s_waitcnt lgkmcnt(1)
	v_cvt_f32_f16_sdwa v83, v82 dst_sel:DWORD dst_unused:UNUSED_PAD src0_sel:WORD_1
	s_waitcnt lgkmcnt(0)
	v_ashrrev_i32_e32 v17, s11, v17
	v_and_b32_e32 v70, 0x3030303, v17
	v_ashrrev_i32_e32 v17, s11, v18
	v_and_b32_e32 v22, 0x3030303, v17
	v_add_u32_e32 v17, 0x3188, v19
	ds_read2_b32 v[17:18], v17 offset1:1
	v_dot4_i32_i8 v29, v70, v6, 0
	v_dot4_i32_i8 v29, v22, v7, v29
	s_waitcnt lgkmcnt(0)
	v_ashrrev_i32_e32 v17, s11, v17
	v_and_b32_e32 v21, 0x3030303, v17
	v_ashrrev_i32_e32 v17, s11, v18
	v_and_b32_e32 v20, 0x3030303, v17
	v_add_u32_e32 v17, 0x3190, v19
	ds_read2_b32 v[17:18], v17 offset1:1
	v_dot4_i32_i8 v29, v21, v8, v29
	s_waitcnt lgkmcnt(0)
	v_ashrrev_i32_e32 v17, s11, v17
	v_and_b32_e32 v67, 0x3030303, v17
	v_ashrrev_i32_e32 v17, s11, v18
	v_and_b32_e32 v66, 0x3030303, v17
	v_add_u32_e32 v17, 0x3198, v19
	ds_read2_b32 v[17:18], v17 offset1:1
	s_waitcnt lgkmcnt(0)
	v_ashrrev_i32_e32 v17, s11, v17
	v_and_b32_e32 v19, 0x3030303, v17
	v_ashrrev_i32_e32 v17, s11, v18
	v_and_b32_e32 v18, 0x3030303, v17
	v_add_u32_e32 v17, 0x6e00, v75
	v_add_u32_e32 v72, s16, v17
	v_add3_u32 v17, s17, v76, v125
	v_dot4_i32_i8 v125, v20, v9, v29
	v_dot4_i32_i8 v29, v67, v2, 0
	;; [unrolled: 1-line block ×3, first 2 shown]
	ds_read_b128 v[73:76], v63 offset:1040
	v_dot4_i32_i8 v29, v19, v4, v29
	v_dot4_i32_i8 v102, v18, v5, v29
	;; [unrolled: 1-line block ×6, first 2 shown]
	s_waitcnt lgkmcnt(0)
	v_dot4_i32_i8 v29, v86, v73, 0
	v_dot4_i32_i8 v29, v87, v74, v29
	;; [unrolled: 1-line block ×4, first 2 shown]
	ds_read_u16 v29, v69
	ds_read_b32 v17, v17
	s_waitcnt lgkmcnt(1)
	v_bfe_u32 v69, v29, 4, 4
	v_mul_lo_u32 v106, v69, s8
	v_lshrrev_b32_sdwa v101, v1, v29 dst_sel:DWORD dst_unused:UNUSED_PAD src0_sel:DWORD src1_sel:BYTE_1
	v_mul_lo_u32 v105, v101, s8
	v_and_b32_e32 v101, 15, v29
	v_dot4_i32_i8 v69, v106, v6, 0
	v_dot4_i32_i8 v69, v106, v7, v69
	;; [unrolled: 1-line block ×8, first 2 shown]
	v_and_b32_sdwa v29, v29, v112 dst_sel:DWORD dst_unused:UNUSED_PAD src0_sel:BYTE_1 src1_sel:DWORD
	v_and_b32_e32 v107, 0xffff, v29
	v_cvt_f32_i32_e32 v29, v69
	v_and_b32_e32 v108, 0xffff, v101
	v_mul_lo_u32 v30, v30, v107
	s_waitcnt lgkmcnt(0)
	v_cvt_f32_f16_sdwa v65, v17 dst_sel:DWORD dst_unused:UNUSED_PAD src0_sel:WORD_1
	v_mul_f32_e32 v101, v95, v29
	v_dot4_i32_i8 v29, v106, v116, 0
	v_dot4_i32_i8 v29, v106, v117, v29
	v_dot4_i32_i8 v29, v106, v118, v29
	v_dot4_i32_i8 v29, v106, v119, v29
	v_dot4_i32_i8 v29, v105, v73, v29
	v_dot4_i32_i8 v29, v105, v74, v29
	v_dot4_i32_i8 v29, v105, v75, v29
	v_dot4_i32_i8 v103, v105, v76, v29
	v_mul_lo_u32 v29, v68, v108
	v_mad_u64_u32 v[68:69], s[16:17], v100, v108, v[30:31]
                                        ; kill: def $vgpr30 killed $sgpr0 killed $exec
	v_mad_u64_u32 v[29:30], s[16:17], v16, v107, v[29:30]
	v_cvt_f32_i32_e32 v30, v103
	v_cvt_f32_i32_e32 v16, v29
	;; [unrolled: 1-line block ×3, first 2 shown]
	v_mul_f32_e32 v30, v95, v30
	v_fma_mix_f32 v16, v91, v16, -v101 op_sel_hi:[1,0,0]
	v_fma_f32 v11, v61, v16, v11
	v_dot4_i32_i8 v16, v93, v116, 0
	v_dot4_i32_i8 v16, v94, v117, v16
	;; [unrolled: 1-line block ×3, first 2 shown]
	v_fma_mix_f32 v29, v91, v29, -v30 op_sel_hi:[1,0,0]
	v_dot4_i32_i8 v30, v97, v119, v16
	v_dot4_i32_i8 v16, v98, v73, 0
	;; [unrolled: 1-line block ×4, first 2 shown]
	v_fmac_f32_e32 v10, v62, v29
	v_dot4_i32_i8 v29, v120, v76, v16
	ds_read_u16 v16, v77
	s_waitcnt lgkmcnt(0)
	v_bfe_u32 v68, v16, 4, 4
	v_mul_lo_u32 v122, v68, s8
	v_lshrrev_b32_sdwa v69, v1, v16 dst_sel:DWORD dst_unused:UNUSED_PAD src0_sel:DWORD src1_sel:BYTE_1
	v_mul_lo_u32 v109, v69, s8
	v_and_b32_e32 v69, 15, v16
	v_dot4_i32_i8 v68, v122, v6, 0
	v_dot4_i32_i8 v68, v122, v7, v68
	;; [unrolled: 1-line block ×8, first 2 shown]
	v_and_b32_sdwa v16, v16, v112 dst_sel:DWORD dst_unused:UNUSED_PAD src0_sel:BYTE_1 src1_sel:DWORD
	v_and_b32_e32 v123, 0xffff, v16
	v_cvt_f32_i32_e32 v16, v68
	v_and_b32_e32 v124, 0xffff, v69
	v_mul_lo_u32 v29, v29, v123
	v_mul_f32_e32 v77, v15, v16
	v_dot4_i32_i8 v16, v122, v116, 0
	v_dot4_i32_i8 v16, v122, v117, v16
	;; [unrolled: 1-line block ×8, first 2 shown]
	v_mul_lo_u32 v16, v78, v124
	v_mad_u64_u32 v[29:30], s[16:17], v30, v124, v[29:30]
	v_cvt_f32_i32_e32 v30, v100
	v_mad_u64_u32 v[68:69], s[16:17], v71, v123, v[16:17]
	v_cvt_f32_i32_e32 v29, v29
	v_mul_f32_e32 v30, v15, v30
	v_cvt_f32_i32_e32 v16, v68
	v_fma_mix_f32 v29, v121, v29, -v30 op_sel_hi:[1,0,0]
	v_fmac_f32_e32 v55, v62, v29
	v_fma_mix_f32 v16, v121, v16, -v77 op_sel_hi:[1,0,0]
	v_fma_f32 v56, v61, v16, v56
	v_dot4_i32_i8 v16, v81, v116, 0
	v_dot4_i32_i8 v16, v80, v117, v16
	v_dot4_i32_i8 v16, v23, v118, v16
	v_dot4_i32_i8 v30, v24, v119, v16
	v_dot4_i32_i8 v16, v25, v73, 0
	v_dot4_i32_i8 v16, v26, v74, v16
	v_dot4_i32_i8 v16, v27, v75, v16
	v_dot4_i32_i8 v29, v79, v76, v16
	ds_read_u16 v16, v99
	s_waitcnt lgkmcnt(0)
	v_bfe_u32 v68, v16, 4, 4
	v_mul_lo_u32 v101, v68, s8
	v_lshrrev_b32_sdwa v69, v1, v16 dst_sel:DWORD dst_unused:UNUSED_PAD src0_sel:DWORD src1_sel:BYTE_1
	v_mul_lo_u32 v100, v69, s8
	v_and_b32_e32 v69, 15, v16
	v_dot4_i32_i8 v68, v101, v6, 0
	v_dot4_i32_i8 v68, v101, v7, v68
	;; [unrolled: 1-line block ×8, first 2 shown]
	v_and_b32_sdwa v16, v16, v112 dst_sel:DWORD dst_unused:UNUSED_PAD src0_sel:BYTE_1 src1_sel:DWORD
	v_and_b32_e32 v103, 0xffff, v16
	v_cvt_f32_i32_e32 v16, v68
	v_mul_lo_u32 v29, v29, v103
	v_and_b32_e32 v104, 0xffff, v69
	v_mul_f32_e32 v71, v83, v16
	v_dot4_i32_i8 v16, v101, v116, 0
	v_dot4_i32_i8 v16, v101, v117, v16
	v_dot4_i32_i8 v16, v101, v118, v16
	v_dot4_i32_i8 v16, v101, v119, v16
	v_dot4_i32_i8 v16, v100, v73, v16
	v_dot4_i32_i8 v16, v100, v74, v16
	v_mad_u64_u32 v[29:30], s[16:17], v30, v104, v[29:30]
	v_dot4_i32_i8 v16, v100, v75, v16
	v_dot4_i32_i8 v77, v100, v76, v16
	v_cvt_f32_i32_e32 v30, v77
	v_cvt_f32_i32_e32 v29, v29
	v_mul_lo_u32 v16, v92, v104
	v_mul_f32_e32 v30, v83, v30
	v_fma_mix_f32 v29, v82, v29, -v30 op_sel_hi:[1,0,0]
	ds_read_u16 v30, v72
	v_mad_u64_u32 v[68:69], s[16:17], v90, v103, v[16:17]
	v_fmac_f32_e32 v57, v62, v29
	v_dot4_i32_i8 v29, v67, v73, 0
	v_cvt_f32_i32_e32 v16, v68
	s_waitcnt lgkmcnt(0)
	v_bfe_u32 v68, v30, 4, 4
	v_mul_lo_u32 v78, v68, s8
	v_dot4_i32_i8 v29, v66, v74, v29
	v_dot4_i32_i8 v29, v19, v75, v29
	v_fma_mix_f32 v16, v82, v16, -v71 op_sel_hi:[1,0,0]
	v_dot4_i32_i8 v6, v78, v6, 0
	v_dot4_i32_i8 v6, v78, v7, v6
	v_lshrrev_b32_sdwa v7, v1, v30 dst_sel:DWORD dst_unused:UNUSED_PAD src0_sel:DWORD src1_sel:BYTE_1
	v_mul_lo_u32 v69, v7, s8
	v_dot4_i32_i8 v6, v78, v8, v6
	v_dot4_i32_i8 v6, v78, v9, v6
	;; [unrolled: 1-line block ×7, first 2 shown]
	v_cvt_f32_i32_e32 v2, v2
	v_and_b32_sdwa v4, v30, v112 dst_sel:DWORD dst_unused:UNUSED_PAD src0_sel:BYTE_1 src1_sel:DWORD
	v_and_b32_e32 v3, 15, v30
	v_and_b32_e32 v68, 0xffff, v4
	v_mul_f32_e32 v6, v65, v2
	v_dot4_i32_i8 v2, v78, v116, 0
	v_dot4_i32_i8 v2, v78, v117, v2
	;; [unrolled: 1-line block ×3, first 2 shown]
	v_fma_f32 v58, v61, v16, v58
	v_dot4_i32_i8 v16, v70, v116, 0
	v_and_b32_e32 v99, 0xffff, v3
	v_dot4_i32_i8 v2, v78, v119, v2
	v_mul_lo_u32 v3, v29, v68
	v_dot4_i32_i8 v16, v22, v117, v16
	v_dot4_i32_i8 v2, v69, v73, v2
	;; [unrolled: 1-line block ×6, first 2 shown]
                                        ; kill: def $vgpr4 killed $sgpr0 killed $exec
	v_dot4_i32_i8 v7, v69, v76, v2
	v_mul_lo_u32 v2, v125, v99
	v_mad_u64_u32 v[3:4], s[16:17], v16, v99, v[3:4]
	v_mad_u64_u32 v[4:5], s[16:17], v102, v68, v[2:3]
	v_cvt_f32_i32_e32 v3, v3
	v_cvt_f32_i32_e32 v2, v4
	v_cvt_f32_i32_e32 v4, v7
	v_fma_mix_f32 v2, v17, v2, -v6 op_sel_hi:[1,0,0]
	v_mul_f32_e32 v4, v65, v4
	v_fma_mix_f32 v3, v17, v3, -v4 op_sel_hi:[1,0,0]
	v_fma_f32 v60, v61, v2, v60
	v_fmac_f32_e32 v59, v62, v3
	ds_read2_b32 v[61:62], v64 offset0:64 offset1:96
	ds_read_b128 v[6:9], v63 offset:2048
	ds_read_b128 v[2:5], v63 offset:2064
	s_waitcnt lgkmcnt(1)
	v_dot4_i32_i8 v16, v115, v6, 0
	v_dot4_i32_i8 v29, v106, v6, 0
	v_dot4_i32_i8 v16, v114, v7, v16
	v_dot4_i32_i8 v29, v106, v7, v29
	v_dot4_i32_i8 v16, v84, v8, v16
	v_dot4_i32_i8 v29, v106, v8, v29
	v_dot4_i32_i8 v16, v85, v9, v16
	v_dot4_i32_i8 v29, v106, v9, v29
	v_mul_lo_u32 v16, v16, v108
	s_waitcnt lgkmcnt(0)
	v_dot4_i32_i8 v30, v86, v2, 0
	v_dot4_i32_i8 v29, v105, v2, v29
	v_dot4_i32_i8 v30, v87, v3, v30
	v_dot4_i32_i8 v29, v105, v3, v29
	v_dot4_i32_i8 v30, v88, v4, v30
	v_dot4_i32_i8 v29, v105, v4, v29
	v_dot4_i32_i8 v30, v89, v5, v30
	v_dot4_i32_i8 v71, v105, v5, v29
	v_mad_u64_u32 v[29:30], s[16:17], v30, v107, v[16:17]
	v_cvt_f32_i32_e32 v16, v71
	v_dot4_i32_i8 v30, v98, v2, 0
	v_cvt_f32_i32_e32 v102, v29
	v_dot4_i32_i8 v29, v122, v6, 0
	v_mul_f32_e32 v125, v95, v16
	v_dot4_i32_i8 v16, v93, v6, 0
	v_dot4_i32_i8 v16, v94, v7, v16
	;; [unrolled: 1-line block ×7, first 2 shown]
	v_mul_lo_u32 v16, v16, v124
	v_dot4_i32_i8 v29, v109, v2, v29
	v_dot4_i32_i8 v30, v28, v3, v30
	;; [unrolled: 1-line block ×7, first 2 shown]
	v_mad_u64_u32 v[29:30], s[16:17], v30, v123, v[16:17]
	v_cvt_f32_i32_e32 v16, v71
	v_dot4_i32_i8 v30, v25, v2, 0
	v_cvt_f32_i32_e32 v90, v29
	v_dot4_i32_i8 v29, v101, v6, 0
	v_mul_f32_e32 v92, v15, v16
	v_dot4_i32_i8 v16, v81, v6, 0
	v_dot4_i32_i8 v16, v80, v7, v16
	;; [unrolled: 1-line block ×7, first 2 shown]
	v_mul_lo_u32 v16, v16, v104
	v_dot4_i32_i8 v29, v100, v2, v29
	v_dot4_i32_i8 v30, v26, v3, v30
	;; [unrolled: 1-line block ×7, first 2 shown]
	v_mad_u64_u32 v[29:30], s[16:17], v30, v103, v[16:17]
	v_cvt_f32_i32_e32 v16, v29
	v_cvt_f32_i32_e32 v29, v71
	v_mul_f32_e32 v71, v83, v29
	v_dot4_i32_i8 v29, v70, v6, 0
	v_dot4_i32_i8 v6, v78, v6, 0
	;; [unrolled: 1-line block ×8, first 2 shown]
	v_mul_lo_u32 v6, v7, v99
	v_dot4_i32_i8 v7, v67, v2, 0
	v_dot4_i32_i8 v2, v69, v2, v8
	;; [unrolled: 1-line block ×8, first 2 shown]
	v_mad_u64_u32 v[2:3], s[16:17], v3, v68, v[6:7]
	v_fma_mix_f32 v16, v82, v16, -v71 op_sel_hi:[1,0,0]
	v_fma_f32 v52, v61, v16, v52
	v_cvt_f32_i32_e32 v77, v2
	v_cvt_f32_i32_e32 v2, v4
	v_mul_f32_e32 v126, v65, v2
	ds_read_b128 v[6:9], v63 offset:3072
	ds_read_b128 v[2:5], v63 offset:3088
	s_waitcnt lgkmcnt(1)
	v_dot4_i32_i8 v29, v115, v6, 0
	v_dot4_i32_i8 v30, v106, v6, 0
	;; [unrolled: 1-line block ×8, first 2 shown]
	v_mul_lo_u32 v29, v29, v108
	s_waitcnt lgkmcnt(0)
	v_dot4_i32_i8 v72, v86, v2, 0
	v_dot4_i32_i8 v30, v105, v2, v30
	;; [unrolled: 1-line block ×8, first 2 shown]
                                        ; kill: def $vgpr30 killed $sgpr0 killed $exec
	v_dot4_i32_i8 v16, v70, v6, 0
	v_mad_u64_u32 v[29:30], s[16:17], v72, v107, v[29:30]
	v_cvt_f32_i32_e32 v30, v73
	v_dot4_i32_i8 v72, v98, v2, 0
	v_cvt_f32_i32_e32 v29, v29
	v_dot4_i32_i8 v72, v28, v3, v72
	v_mul_f32_e32 v30, v95, v30
	v_dot4_i32_i8 v72, v110, v4, v72
	v_fma_mix_f32 v29, v91, v29, -v30 op_sel_hi:[1,0,0]
	v_fma_mix_f32 v30, v91, v102, -v125 op_sel_hi:[1,0,0]
	v_fma_f32 v48, v61, v30, v48
	v_fmac_f32_e32 v47, v62, v29
	v_dot4_i32_i8 v29, v93, v6, 0
	v_dot4_i32_i8 v30, v122, v6, 0
	;; [unrolled: 1-line block ×8, first 2 shown]
	v_mul_lo_u32 v29, v29, v124
	v_dot4_i32_i8 v30, v109, v2, v30
	v_dot4_i32_i8 v30, v109, v3, v30
	;; [unrolled: 1-line block ×5, first 2 shown]
                                        ; kill: def $vgpr30 killed $sgpr0 killed $exec
	v_dot4_i32_i8 v16, v22, v7, v16
	v_mad_u64_u32 v[29:30], s[16:17], v72, v123, v[29:30]
	v_cvt_f32_i32_e32 v30, v73
	v_dot4_i32_i8 v72, v25, v2, 0
	v_cvt_f32_i32_e32 v29, v29
	v_dot4_i32_i8 v72, v26, v3, v72
	v_mul_f32_e32 v30, v15, v30
	v_dot4_i32_i8 v72, v27, v4, v72
	v_fma_mix_f32 v29, v121, v29, -v30 op_sel_hi:[1,0,0]
	v_fma_mix_f32 v30, v121, v90, -v92 op_sel_hi:[1,0,0]
	v_fma_f32 v50, v61, v30, v50
	v_fmac_f32_e32 v49, v62, v29
	v_dot4_i32_i8 v29, v81, v6, 0
	v_dot4_i32_i8 v30, v101, v6, 0
	v_dot4_i32_i8 v29, v80, v7, v29
	v_dot4_i32_i8 v30, v101, v7, v30
	v_dot4_i32_i8 v6, v78, v6, 0
	v_dot4_i32_i8 v29, v23, v8, v29
	v_dot4_i32_i8 v30, v101, v8, v30
	v_dot4_i32_i8 v6, v78, v7, v6
	v_dot4_i32_i8 v7, v21, v8, v16
	v_dot4_i32_i8 v29, v24, v9, v29
	v_dot4_i32_i8 v30, v101, v9, v30
	v_dot4_i32_i8 v6, v78, v8, v6
	v_dot4_i32_i8 v7, v20, v9, v7
	v_mul_lo_u32 v29, v29, v104
	v_dot4_i32_i8 v30, v100, v2, v30
	v_dot4_i32_i8 v8, v78, v9, v6
	v_mul_lo_u32 v6, v7, v99
	v_dot4_i32_i8 v7, v67, v2, 0
	v_dot4_i32_i8 v30, v100, v3, v30
	;; [unrolled: 1-line block ×9, first 2 shown]
                                        ; kill: def $vgpr30 killed $sgpr0 killed $exec
	v_dot4_i32_i8 v2, v69, v4, v2
	v_dot4_i32_i8 v3, v18, v5, v3
	v_mad_u64_u32 v[29:30], s[16:17], v72, v103, v[29:30]
	v_dot4_i32_i8 v4, v69, v5, v2
	v_mad_u64_u32 v[2:3], s[16:17], v3, v68, v[6:7]
	v_cvt_f32_i32_e32 v30, v73
	v_cvt_f32_i32_e32 v3, v4
	;; [unrolled: 1-line block ×4, first 2 shown]
	v_mul_f32_e32 v30, v83, v30
	v_mul_f32_e32 v3, v65, v3
	v_fma_mix_f32 v29, v82, v29, -v30 op_sel_hi:[1,0,0]
	v_fma_mix_f32 v2, v17, v2, -v3 op_sel_hi:[1,0,0]
	;; [unrolled: 1-line block ×3, first 2 shown]
	buffer_load_dword v125, off, s[20:23], 0 offset:24 ; 4-byte Folded Reload
	v_fmac_f32_e32 v51, v62, v29
	v_fma_f32 v54, v61, v3, v54
	v_fmac_f32_e32 v53, v62, v2
	ds_read2_b32 v[61:62], v64 offset0:128 offset1:160
	ds_read_b128 v[6:9], v63 offset:4096
	ds_read_b128 v[2:5], v63 offset:4112
	s_waitcnt lgkmcnt(1)
	v_dot4_i32_i8 v16, v115, v6, 0
	v_dot4_i32_i8 v29, v106, v6, 0
	;; [unrolled: 1-line block ×8, first 2 shown]
	v_mul_lo_u32 v16, v16, v108
	s_waitcnt lgkmcnt(0)
	v_dot4_i32_i8 v30, v86, v2, 0
	v_dot4_i32_i8 v29, v105, v2, v29
	;; [unrolled: 1-line block ×8, first 2 shown]
	v_mad_u64_u32 v[29:30], s[16:17], v30, v107, v[16:17]
	v_cvt_f32_i32_e32 v16, v71
	v_dot4_i32_i8 v30, v98, v2, 0
	v_cvt_f32_i32_e32 v72, v29
	v_dot4_i32_i8 v29, v122, v6, 0
	v_mul_f32_e32 v73, v95, v16
	v_dot4_i32_i8 v16, v93, v6, 0
	v_dot4_i32_i8 v16, v94, v7, v16
	;; [unrolled: 1-line block ×7, first 2 shown]
	v_mul_lo_u32 v16, v16, v124
	v_dot4_i32_i8 v29, v109, v2, v29
	v_dot4_i32_i8 v30, v28, v3, v30
	;; [unrolled: 1-line block ×7, first 2 shown]
	v_mad_u64_u32 v[29:30], s[16:17], v30, v123, v[16:17]
	v_cvt_f32_i32_e32 v16, v71
	v_dot4_i32_i8 v74, v25, v2, 0
	v_dot4_i32_i8 v74, v26, v3, v74
	;; [unrolled: 1-line block ×3, first 2 shown]
	v_mul_f32_e32 v30, v15, v16
	v_dot4_i32_i8 v16, v81, v6, 0
	v_dot4_i32_i8 v16, v80, v7, v16
	;; [unrolled: 1-line block ×4, first 2 shown]
	v_mul_lo_u32 v16, v16, v104
	v_dot4_i32_i8 v74, v79, v5, v74
	v_dot4_i32_i8 v71, v101, v6, 0
	;; [unrolled: 1-line block ×3, first 2 shown]
	v_mad_u64_u32 v[74:75], s[16:17], v74, v103, v[16:17]
	v_dot4_i32_i8 v71, v101, v8, v71
	v_dot4_i32_i8 v71, v101, v9, v71
	v_cvt_f32_i32_e32 v16, v74
	v_dot4_i32_i8 v74, v70, v6, 0
	v_dot4_i32_i8 v6, v78, v6, 0
	;; [unrolled: 1-line block ×8, first 2 shown]
	v_mul_lo_u32 v6, v7, v99
	v_dot4_i32_i8 v7, v67, v2, 0
	v_dot4_i32_i8 v71, v100, v2, v71
	v_dot4_i32_i8 v2, v69, v2, v8
	v_dot4_i32_i8 v7, v66, v3, v7
	v_dot4_i32_i8 v71, v100, v3, v71
	v_dot4_i32_i8 v2, v69, v3, v2
	v_dot4_i32_i8 v3, v19, v4, v7
	v_dot4_i32_i8 v2, v69, v4, v2
	v_dot4_i32_i8 v3, v18, v5, v3
	v_dot4_i32_i8 v71, v100, v4, v71
	v_dot4_i32_i8 v4, v69, v5, v2
	v_mad_u64_u32 v[2:3], s[16:17], v3, v68, v[6:7]
	v_dot4_i32_i8 v71, v100, v5, v71
	v_fma_mix_f32 v72, v91, v72, -v73 op_sel_hi:[1,0,0]
	v_cvt_f32_i32_e32 v77, v2
	v_cvt_f32_i32_e32 v2, v4
	v_fma_f32 v40, v61, v72, v40
	v_cvt_f32_i32_e32 v71, v71
	v_cvt_f32_i32_e32 v29, v29
	v_mul_f32_e32 v90, v65, v2
	ds_read_b128 v[6:9], v63 offset:5120
	ds_read_b128 v[2:5], v63 offset:5136
	v_mul_f32_e32 v71, v83, v71
	v_fma_mix_f32 v29, v121, v29, -v30 op_sel_hi:[1,0,0]
	v_fma_mix_f32 v16, v82, v16, -v71 op_sel_hi:[1,0,0]
	s_waitcnt lgkmcnt(1)
	v_dot4_i32_i8 v74, v115, v6, 0
	v_dot4_i32_i8 v75, v106, v6, 0
	;; [unrolled: 1-line block ×8, first 2 shown]
	v_mul_lo_u32 v74, v74, v108
	s_waitcnt lgkmcnt(0)
	v_dot4_i32_i8 v76, v86, v2, 0
	v_dot4_i32_i8 v75, v105, v2, v75
	;; [unrolled: 1-line block ×8, first 2 shown]
                                        ; kill: def $vgpr75 killed $sgpr0 killed $exec
	v_dot4_i32_i8 v72, v93, v6, 0
	v_mad_u64_u32 v[74:75], s[16:17], v76, v107, v[74:75]
	v_cvt_f32_i32_e32 v75, v92
	v_dot4_i32_i8 v73, v122, v6, 0
	v_cvt_f32_i32_e32 v74, v74
	v_dot4_i32_i8 v72, v94, v7, v72
	v_dot4_i32_i8 v73, v122, v7, v73
	v_mul_f32_e32 v75, v95, v75
	v_dot4_i32_i8 v72, v96, v8, v72
	v_dot4_i32_i8 v73, v122, v8, v73
	v_fma_mix_f32 v74, v91, v74, -v75 op_sel_hi:[1,0,0]
	v_dot4_i32_i8 v72, v97, v9, v72
	v_dot4_i32_i8 v73, v122, v9, v73
	v_fmac_f32_e32 v39, v62, v74
	v_mul_lo_u32 v72, v72, v124
	v_dot4_i32_i8 v74, v98, v2, 0
	v_dot4_i32_i8 v73, v109, v2, v73
	;; [unrolled: 1-line block ×8, first 2 shown]
                                        ; kill: def $vgpr73 killed $sgpr0 killed $exec
	v_fma_f32 v42, v61, v29, v42
	v_mad_u64_u32 v[72:73], s[16:17], v74, v123, v[72:73]
	v_cvt_f32_i32_e32 v73, v75
	v_dot4_i32_i8 v29, v81, v6, 0
	v_cvt_f32_i32_e32 v72, v72
	v_dot4_i32_i8 v30, v101, v6, 0
	v_fma_f32 v44, v61, v16, v44
	v_dot4_i32_i8 v16, v70, v6, 0
	v_dot4_i32_i8 v29, v80, v7, v29
	;; [unrolled: 1-line block ×5, first 2 shown]
	v_mul_f32_e32 v73, v15, v73
	v_dot4_i32_i8 v29, v23, v8, v29
	v_dot4_i32_i8 v30, v101, v8, v30
	;; [unrolled: 1-line block ×4, first 2 shown]
	v_fma_mix_f32 v72, v121, v72, -v73 op_sel_hi:[1,0,0]
	v_dot4_i32_i8 v29, v24, v9, v29
	v_dot4_i32_i8 v30, v101, v9, v30
	;; [unrolled: 1-line block ×4, first 2 shown]
	v_fmac_f32_e32 v41, v62, v72
	v_mul_lo_u32 v29, v29, v104
	v_dot4_i32_i8 v72, v25, v2, 0
	v_dot4_i32_i8 v30, v100, v2, v30
	;; [unrolled: 1-line block ×3, first 2 shown]
	v_mul_lo_u32 v6, v7, v99
	v_dot4_i32_i8 v7, v67, v2, 0
	v_dot4_i32_i8 v72, v26, v3, v72
	;; [unrolled: 1-line block ×11, first 2 shown]
                                        ; kill: def $vgpr30 killed $sgpr0 killed $exec
	v_dot4_i32_i8 v2, v69, v4, v2
	v_dot4_i32_i8 v3, v18, v5, v3
	v_mad_u64_u32 v[29:30], s[16:17], v72, v103, v[29:30]
	v_dot4_i32_i8 v4, v69, v5, v2
	v_mad_u64_u32 v[2:3], s[16:17], v3, v68, v[6:7]
	v_cvt_f32_i32_e32 v30, v73
	v_cvt_f32_i32_e32 v3, v4
	v_cvt_f32_i32_e32 v29, v29
	v_cvt_f32_i32_e32 v2, v2
	v_mul_f32_e32 v30, v83, v30
	v_mul_f32_e32 v3, v65, v3
	v_fma_mix_f32 v29, v82, v29, -v30 op_sel_hi:[1,0,0]
	v_fma_mix_f32 v2, v17, v2, -v3 op_sel_hi:[1,0,0]
	;; [unrolled: 1-line block ×3, first 2 shown]
	v_fmac_f32_e32 v43, v62, v29
	v_fma_f32 v46, v61, v3, v46
	v_fmac_f32_e32 v45, v62, v2
	ds_read2_b32 v[61:62], v64 offset0:192 offset1:224
	ds_read_b128 v[6:9], v63 offset:6144
	ds_read_b128 v[2:5], v63 offset:6160
	v_add_u32_e32 v64, 4, v64
	s_waitcnt lgkmcnt(1)
	v_dot4_i32_i8 v16, v115, v6, 0
	v_dot4_i32_i8 v29, v106, v6, 0
	;; [unrolled: 1-line block ×8, first 2 shown]
	v_mul_lo_u32 v16, v16, v108
	s_waitcnt lgkmcnt(0)
	v_dot4_i32_i8 v30, v86, v2, 0
	v_dot4_i32_i8 v29, v105, v2, v29
	;; [unrolled: 1-line block ×8, first 2 shown]
	v_mad_u64_u32 v[29:30], s[16:17], v30, v107, v[16:17]
	v_cvt_f32_i32_e32 v16, v71
	v_dot4_i32_i8 v30, v98, v2, 0
	v_cvt_f32_i32_e32 v77, v29
	v_dot4_i32_i8 v29, v122, v6, 0
	v_mul_f32_e32 v90, v95, v16
	v_dot4_i32_i8 v16, v93, v6, 0
	v_dot4_i32_i8 v16, v94, v7, v16
	;; [unrolled: 1-line block ×7, first 2 shown]
	v_mul_lo_u32 v16, v16, v124
	v_dot4_i32_i8 v29, v109, v2, v29
	v_dot4_i32_i8 v30, v28, v3, v30
	;; [unrolled: 1-line block ×7, first 2 shown]
	v_mad_u64_u32 v[29:30], s[16:17], v30, v123, v[16:17]
	v_cvt_f32_i32_e32 v16, v71
	v_dot4_i32_i8 v30, v25, v2, 0
	v_cvt_f32_i32_e32 v72, v29
	v_dot4_i32_i8 v29, v101, v6, 0
	v_mul_f32_e32 v73, v15, v16
	v_dot4_i32_i8 v16, v81, v6, 0
	v_dot4_i32_i8 v16, v80, v7, v16
	;; [unrolled: 1-line block ×7, first 2 shown]
	v_mul_lo_u32 v16, v16, v104
	v_dot4_i32_i8 v29, v100, v2, v29
	v_dot4_i32_i8 v30, v26, v3, v30
	;; [unrolled: 1-line block ×7, first 2 shown]
	v_mad_u64_u32 v[29:30], s[16:17], v30, v103, v[16:17]
	v_cvt_f32_i32_e32 v16, v71
	v_cvt_f32_i32_e32 v29, v29
	v_mul_f32_e32 v30, v83, v16
	v_dot4_i32_i8 v16, v70, v6, 0
	v_dot4_i32_i8 v6, v78, v6, 0
	;; [unrolled: 1-line block ×8, first 2 shown]
	v_mul_lo_u32 v6, v7, v99
	v_dot4_i32_i8 v7, v67, v2, 0
	v_dot4_i32_i8 v2, v69, v2, v8
	;; [unrolled: 1-line block ×8, first 2 shown]
	v_mad_u64_u32 v[2:3], s[16:17], v3, v68, v[6:7]
	v_cvt_f32_i32_e32 v16, v2
	v_cvt_f32_i32_e32 v2, v4
	v_mul_f32_e32 v71, v65, v2
	ds_read_b128 v[6:9], v63 offset:7168
	ds_read_b128 v[2:5], v63 offset:7184
	v_add_u32_e32 v63, 32, v63
	s_waitcnt lgkmcnt(1)
	v_dot4_i32_i8 v74, v115, v6, 0
	v_dot4_i32_i8 v75, v106, v6, 0
	;; [unrolled: 1-line block ×8, first 2 shown]
	v_mul_lo_u32 v74, v74, v108
	s_waitcnt lgkmcnt(0)
	v_dot4_i32_i8 v76, v86, v2, 0
	v_dot4_i32_i8 v75, v105, v2, v75
	;; [unrolled: 1-line block ×8, first 2 shown]
                                        ; kill: def $vgpr75 killed $sgpr0 killed $exec
	v_mad_u64_u32 v[74:75], s[16:17], v76, v107, v[74:75]
	v_cvt_f32_i32_e32 v75, v84
	v_dot4_i32_i8 v76, v98, v2, 0
	v_cvt_f32_i32_e32 v74, v74
	v_dot4_i32_i8 v28, v28, v3, v76
	v_mul_f32_e32 v75, v95, v75
	v_dot4_i32_i8 v28, v110, v4, v28
	v_fma_mix_f32 v74, v91, v74, -v75 op_sel_hi:[1,0,0]
	v_fma_mix_f32 v75, v91, v77, -v90 op_sel_hi:[1,0,0]
	v_fma_f32 v32, v61, v75, v32
	v_fmac_f32_e32 v31, v62, v74
	v_dot4_i32_i8 v74, v93, v6, 0
	v_dot4_i32_i8 v75, v122, v6, 0
	;; [unrolled: 1-line block ×8, first 2 shown]
	v_mul_lo_u32 v74, v74, v124
	v_dot4_i32_i8 v75, v109, v2, v75
	v_dot4_i32_i8 v75, v109, v3, v75
	;; [unrolled: 1-line block ×5, first 2 shown]
                                        ; kill: def $vgpr75 killed $sgpr0 killed $exec
	v_mad_u64_u32 v[74:75], s[16:17], v28, v123, v[74:75]
	v_mov_b32_e32 v75, v111
	v_cvt_f32_i32_e32 v28, v74
	v_cvt_f32_i32_e32 v74, v76
	v_mov_b32_e32 v76, v13
	v_mul_f32_e32 v15, v15, v74
	v_fma_mix_f32 v15, v121, v28, -v15 op_sel_hi:[1,0,0]
	v_fma_mix_f32 v28, v121, v72, -v73 op_sel_hi:[1,0,0]
	v_fmac_f32_e32 v33, v62, v15
	v_dot4_i32_i8 v15, v81, v6, 0
	v_fma_f32 v34, v61, v28, v34
	v_dot4_i32_i8 v28, v101, v6, 0
	v_dot4_i32_i8 v15, v80, v7, v15
	;; [unrolled: 1-line block ×7, first 2 shown]
	v_mul_lo_u32 v15, v15, v104
	v_dot4_i32_i8 v24, v25, v2, 0
	v_dot4_i32_i8 v23, v100, v2, v23
	;; [unrolled: 1-line block ×8, first 2 shown]
	v_mad_u64_u32 v[23:24], s[16:17], v24, v103, v[15:16]
	v_cvt_f32_i32_e32 v15, v23
	v_cvt_f32_i32_e32 v23, v25
	v_mul_f32_e32 v23, v83, v23
	v_fma_mix_f32 v15, v82, v15, -v23 op_sel_hi:[1,0,0]
	v_fmac_f32_e32 v35, v62, v15
	v_dot4_i32_i8 v15, v70, v6, 0
	v_dot4_i32_i8 v6, v78, v6, 0
	;; [unrolled: 1-line block ×8, first 2 shown]
	v_mul_lo_u32 v6, v8, v99
	v_dot4_i32_i8 v8, v67, v2, 0
	v_dot4_i32_i8 v2, v69, v2, v7
	;; [unrolled: 1-line block ×3, first 2 shown]
	v_fma_mix_f32 v23, v82, v29, -v30 op_sel_hi:[1,0,0]
	v_dot4_i32_i8 v2, v69, v3, v2
	v_dot4_i32_i8 v3, v19, v4, v7
	v_fma_f32 v36, v61, v23, v36
	buffer_load_dword v23, off, s[20:23], 0 offset:4 ; 4-byte Folded Reload
	buffer_load_dword v22, off, s[20:23], 0 offset:8 ; 4-byte Folded Reload
	buffer_load_dword v21, off, s[20:23], 0 offset:12 ; 4-byte Folded Reload
	buffer_load_dword v20, off, s[20:23], 0 offset:16 ; 4-byte Folded Reload
	buffer_load_dword v66, off, s[20:23], 0 offset:20 ; 4-byte Folded Reload
	v_dot4_i32_i8 v3, v18, v5, v3
	buffer_load_dword v18, off, s[20:23], 0 ; 4-byte Folded Reload
	v_dot4_i32_i8 v2, v69, v4, v2
	v_mad_u64_u32 v[3:4], s[16:17], v3, v68, v[6:7]
	v_dot4_i32_i8 v2, v69, v5, v2
	v_cvt_f32_i32_e32 v2, v2
	v_cvt_f32_i32_e32 v3, v3
	s_add_i32 s16, s11, 2
	v_mov_b32_e32 v30, v0
	v_mul_f32_e32 v2, v65, v2
	v_fma_mix_f32 v2, v17, v3, -v2 op_sel_hi:[1,0,0]
	v_fma_mix_f32 v3, v17, v16, -v71 op_sel_hi:[1,0,0]
	v_mov_b32_e32 v19, v113
	v_mov_b32_e32 v65, v12
	v_fma_f32 v38, v61, v3, v38
	v_fmac_f32_e32 v37, v62, v2
	s_cmp_lt_u32 s11, 6
	s_mov_b32 s11, s16
	s_cbranch_scc1 .LBB148_7
; %bb.8:                                ;   in Loop: Header=BB148_6 Depth=1
	s_waitcnt vmcnt(0)
	s_barrier
	buffer_load_dword v2, off, s[20:23], 0 offset:368 ; 4-byte Folded Reload
	s_mov_b32 s11, 8
	s_waitcnt vmcnt(0)
	v_add_u32_e32 v4, s9, v2
	buffer_load_dword v2, off, s[20:23], 0 offset:32 ; 4-byte Folded Reload
	buffer_load_dword v5, off, s[20:23], 0 offset:64 ; 4-byte Folded Reload
	;; [unrolled: 1-line block ×3, first 2 shown]
	s_waitcnt vmcnt(2)
	v_add_u32_e32 v2, v4, v2
	s_waitcnt vmcnt(0)
	v_mad_i64_i32 v[2:3], s[16:17], v2, 36, v[5:6]
	global_load_dword v2, v[2:3], off offset:4
	s_nop 0
	buffer_load_dword v3, off, s[20:23], 0 offset:112 ; 4-byte Folded Reload
	s_waitcnt vmcnt(0)
	ds_write_b32 v3, v2
	buffer_load_dword v2, off, s[20:23], 0 offset:36 ; 4-byte Folded Reload
	s_waitcnt vmcnt(0)
	v_add_u32_e32 v2, v4, v2
	v_mad_i64_i32 v[2:3], s[16:17], v2, 36, v[5:6]
	global_load_dword v2, v[2:3], off offset:4
	s_nop 0
	buffer_load_dword v3, off, s[20:23], 0 offset:80 ; 4-byte Folded Reload
	s_waitcnt vmcnt(0)
	ds_write_b32 v3, v2
	buffer_load_dword v2, off, s[20:23], 0 offset:40 ; 4-byte Folded Reload
	s_waitcnt vmcnt(0)
	v_add_u32_e32 v2, v4, v2
	v_mad_i64_i32 v[2:3], s[16:17], v2, 36, v[5:6]
	global_load_dword v2, v[2:3], off offset:4
	s_nop 0
	buffer_load_dword v3, off, s[20:23], 0 offset:84 ; 4-byte Folded Reload
	s_waitcnt vmcnt(0)
	ds_write_b32 v3, v2
	buffer_load_dword v2, off, s[20:23], 0 offset:44 ; 4-byte Folded Reload
	s_waitcnt vmcnt(0)
	v_add_u32_e32 v2, v4, v2
	v_mad_i64_i32 v[2:3], s[16:17], v2, 36, v[5:6]
	global_load_dword v2, v[2:3], off offset:4
	s_nop 0
	buffer_load_dword v3, off, s[20:23], 0 offset:88 ; 4-byte Folded Reload
	s_waitcnt vmcnt(0)
	ds_write_b32 v3, v2
	buffer_load_dword v2, off, s[20:23], 0 offset:48 ; 4-byte Folded Reload
	s_waitcnt vmcnt(0)
	v_add_u32_e32 v2, v4, v2
	v_mad_i64_i32 v[2:3], s[16:17], v2, 36, v[5:6]
	global_load_dword v2, v[2:3], off offset:4
	s_nop 0
	buffer_load_dword v3, off, s[20:23], 0 offset:92 ; 4-byte Folded Reload
	s_waitcnt vmcnt(0)
	ds_write_b32 v3, v2
	buffer_load_dword v2, off, s[20:23], 0 offset:52 ; 4-byte Folded Reload
	s_waitcnt vmcnt(0)
	v_add_u32_e32 v2, v4, v2
	v_mad_i64_i32 v[2:3], s[16:17], v2, 36, v[5:6]
	global_load_dword v2, v[2:3], off offset:4
	s_nop 0
	buffer_load_dword v3, off, s[20:23], 0 offset:96 ; 4-byte Folded Reload
	s_waitcnt vmcnt(0)
	ds_write_b32 v3, v2
	buffer_load_dword v2, off, s[20:23], 0 offset:56 ; 4-byte Folded Reload
	s_waitcnt vmcnt(0)
	v_add_u32_e32 v2, v4, v2
	v_mad_i64_i32 v[2:3], s[16:17], v2, 36, v[5:6]
	global_load_dword v2, v[2:3], off offset:4
	s_nop 0
	buffer_load_dword v3, off, s[20:23], 0 offset:100 ; 4-byte Folded Reload
	s_waitcnt vmcnt(0)
	ds_write_b32 v3, v2
	buffer_load_dword v2, off, s[20:23], 0 offset:60 ; 4-byte Folded Reload
	s_waitcnt vmcnt(0)
	v_add_u32_e32 v2, v4, v2
	v_mad_i64_i32 v[2:3], s[16:17], v2, 36, v[5:6]
	global_load_dword v2, v[2:3], off offset:4
	s_nop 0
	buffer_load_dword v3, off, s[20:23], 0 offset:104 ; 4-byte Folded Reload
	s_waitcnt vmcnt(0)
	ds_write_b32 v3, v2
	buffer_load_dword v2, off, s[20:23], 0 offset:108 ; 4-byte Folded Reload
	s_waitcnt vmcnt(0)
	v_add_u32_e32 v2, 4, v2
	v_mad_u64_u32 v[2:3], s[16:17], v2, 36, s[2:3]
	global_load_dword v2, v[2:3], off
	s_nop 0
	buffer_load_dword v3, off, s[20:23], 0 offset:28 ; 4-byte Folded Reload
	s_waitcnt vmcnt(1)
	v_cvt_f32_f16_e32 v2, v2
	s_waitcnt vmcnt(0)
	ds_write_b32 v3, v2
	s_waitcnt lgkmcnt(0)
	s_barrier
	buffer_load_dword v115, off, s[20:23], 0 offset:76 ; 4-byte Folded Reload
	buffer_load_dword v114, off, s[20:23], 0 offset:72 ; 4-byte Folded Reload
.LBB148_9:                              ;   Parent Loop BB148_6 Depth=1
                                        ; =>  This Inner Loop Header: Depth=2
	s_and_b32 s17, s11, 0x3ffffff8
	v_lshl_add_u32 v29, s17, 2, v19
	s_waitcnt vmcnt(0)
	ds_read2_b32 v[61:62], v114 offset1:32
	ds_read_b128 v[6:9], v115
	ds_read_b128 v[2:5], v115 offset:16
	ds_read2_b32 v[15:16], v29 offset1:1
	s_add_i32 s18, s11, -8
	s_lshr_b32 s17, s11, 2
	s_and_b32 s17, s17, 0x3ffffffc
	s_addk_i32 s17, 0x7280
	s_waitcnt lgkmcnt(0)
	v_ashrrev_i32_e32 v15, s18, v15
	v_and_b32_e32 v120, 0x3030303, v15
	v_ashrrev_i32_e32 v15, s18, v16
	v_and_b32_e32 v98, 0x3030303, v15
	ds_read2_b32 v[15:16], v29 offset0:2 offset1:3
	s_and_b32 s16, s11, -16
	s_add_i32 s16, s11, s16
	v_add_u32_e32 v71, s16, v18
	v_add_u32_e32 v69, s16, v65
	s_waitcnt lgkmcnt(0)
	v_ashrrev_i32_e32 v15, s18, v15
	v_and_b32_e32 v91, 0x3030303, v15
	v_ashrrev_i32_e32 v15, s18, v16
	v_and_b32_e32 v93, 0x3030303, v15
	ds_read2_b32 v[15:16], v29 offset0:4 offset1:5
	v_add_u32_e32 v82, s16, v20
	s_waitcnt lgkmcnt(0)
	v_ashrrev_i32_e32 v15, s18, v15
	v_and_b32_e32 v94, 0x3030303, v15
	v_ashrrev_i32_e32 v15, s18, v16
	v_and_b32_e32 v95, 0x3030303, v15
	ds_read2_b32 v[15:16], v29 offset0:6 offset1:7
	s_waitcnt lgkmcnt(0)
	v_ashrrev_i32_e32 v15, s18, v15
	v_and_b32_e32 v96, 0x3030303, v15
	v_ashrrev_i32_e32 v15, s18, v16
	v_and_b32_e32 v97, 0x3030303, v15
	v_add3_u32 v15, s17, v14, v21
	ds_read_b32 v28, v15
	v_dot4_i32_i8 v15, v120, v6, 0
	v_dot4_i32_i8 v15, v98, v7, v15
	;; [unrolled: 1-line block ×8, first 2 shown]
	v_add_u32_e32 v15, 0x1080, v29
	ds_read2_b32 v[17:18], v15 offset1:1
	s_waitcnt lgkmcnt(1)
	v_cvt_f32_f16_sdwa v123, v28 dst_sel:DWORD dst_unused:UNUSED_PAD src0_sel:WORD_1
	s_waitcnt lgkmcnt(0)
	v_ashrrev_i32_e32 v15, s18, v17
	v_and_b32_e32 v121, 0x3030303, v15
	v_ashrrev_i32_e32 v15, s18, v18
	v_and_b32_e32 v122, 0x3030303, v15
	v_add_u32_e32 v15, 0x1088, v29
	ds_read2_b32 v[17:18], v15 offset1:1
	s_waitcnt lgkmcnt(0)
	v_ashrrev_i32_e32 v15, s18, v17
	v_and_b32_e32 v124, 0x3030303, v15
	v_ashrrev_i32_e32 v15, s18, v18
	v_and_b32_e32 v99, 0x3030303, v15
	v_add_u32_e32 v15, 0x1090, v29
	ds_read2_b32 v[17:18], v15 offset1:1
	s_waitcnt lgkmcnt(0)
	v_ashrrev_i32_e32 v15, s18, v17
	v_add_u32_e32 v17, 0x1098, v29
	v_and_b32_e32 v78, 0x3030303, v15
	v_ashrrev_i32_e32 v15, s18, v18
	ds_read2_b32 v[17:18], v17 offset1:1
	v_and_b32_e32 v15, 0x3030303, v15
	s_waitcnt lgkmcnt(0)
	v_ashrrev_i32_e32 v17, s18, v17
	v_and_b32_e32 v100, 0x3030303, v17
	v_ashrrev_i32_e32 v17, s18, v18
	v_and_b32_e32 v101, 0x3030303, v17
	v_add3_u32 v17, s17, v22, v23
	ds_read_b32 v110, v17
	v_dot4_i32_i8 v17, v121, v6, 0
	v_dot4_i32_i8 v17, v122, v7, v17
	;; [unrolled: 1-line block ×8, first 2 shown]
	v_add_u32_e32 v17, 0x2100, v29
	ds_read2_b32 v[17:18], v17 offset1:1
	s_waitcnt lgkmcnt(1)
	v_cvt_f32_f16_sdwa v103, v110 dst_sel:DWORD dst_unused:UNUSED_PAD src0_sel:WORD_1
	s_waitcnt lgkmcnt(0)
	v_ashrrev_i32_e32 v17, s18, v17
	v_and_b32_e32 v27, 0x3030303, v17
	v_ashrrev_i32_e32 v17, s18, v18
	v_and_b32_e32 v26, 0x3030303, v17
	v_add_u32_e32 v17, 0x2108, v29
	ds_read2_b32 v[17:18], v17 offset1:1
	s_waitcnt lgkmcnt(0)
	v_ashrrev_i32_e32 v17, s18, v17
	v_and_b32_e32 v23, 0x3030303, v17
	v_ashrrev_i32_e32 v17, s18, v18
	v_and_b32_e32 v86, 0x3030303, v17
	v_add_u32_e32 v17, 0x2110, v29
	ds_read2_b32 v[17:18], v17 offset1:1
	;; [unrolled: 7-line block ×3, first 2 shown]
	s_waitcnt lgkmcnt(0)
	v_ashrrev_i32_e32 v17, s18, v17
	v_and_b32_e32 v25, 0x3030303, v17
	v_ashrrev_i32_e32 v17, s18, v18
	v_and_b32_e32 v88, 0x3030303, v17
	v_add3_u32 v17, s17, v30, v66
	ds_read_b32 v85, v17
	v_dot4_i32_i8 v17, v27, v6, 0
	v_dot4_i32_i8 v17, v26, v7, v17
	;; [unrolled: 1-line block ×8, first 2 shown]
	v_add_u32_e32 v17, 0x3180, v29
	ds_read2_b32 v[17:18], v17 offset1:1
	v_add_u32_e32 v66, s16, v75
	s_waitcnt lgkmcnt(1)
	v_cvt_f32_f16_sdwa v89, v85 dst_sel:DWORD dst_unused:UNUSED_PAD src0_sel:WORD_1
	s_waitcnt lgkmcnt(0)
	v_ashrrev_i32_e32 v17, s18, v17
	v_and_b32_e32 v22, 0x3030303, v17
	v_ashrrev_i32_e32 v17, s18, v18
	v_and_b32_e32 v84, 0x3030303, v17
	v_add_u32_e32 v17, 0x3188, v29
	ds_read2_b32 v[17:18], v17 offset1:1
	s_waitcnt lgkmcnt(0)
	v_ashrrev_i32_e32 v17, s18, v17
	v_and_b32_e32 v21, 0x3030303, v17
	v_ashrrev_i32_e32 v17, s18, v18
	v_and_b32_e32 v83, 0x3030303, v17
	v_add_u32_e32 v17, 0x3190, v29
	ds_read2_b32 v[17:18], v17 offset1:1
	;; [unrolled: 7-line block ×3, first 2 shown]
	s_waitcnt lgkmcnt(0)
	v_ashrrev_i32_e32 v17, s18, v29
	v_and_b32_e32 v18, 0x3030303, v17
	v_ashrrev_i32_e32 v17, s18, v30
	v_and_b32_e32 v80, 0x3030303, v17
	v_add3_u32 v17, s17, v76, v125
	ds_read_b32 v79, v17
	ds_read_b128 v[72:75], v115 offset:1024
	ds_read_b128 v[116:119], v115 offset:1040
	v_dot4_i32_i8 v17, v22, v6, 0
	v_dot4_i32_i8 v17, v84, v7, v17
	;; [unrolled: 1-line block ×3, first 2 shown]
	s_waitcnt lgkmcnt(1)
	v_dot4_i32_i8 v29, v120, v72, 0
	v_dot4_i32_i8 v29, v98, v73, v29
	;; [unrolled: 1-line block ×4, first 2 shown]
	s_waitcnt lgkmcnt(0)
	v_dot4_i32_i8 v29, v94, v116, 0
	v_dot4_i32_i8 v29, v95, v117, v29
	v_dot4_i32_i8 v29, v96, v118, v29
	v_dot4_i32_i8 v30, v97, v119, v29
	ds_read_u16 v29, v71 offset:25088
	v_dot4_i32_i8 v64, v83, v9, v17
	v_dot4_i32_i8 v17, v19, v2, 0
	;; [unrolled: 1-line block ×4, first 2 shown]
	s_waitcnt lgkmcnt(0)
	v_bfe_u32 v71, v29, 4, 4
	v_mul_lo_u32 v126, v71, s8
	v_lshrrev_b32_sdwa v77, v1, v29 dst_sel:DWORD dst_unused:UNUSED_PAD src0_sel:DWORD src1_sel:BYTE_1
	v_mul_lo_u32 v125, v77, s8
	v_dot4_i32_i8 v63, v80, v5, v17
	v_dot4_i32_i8 v71, v126, v6, 0
	;; [unrolled: 1-line block ×9, first 2 shown]
	v_and_b32_e32 v71, 15, v29
	v_and_b32_sdwa v29, v29, v112 dst_sel:DWORD dst_unused:UNUSED_PAD src0_sel:BYTE_1 src1_sel:DWORD
	v_and_b32_e32 v127, 0xffff, v29
	v_dot4_i32_i8 v29, v126, v72, 0
	v_dot4_i32_i8 v29, v126, v73, v29
	;; [unrolled: 1-line block ×6, first 2 shown]
	v_and_b32_e32 v71, 0xffff, v71
	v_dot4_i32_i8 v29, v125, v118, v29
	v_mul_lo_u32 v30, v30, v127
	v_dot4_i32_i8 v92, v125, v119, v29
	v_mul_lo_u32 v29, v70, v71
	v_cvt_f32_i32_e32 v70, v90
	v_mad_u64_u32 v[76:77], s[16:17], v76, v71, v[30:31]
                                        ; kill: def $vgpr30 killed $sgpr0 killed $exec
	v_cvt_f32_f16_sdwa v17, v79 dst_sel:DWORD dst_unused:UNUSED_PAD src0_sel:WORD_1
	v_mad_u64_u32 v[29:30], s[16:17], v16, v127, v[29:30]
	v_mul_f32_e32 v70, v123, v70
	v_cvt_f32_i32_e32 v30, v92
	v_cvt_f32_i32_e32 v16, v29
	v_cvt_f32_i32_e32 v29, v76
	v_mul_f32_e32 v30, v123, v30
	v_fma_mix_f32 v16, v28, v16, -v70 op_sel_hi:[1,0,0]
	v_fma_f32 v11, v61, v16, v11
	v_dot4_i32_i8 v16, v121, v72, 0
	v_dot4_i32_i8 v16, v122, v73, v16
	;; [unrolled: 1-line block ×7, first 2 shown]
	v_fma_mix_f32 v29, v28, v29, -v30 op_sel_hi:[1,0,0]
	v_dot4_i32_i8 v30, v101, v119, v16
	ds_read_u16 v16, v82 offset:26112
	v_fmac_f32_e32 v10, v62, v29
	s_waitcnt lgkmcnt(0)
	v_bfe_u32 v29, v16, 4, 4
	v_mul_lo_u32 v92, v29, s8
	v_lshrrev_b32_sdwa v76, v1, v16 dst_sel:DWORD dst_unused:UNUSED_PAD src0_sel:DWORD src1_sel:BYTE_1
	v_mul_lo_u32 v90, v76, s8
	v_dot4_i32_i8 v29, v92, v6, 0
	v_dot4_i32_i8 v29, v92, v7, v29
	v_dot4_i32_i8 v29, v92, v8, v29
	v_dot4_i32_i8 v29, v92, v9, v29
	v_dot4_i32_i8 v29, v90, v2, v29
	v_dot4_i32_i8 v29, v90, v3, v29
	v_dot4_i32_i8 v29, v90, v4, v29
	v_dot4_i32_i8 v82, v90, v5, v29
	v_and_b32_e32 v29, 15, v16
	v_and_b32_sdwa v16, v16, v112 dst_sel:DWORD dst_unused:UNUSED_PAD src0_sel:BYTE_1 src1_sel:DWORD
	v_and_b32_e32 v102, 0xffff, v16
	v_and_b32_e32 v16, 0xffff, v29
	v_dot4_i32_i8 v29, v92, v72, 0
	v_dot4_i32_i8 v29, v92, v73, v29
	;; [unrolled: 1-line block ×7, first 2 shown]
	v_mul_lo_u32 v30, v30, v102
	v_dot4_i32_i8 v104, v90, v119, v29
	v_mul_lo_u32 v29, v68, v16
	v_cvt_f32_i32_e32 v68, v82
	v_mad_u64_u32 v[76:77], s[16:17], v70, v16, v[30:31]
                                        ; kill: def $vgpr30 killed $sgpr0 killed $exec
	v_mad_u64_u32 v[29:30], s[16:17], v67, v102, v[29:30]
	v_cvt_f32_i32_e32 v67, v104
	v_mul_f32_e32 v68, v103, v68
	v_cvt_f32_i32_e32 v29, v29
	v_cvt_f32_i32_e32 v30, v76
	v_mul_f32_e32 v67, v103, v67
	v_mov_b32_e32 v76, v13
	v_fma_mix_f32 v29, v110, v29, -v68 op_sel_hi:[1,0,0]
	v_fma_f32 v56, v61, v29, v56
	v_dot4_i32_i8 v29, v27, v72, 0
	v_dot4_i32_i8 v29, v26, v73, v29
	v_dot4_i32_i8 v29, v23, v74, v29
	v_fma_mix_f32 v30, v110, v30, -v67 op_sel_hi:[1,0,0]
	v_dot4_i32_i8 v67, v86, v75, v29
	v_dot4_i32_i8 v29, v24, v116, 0
	v_dot4_i32_i8 v29, v87, v117, v29
	v_dot4_i32_i8 v29, v25, v118, v29
	v_fmac_f32_e32 v55, v62, v30
	v_dot4_i32_i8 v30, v88, v119, v29
	ds_read_u16 v29, v69 offset:27136
	s_waitcnt lgkmcnt(0)
	v_bfe_u32 v68, v29, 4, 4
	v_mul_lo_u32 v107, v68, s8
	v_lshrrev_b32_sdwa v69, v1, v29 dst_sel:DWORD dst_unused:UNUSED_PAD src0_sel:DWORD src1_sel:BYTE_1
	v_mul_lo_u32 v106, v69, s8
	v_dot4_i32_i8 v68, v107, v6, 0
	v_dot4_i32_i8 v68, v107, v7, v68
	;; [unrolled: 1-line block ×8, first 2 shown]
	v_and_b32_e32 v68, 15, v29
	v_and_b32_sdwa v29, v29, v112 dst_sel:DWORD dst_unused:UNUSED_PAD src0_sel:BYTE_1 src1_sel:DWORD
	v_and_b32_e32 v108, 0xffff, v29
	v_dot4_i32_i8 v29, v107, v72, 0
	v_dot4_i32_i8 v29, v107, v73, v29
	;; [unrolled: 1-line block ×6, first 2 shown]
	v_and_b32_e32 v109, 0xffff, v68
	v_dot4_i32_i8 v29, v106, v118, v29
	v_mul_lo_u32 v30, v30, v108
	v_dot4_i32_i8 v70, v106, v119, v29
	v_mul_lo_u32 v29, v65, v109
	v_cvt_f32_i32_e32 v65, v69
	v_mad_u64_u32 v[67:68], s[16:17], v67, v109, v[30:31]
                                        ; kill: def $vgpr30 killed $sgpr0 killed $exec
	v_mad_u64_u32 v[29:30], s[16:17], v20, v108, v[29:30]
	v_cvt_f32_i32_e32 v30, v70
	v_mul_f32_e32 v65, v89, v65
	v_cvt_f32_i32_e32 v20, v29
	v_cvt_f32_i32_e32 v29, v67
	v_mul_f32_e32 v30, v89, v30
	v_fma_mix_f32 v20, v85, v20, -v65 op_sel_hi:[1,0,0]
	v_fma_f32 v58, v61, v20, v58
	v_dot4_i32_i8 v20, v22, v72, 0
	v_dot4_i32_i8 v20, v84, v73, v20
	ds_read_u16 v65, v66 offset:28160
	v_fma_mix_f32 v29, v85, v29, -v30 op_sel_hi:[1,0,0]
	v_dot4_i32_i8 v20, v21, v74, v20
	v_fmac_f32_e32 v57, v62, v29
	v_dot4_i32_i8 v29, v83, v75, v20
	v_dot4_i32_i8 v20, v19, v116, 0
	;; [unrolled: 1-line block ×5, first 2 shown]
	s_waitcnt lgkmcnt(0)
	v_bfe_u32 v20, v65, 4, 4
	v_mul_lo_u32 v104, v20, s8
	v_dot4_i32_i8 v6, v104, v6, 0
	v_dot4_i32_i8 v6, v104, v7, v6
	v_lshrrev_b32_sdwa v7, v1, v65 dst_sel:DWORD dst_unused:UNUSED_PAD src0_sel:DWORD src1_sel:BYTE_1
	v_mul_lo_u32 v20, v7, s8
	v_dot4_i32_i8 v6, v104, v8, v6
	v_dot4_i32_i8 v6, v104, v9, v6
	;; [unrolled: 1-line block ×6, first 2 shown]
	v_and_b32_e32 v2, 15, v65
	v_and_b32_e32 v105, 0xffff, v2
	v_dot4_i32_i8 v2, v104, v72, 0
	v_and_b32_sdwa v3, v65, v112 dst_sel:DWORD dst_unused:UNUSED_PAD src0_sel:BYTE_1 src1_sel:DWORD
	v_dot4_i32_i8 v2, v104, v73, v2
	v_and_b32_e32 v82, 0xffff, v3
	v_dot4_i32_i8 v2, v104, v74, v2
	v_dot4_i32_i8 v2, v104, v75, v2
	v_mul_lo_u32 v3, v30, v82
	v_dot4_i32_i8 v2, v20, v116, v2
	v_dot4_i32_i8 v2, v20, v117, v2
	v_dot4_i32_i8 v2, v20, v118, v2
                                        ; kill: def $vgpr4 killed $sgpr0 killed $exec
	v_dot4_i32_i8 v7, v20, v119, v2
	v_mul_lo_u32 v2, v64, v105
	v_mad_u64_u32 v[3:4], s[16:17], v29, v105, v[3:4]
	v_mov_b32_e32 v75, v111
	v_mad_u64_u32 v[4:5], s[16:17], v63, v82, v[2:3]
	v_cvt_f32_i32_e32 v5, v6
	v_cvt_f32_i32_e32 v3, v3
	v_cvt_f32_i32_e32 v2, v4
	v_cvt_f32_i32_e32 v4, v7
	v_mul_f32_e32 v5, v17, v5
	v_fma_mix_f32 v2, v79, v2, -v5 op_sel_hi:[1,0,0]
	v_mul_f32_e32 v4, v17, v4
	v_fma_mix_f32 v3, v79, v3, -v4 op_sel_hi:[1,0,0]
	v_fma_f32 v60, v61, v2, v60
	v_fmac_f32_e32 v59, v62, v3
	ds_read2_b32 v[61:62], v114 offset0:64 offset1:96
	ds_read_b128 v[6:9], v115 offset:2048
	ds_read_b128 v[2:5], v115 offset:2064
	s_waitcnt lgkmcnt(1)
	v_dot4_i32_i8 v29, v120, v6, 0
	v_dot4_i32_i8 v30, v126, v6, 0
	;; [unrolled: 1-line block ×8, first 2 shown]
	v_mul_lo_u32 v29, v29, v71
	s_waitcnt lgkmcnt(0)
	v_dot4_i32_i8 v63, v94, v2, 0
	v_dot4_i32_i8 v30, v125, v2, v30
	v_dot4_i32_i8 v63, v95, v3, v63
	v_dot4_i32_i8 v30, v125, v3, v30
	v_dot4_i32_i8 v63, v96, v4, v63
	v_dot4_i32_i8 v30, v125, v4, v30
	v_dot4_i32_i8 v63, v97, v5, v63
	v_dot4_i32_i8 v77, v125, v5, v30
                                        ; kill: def $vgpr30 killed $sgpr0 killed $exec
	v_mad_u64_u32 v[67:68], s[16:17], v63, v127, v[29:30]
	v_dot4_i32_i8 v29, v121, v6, 0
	v_dot4_i32_i8 v30, v92, v6, 0
	v_dot4_i32_i8 v29, v122, v7, v29
	v_dot4_i32_i8 v30, v92, v7, v30
	v_dot4_i32_i8 v29, v124, v8, v29
	v_dot4_i32_i8 v30, v92, v8, v30
	v_dot4_i32_i8 v29, v99, v9, v29
	v_dot4_i32_i8 v30, v92, v9, v30
	v_mul_lo_u32 v29, v29, v16
	v_dot4_i32_i8 v63, v78, v2, 0
	v_dot4_i32_i8 v30, v90, v2, v30
	v_dot4_i32_i8 v63, v15, v3, v63
	v_dot4_i32_i8 v30, v90, v3, v30
	v_dot4_i32_i8 v63, v100, v4, v63
	v_dot4_i32_i8 v30, v90, v4, v30
	v_dot4_i32_i8 v63, v101, v5, v63
	v_dot4_i32_i8 v70, v90, v5, v30
                                        ; kill: def $vgpr30 killed $sgpr0 killed $exec
	v_mad_u64_u32 v[65:66], s[16:17], v63, v102, v[29:30]
	v_dot4_i32_i8 v29, v27, v6, 0
	v_dot4_i32_i8 v30, v107, v6, 0
	v_dot4_i32_i8 v29, v26, v7, v29
	v_dot4_i32_i8 v30, v107, v7, v30
	v_dot4_i32_i8 v29, v23, v8, v29
	v_dot4_i32_i8 v30, v107, v8, v30
	v_dot4_i32_i8 v29, v86, v9, v29
	v_dot4_i32_i8 v30, v107, v9, v30
	v_mul_lo_u32 v29, v29, v109
	;; [unrolled: 19-line block ×3, first 2 shown]
	v_dot4_i32_i8 v7, v19, v2, 0
	v_dot4_i32_i8 v2, v20, v2, v8
	;; [unrolled: 1-line block ×8, first 2 shown]
	v_mad_u64_u32 v[68:69], s[16:17], v3, v82, v[6:7]
	ds_read_b128 v[6:9], v115 offset:3072
	ds_read_b128 v[2:5], v115 offset:3088
	s_waitcnt lgkmcnt(1)
	v_dot4_i32_i8 v29, v120, v6, 0
	v_dot4_i32_i8 v30, v126, v6, 0
	;; [unrolled: 1-line block ×8, first 2 shown]
	v_mul_lo_u32 v29, v29, v71
	s_waitcnt lgkmcnt(0)
	v_dot4_i32_i8 v69, v94, v2, 0
	v_dot4_i32_i8 v30, v125, v2, v30
	;; [unrolled: 1-line block ×8, first 2 shown]
                                        ; kill: def $vgpr30 killed $sgpr0 killed $exec
	v_mad_u64_u32 v[29:30], s[16:17], v69, v127, v[29:30]
	v_cvt_f32_i32_e32 v30, v67
	v_cvt_f32_i32_e32 v67, v72
	v_cvt_f32_i32_e32 v69, v77
	v_cvt_f32_i32_e32 v29, v29
	v_mul_f32_e32 v67, v123, v67
	v_mul_f32_e32 v69, v123, v69
	v_fma_mix_f32 v29, v28, v29, -v67 op_sel_hi:[1,0,0]
	v_fma_mix_f32 v30, v28, v30, -v69 op_sel_hi:[1,0,0]
	v_fma_f32 v48, v61, v30, v48
	v_fmac_f32_e32 v47, v62, v29
	v_dot4_i32_i8 v29, v121, v6, 0
	v_dot4_i32_i8 v30, v92, v6, 0
	;; [unrolled: 1-line block ×8, first 2 shown]
	v_mul_lo_u32 v29, v29, v16
	v_dot4_i32_i8 v67, v78, v2, 0
	v_dot4_i32_i8 v30, v90, v2, v30
	;; [unrolled: 1-line block ×8, first 2 shown]
                                        ; kill: def $vgpr30 killed $sgpr0 killed $exec
	v_mad_u64_u32 v[29:30], s[16:17], v67, v102, v[29:30]
	v_cvt_f32_i32_e32 v30, v65
	v_cvt_f32_i32_e32 v65, v69
	;; [unrolled: 1-line block ×4, first 2 shown]
	v_mul_f32_e32 v65, v103, v65
	v_mul_f32_e32 v67, v103, v67
	v_fma_mix_f32 v29, v110, v29, -v65 op_sel_hi:[1,0,0]
	v_fma_mix_f32 v30, v110, v30, -v67 op_sel_hi:[1,0,0]
	v_fma_f32 v50, v61, v30, v50
	v_fmac_f32_e32 v49, v62, v29
	v_dot4_i32_i8 v29, v27, v6, 0
	v_dot4_i32_i8 v30, v107, v6, 0
	;; [unrolled: 1-line block ×8, first 2 shown]
	v_mul_lo_u32 v29, v29, v109
	v_dot4_i32_i8 v65, v24, v2, 0
	v_dot4_i32_i8 v30, v106, v2, v30
	;; [unrolled: 1-line block ×8, first 2 shown]
                                        ; kill: def $vgpr30 killed $sgpr0 killed $exec
	v_mad_u64_u32 v[29:30], s[16:17], v65, v108, v[29:30]
	v_cvt_f32_i32_e32 v30, v63
	v_cvt_f32_i32_e32 v63, v67
	;; [unrolled: 1-line block ×4, first 2 shown]
	v_mul_f32_e32 v63, v89, v63
	v_fma_mix_f32 v29, v85, v29, -v63 op_sel_hi:[1,0,0]
	v_fmac_f32_e32 v51, v62, v29
	v_dot4_i32_i8 v29, v22, v6, 0
	v_dot4_i32_i8 v6, v104, v6, 0
	;; [unrolled: 1-line block ×8, first 2 shown]
	v_mul_lo_u32 v6, v7, v105
	v_dot4_i32_i8 v7, v19, v2, 0
	v_dot4_i32_i8 v2, v20, v2, v8
	;; [unrolled: 1-line block ×8, first 2 shown]
	v_mad_u64_u32 v[2:3], s[16:17], v3, v82, v[6:7]
	v_cvt_f32_i32_e32 v4, v4
	v_cvt_f32_i32_e32 v5, v64
	;; [unrolled: 1-line block ×4, first 2 shown]
	v_mul_f32_e32 v65, v89, v65
	v_mul_f32_e32 v5, v17, v5
	;; [unrolled: 1-line block ×3, first 2 shown]
	v_fma_mix_f32 v30, v85, v30, -v65 op_sel_hi:[1,0,0]
	v_fma_mix_f32 v2, v79, v2, -v4 op_sel_hi:[1,0,0]
	;; [unrolled: 1-line block ×3, first 2 shown]
	v_fma_f32 v52, v61, v30, v52
	v_fma_f32 v54, v61, v3, v54
	v_fmac_f32_e32 v53, v62, v2
	ds_read2_b32 v[61:62], v114 offset0:128 offset1:160
	ds_read_b128 v[6:9], v115 offset:4096
	ds_read_b128 v[2:5], v115 offset:4112
	s_waitcnt lgkmcnt(1)
	v_dot4_i32_i8 v29, v120, v6, 0
	v_dot4_i32_i8 v30, v126, v6, 0
	v_dot4_i32_i8 v29, v98, v7, v29
	v_dot4_i32_i8 v30, v126, v7, v30
	v_dot4_i32_i8 v29, v91, v8, v29
	v_dot4_i32_i8 v30, v126, v8, v30
	v_dot4_i32_i8 v29, v93, v9, v29
	v_dot4_i32_i8 v30, v126, v9, v30
	v_mul_lo_u32 v29, v29, v71
	s_waitcnt lgkmcnt(0)
	v_dot4_i32_i8 v63, v94, v2, 0
	v_dot4_i32_i8 v30, v125, v2, v30
	;; [unrolled: 1-line block ×8, first 2 shown]
                                        ; kill: def $vgpr30 killed $sgpr0 killed $exec
	v_mad_u64_u32 v[68:69], s[16:17], v63, v127, v[29:30]
	v_dot4_i32_i8 v29, v121, v6, 0
	v_dot4_i32_i8 v30, v92, v6, 0
	v_dot4_i32_i8 v29, v122, v7, v29
	v_dot4_i32_i8 v30, v92, v7, v30
	v_dot4_i32_i8 v29, v124, v8, v29
	v_dot4_i32_i8 v30, v92, v8, v30
	v_dot4_i32_i8 v29, v99, v9, v29
	v_dot4_i32_i8 v30, v92, v9, v30
	v_mul_lo_u32 v29, v29, v16
	v_dot4_i32_i8 v63, v78, v2, 0
	v_dot4_i32_i8 v30, v90, v2, v30
	v_dot4_i32_i8 v63, v15, v3, v63
	v_dot4_i32_i8 v30, v90, v3, v30
	v_dot4_i32_i8 v63, v100, v4, v63
	v_dot4_i32_i8 v30, v90, v4, v30
	v_dot4_i32_i8 v63, v101, v5, v63
	v_dot4_i32_i8 v30, v90, v5, v30
	v_mad_u64_u32 v[66:67], s[16:17], v63, v102, v[29:30]
	v_dot4_i32_i8 v29, v27, v6, 0
	v_dot4_i32_i8 v63, v107, v6, 0
	v_dot4_i32_i8 v29, v26, v7, v29
	v_dot4_i32_i8 v63, v107, v7, v63
	v_dot4_i32_i8 v29, v23, v8, v29
	v_dot4_i32_i8 v63, v107, v8, v63
	v_dot4_i32_i8 v29, v86, v9, v29
	v_dot4_i32_i8 v63, v107, v9, v63
	v_mul_lo_u32 v29, v29, v109
	v_dot4_i32_i8 v64, v24, v2, 0
	v_dot4_i32_i8 v63, v106, v2, v63
	v_dot4_i32_i8 v64, v87, v3, v64
	v_dot4_i32_i8 v63, v106, v3, v63
	v_dot4_i32_i8 v64, v25, v4, v64
	v_dot4_i32_i8 v63, v106, v4, v63
	v_dot4_i32_i8 v64, v88, v5, v64
	v_dot4_i32_i8 v67, v106, v5, v63
	v_mad_u64_u32 v[63:64], s[16:17], v64, v108, v[29:30]
	v_dot4_i32_i8 v29, v22, v6, 0
	v_dot4_i32_i8 v6, v104, v6, 0
	v_dot4_i32_i8 v29, v84, v7, v29
	v_dot4_i32_i8 v6, v104, v7, v6
	v_dot4_i32_i8 v7, v21, v8, v29
	v_dot4_i32_i8 v6, v104, v8, v6
	v_dot4_i32_i8 v7, v83, v9, v7
	v_dot4_i32_i8 v8, v104, v9, v6
	v_mul_lo_u32 v6, v7, v105
	v_dot4_i32_i8 v7, v19, v2, 0
	v_dot4_i32_i8 v2, v20, v2, v8
	v_dot4_i32_i8 v7, v81, v3, v7
	v_dot4_i32_i8 v2, v20, v3, v2
	v_dot4_i32_i8 v3, v18, v4, v7
	v_dot4_i32_i8 v2, v20, v4, v2
	v_dot4_i32_i8 v3, v80, v5, v3
	v_dot4_i32_i8 v29, v20, v5, v2
	v_mad_u64_u32 v[64:65], s[16:17], v3, v82, v[6:7]
	ds_read_b128 v[6:9], v115 offset:5120
	ds_read_b128 v[2:5], v115 offset:5136
	v_cvt_f32_i32_e32 v70, v70
	v_cvt_f32_i32_e32 v30, v30
	s_waitcnt lgkmcnt(1)
	v_dot4_i32_i8 v65, v120, v6, 0
	v_dot4_i32_i8 v65, v98, v7, v65
	;; [unrolled: 1-line block ×6, first 2 shown]
	v_mul_lo_u32 v65, v65, v71
	s_waitcnt lgkmcnt(0)
	v_dot4_i32_i8 v72, v94, v2, 0
	v_dot4_i32_i8 v69, v126, v8, v69
	;; [unrolled: 1-line block ×8, first 2 shown]
	v_mad_u64_u32 v[72:73], s[16:17], v72, v127, v[65:66]
	v_dot4_i32_i8 v69, v125, v4, v69
	v_dot4_i32_i8 v69, v125, v5, v69
	v_cvt_f32_i32_e32 v65, v68
	v_cvt_f32_i32_e32 v69, v69
	;; [unrolled: 1-line block ×3, first 2 shown]
	v_mul_f32_e32 v70, v123, v70
	v_fma_mix_f32 v65, v28, v65, -v70 op_sel_hi:[1,0,0]
	v_mul_f32_e32 v69, v123, v69
	v_fma_mix_f32 v68, v28, v68, -v69 op_sel_hi:[1,0,0]
	v_fma_f32 v40, v61, v65, v40
	v_dot4_i32_i8 v65, v121, v6, 0
	v_fmac_f32_e32 v39, v62, v68
	v_dot4_i32_i8 v68, v92, v6, 0
	v_dot4_i32_i8 v65, v122, v7, v65
	;; [unrolled: 1-line block ×7, first 2 shown]
	v_mul_lo_u32 v65, v65, v16
	v_dot4_i32_i8 v69, v78, v2, 0
	v_dot4_i32_i8 v68, v90, v2, v68
	;; [unrolled: 1-line block ×8, first 2 shown]
	v_mad_u64_u32 v[68:69], s[16:17], v69, v102, v[65:66]
	v_cvt_f32_i32_e32 v65, v66
	v_mul_f32_e32 v30, v103, v30
	v_cvt_f32_i32_e32 v66, v68
	v_cvt_f32_i32_e32 v68, v70
	v_fma_mix_f32 v30, v110, v65, -v30 op_sel_hi:[1,0,0]
	v_fma_f32 v42, v61, v30, v42
	v_dot4_i32_i8 v30, v27, v6, 0
	v_dot4_i32_i8 v65, v107, v6, 0
	;; [unrolled: 1-line block ×3, first 2 shown]
	v_mul_f32_e32 v68, v103, v68
	v_dot4_i32_i8 v65, v107, v7, v65
	v_dot4_i32_i8 v30, v23, v8, v30
	v_fma_mix_f32 v66, v110, v66, -v68 op_sel_hi:[1,0,0]
	v_dot4_i32_i8 v65, v107, v8, v65
	v_dot4_i32_i8 v30, v86, v9, v30
	v_fmac_f32_e32 v41, v62, v66
	v_dot4_i32_i8 v65, v107, v9, v65
	v_mul_lo_u32 v30, v30, v109
	v_dot4_i32_i8 v66, v24, v2, 0
	v_dot4_i32_i8 v65, v106, v2, v65
	;; [unrolled: 1-line block ×8, first 2 shown]
	v_mad_u64_u32 v[65:66], s[16:17], v66, v108, v[30:31]
	v_cvt_f32_i32_e32 v66, v67
	v_cvt_f32_i32_e32 v30, v63
	;; [unrolled: 1-line block ×4, first 2 shown]
	v_mul_f32_e32 v66, v89, v66
	v_fma_mix_f32 v30, v85, v30, -v66 op_sel_hi:[1,0,0]
	v_fma_f32 v44, v61, v30, v44
	v_dot4_i32_i8 v30, v22, v6, 0
	v_dot4_i32_i8 v6, v104, v6, 0
	;; [unrolled: 1-line block ×8, first 2 shown]
	v_mul_lo_u32 v6, v7, v105
	v_dot4_i32_i8 v7, v19, v2, 0
	v_dot4_i32_i8 v2, v20, v2, v8
	v_dot4_i32_i8 v7, v81, v3, v7
	v_dot4_i32_i8 v2, v20, v3, v2
	v_dot4_i32_i8 v3, v18, v4, v7
	v_dot4_i32_i8 v2, v20, v4, v2
	v_dot4_i32_i8 v3, v80, v5, v3
	v_dot4_i32_i8 v4, v20, v5, v2
	v_mad_u64_u32 v[2:3], s[16:17], v3, v82, v[6:7]
	v_cvt_f32_i32_e32 v4, v4
	v_cvt_f32_i32_e32 v5, v29
	;; [unrolled: 1-line block ×4, first 2 shown]
	v_mul_f32_e32 v65, v89, v65
	v_mul_f32_e32 v5, v17, v5
	;; [unrolled: 1-line block ×3, first 2 shown]
	v_fma_mix_f32 v63, v85, v63, -v65 op_sel_hi:[1,0,0]
	v_fma_mix_f32 v2, v79, v2, -v4 op_sel_hi:[1,0,0]
	;; [unrolled: 1-line block ×3, first 2 shown]
	v_fmac_f32_e32 v43, v62, v63
	v_fma_f32 v46, v61, v3, v46
	v_fmac_f32_e32 v45, v62, v2
	ds_read2_b32 v[61:62], v114 offset0:192 offset1:224
	ds_read_b128 v[6:9], v115 offset:6144
	ds_read_b128 v[2:5], v115 offset:6160
	v_add_u32_e32 v114, 4, v114
	s_waitcnt lgkmcnt(1)
	v_dot4_i32_i8 v29, v120, v6, 0
	v_dot4_i32_i8 v30, v126, v6, 0
	;; [unrolled: 1-line block ×8, first 2 shown]
	v_mul_lo_u32 v29, v29, v71
	s_waitcnt lgkmcnt(0)
	v_dot4_i32_i8 v63, v94, v2, 0
	v_dot4_i32_i8 v30, v125, v2, v30
	;; [unrolled: 1-line block ×8, first 2 shown]
                                        ; kill: def $vgpr30 killed $sgpr0 killed $exec
	v_mad_u64_u32 v[69:70], s[16:17], v63, v127, v[29:30]
	v_dot4_i32_i8 v29, v121, v6, 0
	v_dot4_i32_i8 v30, v92, v6, 0
	;; [unrolled: 1-line block ×8, first 2 shown]
	v_mul_lo_u32 v29, v29, v16
	v_dot4_i32_i8 v63, v78, v2, 0
	v_dot4_i32_i8 v30, v90, v2, v30
	;; [unrolled: 1-line block ×8, first 2 shown]
	v_mad_u64_u32 v[67:68], s[16:17], v63, v102, v[29:30]
	v_dot4_i32_i8 v29, v27, v6, 0
	v_dot4_i32_i8 v63, v107, v6, 0
	;; [unrolled: 1-line block ×8, first 2 shown]
	v_mul_lo_u32 v63, v29, v109
	v_dot4_i32_i8 v29, v24, v2, 0
	v_dot4_i32_i8 v64, v106, v2, v64
	;; [unrolled: 1-line block ×8, first 2 shown]
                                        ; kill: def $vgpr64 killed $sgpr0 killed $exec
	v_mad_u64_u32 v[65:66], s[16:17], v65, v108, v[63:64]
	v_dot4_i32_i8 v63, v22, v6, 0
	v_dot4_i32_i8 v6, v104, v6, 0
	;; [unrolled: 1-line block ×8, first 2 shown]
	v_mul_lo_u32 v6, v7, v105
	v_dot4_i32_i8 v7, v19, v2, 0
	v_dot4_i32_i8 v2, v20, v2, v8
	;; [unrolled: 1-line block ×8, first 2 shown]
	v_mad_u64_u32 v[63:64], s[16:17], v3, v82, v[6:7]
	ds_read_b128 v[6:9], v115 offset:7168
	ds_read_b128 v[2:5], v115 offset:7184
	v_cvt_f32_i32_e32 v30, v30
	v_add_u32_e32 v115, 32, v115
	s_waitcnt lgkmcnt(1)
	v_dot4_i32_i8 v64, v120, v6, 0
	v_dot4_i32_i8 v64, v98, v7, v64
	;; [unrolled: 1-line block ×5, first 2 shown]
	v_mul_lo_u32 v64, v64, v71
	s_waitcnt lgkmcnt(0)
	v_dot4_i32_i8 v70, v94, v2, 0
	v_dot4_i32_i8 v68, v126, v7, v68
	;; [unrolled: 1-line block ×8, first 2 shown]
	v_mad_u64_u32 v[70:71], s[16:17], v70, v127, v[64:65]
	v_dot4_i32_i8 v68, v125, v3, v68
	v_dot4_i32_i8 v68, v125, v4, v68
	;; [unrolled: 1-line block ×3, first 2 shown]
	v_cvt_f32_i32_e32 v64, v69
	v_cvt_f32_i32_e32 v69, v70
	;; [unrolled: 1-line block ×4, first 2 shown]
	v_mul_f32_e32 v30, v103, v30
	buffer_load_dword v125, off, s[20:23], 0 offset:24 ; 4-byte Folded Reload
	v_mul_f32_e32 v68, v123, v68
	v_mul_f32_e32 v70, v123, v70
	v_fma_mix_f32 v68, v28, v69, -v68 op_sel_hi:[1,0,0]
	v_fma_mix_f32 v28, v28, v64, -v70 op_sel_hi:[1,0,0]
	v_fma_f32 v32, v61, v28, v32
	v_dot4_i32_i8 v28, v121, v6, 0
	v_dot4_i32_i8 v28, v122, v7, v28
	;; [unrolled: 1-line block ×6, first 2 shown]
	v_mul_lo_u32 v16, v28, v16
	v_dot4_i32_i8 v28, v78, v2, 0
	v_dot4_i32_i8 v64, v92, v8, v64
	;; [unrolled: 1-line block ×8, first 2 shown]
	v_mad_u64_u32 v[15:16], s[16:17], v15, v102, v[16:17]
	v_dot4_i32_i8 v28, v90, v4, v28
	v_dot4_i32_i8 v28, v90, v5, v28
	v_cvt_f32_i32_e32 v28, v28
	v_cvt_f32_i32_e32 v16, v67
	;; [unrolled: 1-line block ×3, first 2 shown]
	v_fmac_f32_e32 v31, v62, v68
	v_mul_f32_e32 v28, v103, v28
	v_fma_mix_f32 v16, v110, v16, -v30 op_sel_hi:[1,0,0]
	v_fma_mix_f32 v15, v110, v15, -v28 op_sel_hi:[1,0,0]
	v_fma_f32 v34, v61, v16, v34
	v_fmac_f32_e32 v33, v62, v15
	v_dot4_i32_i8 v15, v27, v6, 0
	v_dot4_i32_i8 v16, v107, v6, 0
	;; [unrolled: 1-line block ×8, first 2 shown]
	v_mul_lo_u32 v15, v15, v109
	v_dot4_i32_i8 v23, v24, v2, 0
	v_dot4_i32_i8 v16, v106, v2, v16
	;; [unrolled: 1-line block ×8, first 2 shown]
                                        ; kill: def $vgpr16 killed $sgpr0 killed $exec
	v_mov_b32_e32 v30, v0
	v_mad_u64_u32 v[15:16], s[16:17], v23, v108, v[15:16]
	v_cvt_f32_i32_e32 v23, v24
	v_cvt_f32_i32_e32 v24, v29
	;; [unrolled: 1-line block ×4, first 2 shown]
	v_mul_f32_e32 v23, v89, v23
	v_mul_f32_e32 v24, v89, v24
	v_fma_mix_f32 v15, v85, v15, -v23 op_sel_hi:[1,0,0]
	v_fmac_f32_e32 v35, v62, v15
	v_dot4_i32_i8 v15, v22, v6, 0
	v_dot4_i32_i8 v6, v104, v6, 0
	;; [unrolled: 1-line block ×8, first 2 shown]
	v_mul_lo_u32 v6, v8, v105
	v_dot4_i32_i8 v8, v19, v2, 0
	v_dot4_i32_i8 v2, v20, v2, v7
	;; [unrolled: 1-line block ×8, first 2 shown]
	v_mad_u64_u32 v[4:5], s[16:17], v3, v82, v[6:7]
	buffer_load_dword v23, off, s[20:23], 0 offset:4 ; 4-byte Folded Reload
	buffer_load_dword v22, off, s[20:23], 0 offset:8 ; 4-byte Folded Reload
	;; [unrolled: 1-line block ×4, first 2 shown]
	v_cvt_f32_i32_e32 v5, v66
	buffer_load_dword v66, off, s[20:23], 0 offset:20 ; 4-byte Folded Reload
	buffer_load_dword v18, off, s[20:23], 0 ; 4-byte Folded Reload
	v_cvt_f32_i32_e32 v2, v2
	v_cvt_f32_i32_e32 v3, v63
	v_cvt_f32_i32_e32 v4, v4
	v_mul_f32_e32 v5, v17, v5
	v_mul_f32_e32 v2, v17, v2
	v_fma_mix_f32 v16, v85, v16, -v24 op_sel_hi:[1,0,0]
	v_fma_mix_f32 v2, v79, v4, -v2 op_sel_hi:[1,0,0]
	;; [unrolled: 1-line block ×3, first 2 shown]
	s_add_i32 s16, s11, 2
	v_mov_b32_e32 v65, v12
	v_fma_f32 v36, v61, v16, v36
	v_mov_b32_e32 v19, v113
	v_fma_f32 v38, v61, v3, v38
	v_fmac_f32_e32 v37, v62, v2
	s_cmp_lt_u32 s11, 14
	s_mov_b32 s11, s16
	s_cbranch_scc1 .LBB148_9
; %bb.10:                               ;   in Loop: Header=BB148_6 Depth=1
	s_or_b32 s11, s7, 1
	s_cmp_ge_i32 s11, s4
	s_waitcnt vmcnt(0)
	s_barrier
	s_cbranch_scc1 .LBB148_5
; %bb.11:                               ;   in Loop: Header=BB148_6 Depth=1
	buffer_load_dword v2, off, s[20:23], 0 offset:392 ; 4-byte Folded Reload
	s_mov_b32 s11, 16
	v_mov_b32_e32 v112, 15
	s_waitcnt vmcnt(0)
	v_add_u32_e32 v4, s9, v2
	buffer_load_dword v2, off, s[20:23], 0 offset:32 ; 4-byte Folded Reload
	buffer_load_dword v5, off, s[20:23], 0 offset:64 ; 4-byte Folded Reload
	;; [unrolled: 1-line block ×4, first 2 shown]
	s_waitcnt vmcnt(3)
	v_add_u32_e32 v2, v4, v2
	s_waitcnt vmcnt(1)
	v_mad_i64_i32 v[2:3], s[16:17], v2, 36, v[5:6]
	global_load_dword v2, v[2:3], off offset:4
	s_waitcnt vmcnt(0)
	ds_write_b32 v1, v2
	buffer_load_dword v2, off, s[20:23], 0 offset:36 ; 4-byte Folded Reload
	buffer_load_dword v1, off, s[20:23], 0 offset:108 ; 4-byte Folded Reload
	s_waitcnt vmcnt(1)
	v_add_u32_e32 v2, v4, v2
	v_mad_i64_i32 v[2:3], s[16:17], v2, 36, v[5:6]
	global_load_dword v2, v[2:3], off offset:4
	s_nop 0
	buffer_load_dword v3, off, s[20:23], 0 offset:80 ; 4-byte Folded Reload
	s_waitcnt vmcnt(0)
	ds_write_b32 v3, v2
	buffer_load_dword v2, off, s[20:23], 0 offset:40 ; 4-byte Folded Reload
	s_waitcnt vmcnt(0)
	v_add_u32_e32 v2, v4, v2
	v_mad_i64_i32 v[2:3], s[16:17], v2, 36, v[5:6]
	global_load_dword v2, v[2:3], off offset:4
	s_nop 0
	buffer_load_dword v3, off, s[20:23], 0 offset:84 ; 4-byte Folded Reload
	s_waitcnt vmcnt(0)
	ds_write_b32 v3, v2
	;; [unrolled: 9-line block ×7, first 2 shown]
	v_add_u32_e32 v2, 8, v1
	v_mad_u64_u32 v[2:3], s[16:17], v2, 36, s[2:3]
	v_mov_b32_e32 v1, 4
	global_load_dword v2, v[2:3], off
	s_nop 0
	buffer_load_dword v3, off, s[20:23], 0 offset:28 ; 4-byte Folded Reload
	s_waitcnt vmcnt(1)
	v_cvt_f32_f16_e32 v2, v2
	s_waitcnt vmcnt(0)
	ds_write_b32 v3, v2
	s_waitcnt lgkmcnt(0)
	s_barrier
	buffer_load_dword v63, off, s[20:23], 0 offset:76 ; 4-byte Folded Reload
	buffer_load_dword v64, off, s[20:23], 0 offset:72 ; 4-byte Folded Reload
.LBB148_12:                             ;   Parent Loop BB148_6 Depth=1
                                        ; =>  This Inner Loop Header: Depth=2
	s_and_b32 s17, s11, 0x3ffffff8
	v_lshl_add_u32 v19, s17, 2, v113
	s_waitcnt vmcnt(0)
	ds_read2_b32 v[2:3], v64 offset1:32
	ds_read_b128 v[71:74], v63
	ds_read_b128 v[116:119], v63 offset:16
	ds_read2_b32 v[4:5], v19 offset1:1
	s_add_i32 s18, s11, -16
	s_lshr_b32 s17, s11, 2
	s_and_b32 s17, s17, 0x3ffffffc
	s_and_b32 s16, s11, -16
	s_waitcnt lgkmcnt(0)
	v_ashrrev_i32_e32 v4, s18, v4
	v_and_b32_e32 v97, 0x3030303, v4
	v_ashrrev_i32_e32 v4, s18, v5
	v_and_b32_e32 v96, 0x3030303, v4
	ds_read2_b32 v[4:5], v19 offset0:2 offset1:3
	s_addk_i32 s17, 0x7280
	s_add_i32 s16, s11, s16
	s_waitcnt lgkmcnt(0)
	v_ashrrev_i32_e32 v4, s18, v4
	v_and_b32_e32 v28, 0x3030303, v4
	v_ashrrev_i32_e32 v4, s18, v5
	v_and_b32_e32 v78, 0x3030303, v4
	ds_read2_b32 v[4:5], v19 offset0:4 offset1:5
	s_waitcnt lgkmcnt(0)
	v_ashrrev_i32_e32 v4, s18, v4
	v_and_b32_e32 v91, 0x3030303, v4
	v_ashrrev_i32_e32 v4, s18, v5
	v_and_b32_e32 v93, 0x3030303, v4
	ds_read2_b32 v[4:5], v19 offset0:6 offset1:7
	s_waitcnt lgkmcnt(0)
	v_ashrrev_i32_e32 v4, s18, v4
	v_and_b32_e32 v94, 0x3030303, v4
	v_ashrrev_i32_e32 v4, s18, v5
	v_add3_u32 v5, s17, v14, v21
	v_and_b32_e32 v95, 0x3030303, v4
	v_add_u32_e32 v4, s16, v18
	ds_read_b32 v15, v5
	ds_read_u16 v7, v4 offset:25072
	s_waitcnt lgkmcnt(1)
	v_cvt_f32_f16_sdwa v110, v15 dst_sel:DWORD dst_unused:UNUSED_PAD src0_sel:WORD_1
	s_waitcnt lgkmcnt(0)
	v_bfe_u32 v4, v7, 4, 4
	v_and_b32_e32 v99, 15, v7
	v_lshrrev_b32_sdwa v6, v1, v7 dst_sel:DWORD dst_unused:UNUSED_PAD src0_sel:DWORD src1_sel:BYTE_1
	v_and_b32_sdwa v104, v7, v112 dst_sel:DWORD dst_unused:UNUSED_PAD src0_sel:BYTE_1 src1_sel:DWORD
	v_add_u32_e32 v7, 0x1080, v19
	ds_read2_b32 v[7:8], v7 offset1:1
	v_mul_lo_u32 v100, v4, s8
	v_dot4_i32_i8 v4, v97, v71, 0
	v_mul_lo_u32 v120, v6, s8
	v_dot4_i32_i8 v6, v91, v116, 0
	s_waitcnt lgkmcnt(0)
	v_ashrrev_i32_e32 v7, s18, v7
	v_and_b32_e32 v101, 0x3030303, v7
	v_ashrrev_i32_e32 v7, s18, v8
	v_and_b32_e32 v103, 0x3030303, v7
	v_add_u32_e32 v7, 0x1088, v19
	ds_read2_b32 v[7:8], v7 offset1:1
	v_dot4_i32_i8 v5, v100, v71, 0
	v_dot4_i32_i8 v5, v100, v72, v5
	v_dot4_i32_i8 v5, v100, v73, v5
	v_dot4_i32_i8 v5, v100, v74, v5
	s_waitcnt lgkmcnt(0)
	v_ashrrev_i32_e32 v7, s18, v7
	v_and_b32_e32 v114, 0x3030303, v7
	v_ashrrev_i32_e32 v7, s18, v8
	v_and_b32_e32 v115, 0x3030303, v7
	v_add_u32_e32 v7, 0x1090, v19
	ds_read2_b32 v[7:8], v7 offset1:1
	v_dot4_i32_i8 v5, v120, v116, v5
	v_dot4_i32_i8 v4, v96, v72, v4
	v_dot4_i32_i8 v6, v93, v117, v6
	;; [unrolled: 11-line block ×3, first 2 shown]
	v_dot4_i32_i8 v4, v78, v74, v4
	s_waitcnt lgkmcnt(0)
	v_ashrrev_i32_e32 v7, s18, v7
	v_and_b32_e32 v123, 0x3030303, v7
	v_ashrrev_i32_e32 v7, s18, v8
	v_add3_u32 v8, s17, v22, v23
	v_and_b32_e32 v124, 0x3030303, v7
	v_add_u32_e32 v7, s16, v20
	ds_read_b32 v98, v8
	ds_read_u16 v16, v7 offset:26096
	v_dot4_i32_i8 v6, v95, v119, v6
	v_dot4_i32_i8 v5, v120, v119, v5
	v_mul_lo_u32 v6, v104, v6
	v_cvt_f32_i32_e32 v5, v5
	s_waitcnt lgkmcnt(0)
	v_bfe_u32 v7, v16, 4, 4
	v_and_b32_e32 v105, 15, v16
	v_lshrrev_b32_sdwa v9, v1, v16 dst_sel:DWORD dst_unused:UNUSED_PAD src0_sel:DWORD src1_sel:BYTE_1
	v_and_b32_sdwa v109, v16, v112 dst_sel:DWORD dst_unused:UNUSED_PAD src0_sel:BYTE_1 src1_sel:DWORD
	v_add_u32_e32 v16, 0x2100, v19
	ds_read2_b32 v[16:17], v16 offset1:1
	v_mul_lo_u32 v106, v7, s8
	v_dot4_i32_i8 v7, v101, v71, 0
	v_mul_lo_u32 v108, v9, s8
	v_dot4_i32_i8 v9, v121, v116, 0
	s_waitcnt lgkmcnt(0)
	v_ashrrev_i32_e32 v16, s18, v16
	v_and_b32_e32 v84, 0x3030303, v16
	v_ashrrev_i32_e32 v16, s18, v17
	v_and_b32_e32 v83, 0x3030303, v16
	v_add_u32_e32 v16, 0x2108, v19
	ds_read2_b32 v[16:17], v16 offset1:1
	v_dot4_i32_i8 v8, v106, v71, 0
	v_dot4_i32_i8 v8, v106, v72, v8
	v_dot4_i32_i8 v8, v106, v73, v8
	v_dot4_i32_i8 v8, v106, v74, v8
	s_waitcnt lgkmcnt(0)
	v_ashrrev_i32_e32 v16, s18, v16
	v_and_b32_e32 v24, 0x3030303, v16
	v_ashrrev_i32_e32 v16, s18, v17
	v_and_b32_e32 v25, 0x3030303, v16
	v_add_u32_e32 v16, 0x2110, v19
	ds_read2_b32 v[16:17], v16 offset1:1
	v_dot4_i32_i8 v8, v108, v116, v8
	v_dot4_i32_i8 v7, v103, v72, v7
	v_dot4_i32_i8 v9, v122, v117, v9
	;; [unrolled: 11-line block ×3, first 2 shown]
	v_dot4_i32_i8 v7, v115, v74, v7
	s_waitcnt lgkmcnt(0)
	v_ashrrev_i32_e32 v16, s18, v16
	v_and_b32_e32 v81, 0x3030303, v16
	v_ashrrev_i32_e32 v16, s18, v17
	v_add3_u32 v17, s17, v30, v66
	v_and_b32_e32 v82, 0x3030303, v16
	v_add_u32_e32 v16, s16, v65
	ds_read_b32 v23, v17
	ds_read_u16 v17, v16 offset:27120
	v_dot4_i32_i8 v9, v124, v119, v9
	v_dot4_i32_i8 v8, v108, v119, v8
	v_mul_f32_e32 v5, v110, v5
	v_cvt_f32_f16_sdwa v107, v98 dst_sel:DWORD dst_unused:UNUSED_PAD src0_sel:WORD_1
	s_waitcnt lgkmcnt(0)
	v_bfe_u32 v16, v17, 4, 4
	v_mul_lo_u32 v86, v16, s8
	v_lshrrev_b32_sdwa v20, v1, v17 dst_sel:DWORD dst_unused:UNUSED_PAD src0_sel:DWORD src1_sel:BYTE_1
	v_mul_lo_u32 v88, v20, s8
	v_and_b32_e32 v85, 15, v17
	v_dot4_i32_i8 v18, v86, v71, 0
	v_dot4_i32_i8 v18, v86, v72, v18
	;; [unrolled: 1-line block ×7, first 2 shown]
	v_and_b32_sdwa v89, v17, v112 dst_sel:DWORD dst_unused:UNUSED_PAD src0_sel:BYTE_1 src1_sel:DWORD
	v_add_u32_e32 v17, 0x3180, v19
	v_dot4_i32_i8 v61, v88, v119, v18
	ds_read2_b32 v[17:18], v17 offset1:1
	v_dot4_i32_i8 v20, v26, v116, 0
	v_dot4_i32_i8 v20, v27, v117, v20
	;; [unrolled: 1-line block ×4, first 2 shown]
	s_waitcnt lgkmcnt(0)
	v_ashrrev_i32_e32 v17, s18, v17
	v_and_b32_e32 v80, 0x3030303, v17
	v_ashrrev_i32_e32 v17, s18, v18
	v_and_b32_e32 v79, 0x3030303, v17
	v_add_u32_e32 v17, 0x3188, v19
	ds_read2_b32 v[17:18], v17 offset1:1
	v_dot4_i32_i8 v16, v84, v71, 0
	v_dot4_i32_i8 v16, v83, v72, v16
	;; [unrolled: 1-line block ×4, first 2 shown]
	s_waitcnt lgkmcnt(0)
	v_ashrrev_i32_e32 v17, s18, v17
	v_and_b32_e32 v22, 0x3030303, v17
	v_ashrrev_i32_e32 v17, s18, v18
	v_and_b32_e32 v21, 0x3030303, v17
	v_add_u32_e32 v17, 0x3190, v19
	ds_read2_b32 v[17:18], v17 offset1:1
	v_cvt_f32_f16_sdwa v87, v23 dst_sel:DWORD dst_unused:UNUSED_PAD src0_sel:WORD_1
	s_waitcnt lgkmcnt(0)
	v_ashrrev_i32_e32 v17, s18, v17
	v_and_b32_e32 v70, 0x3030303, v17
	v_ashrrev_i32_e32 v17, s18, v18
	v_and_b32_e32 v69, 0x3030303, v17
	v_add_u32_e32 v17, 0x3198, v19
	ds_read2_b32 v[17:18], v17 offset1:1
	v_dot4_i32_i8 v65, v70, v116, 0
	v_dot4_i32_i8 v65, v69, v117, v65
	s_waitcnt lgkmcnt(0)
	v_ashrrev_i32_e32 v17, s18, v17
	v_and_b32_e32 v68, 0x3030303, v17
	v_ashrrev_i32_e32 v17, s18, v18
	v_and_b32_e32 v19, 0x3030303, v17
	v_add3_u32 v17, s17, v76, v125
	v_add_u32_e32 v18, s16, v75
	ds_read_b32 v17, v17
	ds_read_u16 v29, v18 offset:28144
	v_dot4_i32_i8 v65, v68, v118, v65
	v_dot4_i32_i8 v92, v19, v119, v65
	s_waitcnt lgkmcnt(1)
	v_cvt_f32_f16_sdwa v65, v17 dst_sel:DWORD dst_unused:UNUSED_PAD src0_sel:WORD_1
	s_waitcnt lgkmcnt(0)
	v_bfe_u32 v18, v29, 4, 4
	v_mul_lo_u32 v20, v18, s8
	v_dot4_i32_i8 v18, v80, v71, 0
	v_dot4_i32_i8 v18, v79, v72, v18
	;; [unrolled: 1-line block ×5, first 2 shown]
	v_lshrrev_b32_sdwa v18, v1, v29 dst_sel:DWORD dst_unused:UNUSED_PAD src0_sel:DWORD src1_sel:BYTE_1
	v_mul_lo_u32 v18, v18, s8
	v_dot4_i32_i8 v30, v20, v72, v30
	v_dot4_i32_i8 v30, v20, v73, v30
	;; [unrolled: 1-line block ×7, first 2 shown]
	ds_read_b128 v[72:75], v63 offset:1024
	ds_read_b128 v[116:119], v63 offset:1040
	v_and_b32_e32 v66, 15, v29
	v_and_b32_sdwa v67, v29, v112 dst_sel:DWORD dst_unused:UNUSED_PAD src0_sel:BYTE_1 src1_sel:DWORD
	v_mov_b32_e32 v112, 15
	s_waitcnt lgkmcnt(1)
	v_dot4_i32_i8 v29, v97, v72, 0
	v_dot4_i32_i8 v30, v100, v72, 0
	v_dot4_i32_i8 v29, v96, v73, v29
	v_dot4_i32_i8 v30, v100, v73, v30
	v_dot4_i32_i8 v29, v28, v74, v29
	v_dot4_i32_i8 v30, v100, v74, v30
	v_dot4_i32_i8 v29, v78, v75, v29
	v_dot4_i32_i8 v30, v100, v75, v30
	s_waitcnt lgkmcnt(0)
	v_dot4_i32_i8 v76, v91, v116, 0
	v_dot4_i32_i8 v30, v120, v116, v30
	v_mul_lo_u32 v29, v99, v29
	v_dot4_i32_i8 v76, v93, v117, v76
	v_dot4_i32_i8 v30, v120, v117, v30
	;; [unrolled: 1-line block ×6, first 2 shown]
                                        ; kill: def $vgpr30 killed $sgpr0 killed $exec
	v_mov_b32_e32 v1, 4
	v_mad_u64_u32 v[29:30], s[16:17], v104, v76, v[29:30]
	v_mad_u64_u32 v[76:77], s[16:17], v99, v4, v[6:7]
	v_cvt_f32_i32_e32 v6, v29
	v_cvt_f32_i32_e32 v29, v102
	;; [unrolled: 1-line block ×3, first 2 shown]
	v_mul_f32_e32 v29, v110, v29
	v_fma_mix_f32 v4, v15, v4, -v5 op_sel_hi:[1,0,0]
	v_fma_f32 v11, v2, v4, v11
	v_dot4_i32_i8 v4, v101, v72, 0
	v_dot4_i32_i8 v5, v106, v72, 0
	v_dot4_i32_i8 v4, v103, v73, v4
	v_dot4_i32_i8 v5, v106, v73, v5
	v_fma_mix_f32 v6, v15, v6, -v29 op_sel_hi:[1,0,0]
	v_dot4_i32_i8 v4, v114, v74, v4
	v_dot4_i32_i8 v5, v106, v74, v5
	v_fmac_f32_e32 v10, v3, v6
	v_dot4_i32_i8 v6, v115, v75, v4
	v_dot4_i32_i8 v4, v106, v75, v5
	;; [unrolled: 1-line block ×6, first 2 shown]
	v_mul_lo_u32 v5, v105, v6
	v_dot4_i32_i8 v4, v108, v116, v4
	v_dot4_i32_i8 v4, v108, v117, v4
	;; [unrolled: 1-line block ×3, first 2 shown]
                                        ; kill: def $vgpr6 killed $sgpr0 killed $exec
	v_dot4_i32_i8 v30, v108, v119, v4
	v_mul_lo_u32 v4, v109, v9
	v_mad_u64_u32 v[5:6], s[16:17], v109, v29, v[5:6]
	v_mad_u64_u32 v[6:7], s[16:17], v105, v7, v[4:5]
	v_cvt_f32_i32_e32 v7, v8
	v_cvt_f32_i32_e32 v5, v5
	;; [unrolled: 1-line block ×4, first 2 shown]
	v_mul_f32_e32 v7, v107, v7
	v_fma_mix_f32 v4, v98, v4, -v7 op_sel_hi:[1,0,0]
	v_mul_f32_e32 v6, v107, v6
	v_fma_mix_f32 v5, v98, v5, -v6 op_sel_hi:[1,0,0]
	v_fma_f32 v56, v2, v4, v56
	v_fmac_f32_e32 v55, v3, v5
	v_dot4_i32_i8 v4, v84, v72, 0
	v_dot4_i32_i8 v5, v86, v72, 0
	;; [unrolled: 1-line block ×12, first 2 shown]
	v_mul_lo_u32 v5, v85, v6
	v_dot4_i32_i8 v4, v88, v116, v4
	v_dot4_i32_i8 v4, v88, v117, v4
	;; [unrolled: 1-line block ×3, first 2 shown]
                                        ; kill: def $vgpr6 killed $sgpr0 killed $exec
	v_dot4_i32_i8 v8, v88, v119, v4
	v_mul_lo_u32 v4, v89, v62
	v_mad_u64_u32 v[5:6], s[16:17], v89, v7, v[5:6]
	v_mad_u64_u32 v[6:7], s[16:17], v85, v16, v[4:5]
	v_cvt_f32_i32_e32 v7, v61
	v_cvt_f32_i32_e32 v5, v5
	;; [unrolled: 1-line block ×4, first 2 shown]
	v_mul_f32_e32 v7, v87, v7
	v_fma_mix_f32 v4, v23, v4, -v7 op_sel_hi:[1,0,0]
	v_mul_f32_e32 v6, v87, v6
	v_fma_mix_f32 v5, v23, v5, -v6 op_sel_hi:[1,0,0]
	v_fma_f32 v58, v2, v4, v58
	v_fmac_f32_e32 v57, v3, v5
	v_dot4_i32_i8 v4, v80, v72, 0
	v_dot4_i32_i8 v5, v20, v72, 0
	;; [unrolled: 1-line block ×12, first 2 shown]
	v_mul_lo_u32 v5, v66, v6
	v_dot4_i32_i8 v4, v18, v116, v4
	v_dot4_i32_i8 v4, v18, v117, v4
	;; [unrolled: 1-line block ×3, first 2 shown]
                                        ; kill: def $vgpr6 killed $sgpr0 killed $exec
	v_dot4_i32_i8 v8, v18, v119, v4
	v_mul_lo_u32 v4, v67, v92
	v_mad_u64_u32 v[5:6], s[16:17], v67, v7, v[5:6]
	v_mad_u64_u32 v[6:7], s[16:17], v66, v71, v[4:5]
	v_cvt_f32_i32_e32 v7, v90
	v_cvt_f32_i32_e32 v5, v5
	;; [unrolled: 1-line block ×4, first 2 shown]
	v_mul_f32_e32 v7, v65, v7
	v_fma_mix_f32 v4, v17, v4, -v7 op_sel_hi:[1,0,0]
	v_mul_f32_e32 v6, v65, v6
	v_fma_mix_f32 v5, v17, v5, -v6 op_sel_hi:[1,0,0]
	v_fma_f32 v60, v2, v4, v60
	v_fmac_f32_e32 v59, v3, v5
	ds_read2_b32 v[61:62], v64 offset0:64 offset1:96
	ds_read_b128 v[6:9], v63 offset:2048
	ds_read_b128 v[2:5], v63 offset:2064
	s_waitcnt lgkmcnt(1)
	v_dot4_i32_i8 v16, v97, v6, 0
	v_dot4_i32_i8 v29, v100, v6, 0
	;; [unrolled: 1-line block ×8, first 2 shown]
	s_waitcnt lgkmcnt(0)
	v_dot4_i32_i8 v16, v120, v2, v16
	v_dot4_i32_i8 v16, v120, v3, v16
	v_dot4_i32_i8 v16, v120, v4, v16
	v_dot4_i32_i8 v72, v120, v5, v16
	v_dot4_i32_i8 v16, v101, v6, 0
	v_dot4_i32_i8 v30, v106, v6, 0
	v_dot4_i32_i8 v16, v103, v7, v16
	v_dot4_i32_i8 v30, v106, v7, v30
	v_dot4_i32_i8 v16, v114, v8, v16
	v_dot4_i32_i8 v30, v106, v8, v30
	v_dot4_i32_i8 v92, v115, v9, v16
	v_dot4_i32_i8 v16, v106, v9, v30
	v_dot4_i32_i8 v30, v121, v2, 0
	v_dot4_i32_i8 v30, v122, v3, v30
	v_dot4_i32_i8 v30, v123, v4, v30
	v_dot4_i32_i8 v127, v124, v5, v30
	v_dot4_i32_i8 v30, v86, v6, 0
	v_dot4_i32_i8 v30, v86, v7, v30
	v_dot4_i32_i8 v30, v86, v8, v30
	v_dot4_i32_i8 v30, v86, v9, v30
	v_dot4_i32_i8 v16, v108, v2, v16
	v_dot4_i32_i8 v71, v26, v2, 0
	v_dot4_i32_i8 v30, v88, v2, v30
	v_dot4_i32_i8 v16, v108, v3, v16
	v_dot4_i32_i8 v71, v27, v3, v71
	v_dot4_i32_i8 v30, v88, v3, v30
	v_dot4_i32_i8 v16, v108, v4, v16
	v_dot4_i32_i8 v71, v81, v4, v71
	v_dot4_i32_i8 v30, v88, v4, v30
	v_dot4_i32_i8 v125, v108, v5, v16
	v_dot4_i32_i8 v16, v84, v6, 0
	v_dot4_i32_i8 v90, v82, v5, v71
	v_dot4_i32_i8 v71, v88, v5, v30
	v_dot4_i32_i8 v30, v80, v6, 0
	v_dot4_i32_i8 v6, v20, v6, 0
	v_dot4_i32_i8 v6, v20, v7, v6
	v_dot4_i32_i8 v30, v79, v7, v30
	v_dot4_i32_i8 v6, v20, v8, v6
	v_dot4_i32_i8 v16, v83, v7, v16
	v_dot4_i32_i8 v7, v22, v8, v30
	v_dot4_i32_i8 v6, v20, v9, v6
	v_dot4_i32_i8 v29, v91, v2, 0
	v_dot4_i32_i8 v77, v21, v9, v7
	v_dot4_i32_i8 v7, v70, v2, 0
	v_dot4_i32_i8 v2, v18, v2, v6
	v_dot4_i32_i8 v29, v93, v3, v29
	v_dot4_i32_i8 v6, v69, v3, v7
	v_dot4_i32_i8 v2, v18, v3, v2
	v_dot4_i32_i8 v29, v94, v4, v29
	v_dot4_i32_i8 v16, v24, v8, v16
	v_dot4_i32_i8 v3, v68, v4, v6
	v_dot4_i32_i8 v2, v18, v4, v2
	v_dot4_i32_i8 v29, v95, v5, v29
	v_dot4_i32_i8 v16, v25, v9, v16
	v_dot4_i32_i8 v126, v19, v5, v3
	v_dot4_i32_i8 v102, v18, v5, v2
	ds_read_b128 v[6:9], v63 offset:3072
	ds_read_b128 v[2:5], v63 offset:3088
	v_mul_lo_u32 v29, v29, v104
	v_cvt_f32_i32_e32 v72, v72
	v_cvt_f32_i32_e32 v71, v71
	s_waitcnt lgkmcnt(1)
	v_dot4_i32_i8 v30, v97, v6, 0
	v_dot4_i32_i8 v74, v100, v6, 0
	;; [unrolled: 1-line block ×8, first 2 shown]
	s_waitcnt lgkmcnt(0)
	v_dot4_i32_i8 v75, v91, v2, 0
	v_mul_lo_u32 v30, v30, v99
	v_dot4_i32_i8 v74, v120, v2, v74
	v_dot4_i32_i8 v75, v93, v3, v75
	;; [unrolled: 1-line block ×7, first 2 shown]
	v_mad_u64_u32 v[74:75], s[16:17], v75, v104, v[30:31]
                                        ; kill: def $vgpr30 killed $sgpr0 killed $exec
	v_mul_f32_e32 v72, v110, v72
	v_mad_u64_u32 v[29:30], s[16:17], v73, v99, v[29:30]
	v_cvt_f32_i32_e32 v73, v76
	v_cvt_f32_i32_e32 v30, v74
	;; [unrolled: 1-line block ×3, first 2 shown]
	v_mul_f32_e32 v71, v87, v71
	v_mul_f32_e32 v73, v110, v73
	v_fma_mix_f32 v30, v15, v30, -v73 op_sel_hi:[1,0,0]
	v_fma_mix_f32 v29, v15, v29, -v72 op_sel_hi:[1,0,0]
	v_fma_f32 v48, v61, v29, v48
	v_fmac_f32_e32 v47, v62, v30
	v_dot4_i32_i8 v29, v101, v6, 0
	v_dot4_i32_i8 v30, v106, v6, 0
	;; [unrolled: 1-line block ×15, first 2 shown]
	v_mul_lo_u32 v30, v72, v105
	v_dot4_i32_i8 v74, v108, v5, v29
	v_mul_lo_u32 v29, v127, v109
	v_mad_u64_u32 v[72:73], s[16:17], v73, v109, v[30:31]
                                        ; kill: def $vgpr30 killed $sgpr0 killed $exec
	v_cvt_f32_i32_e32 v73, v125
	v_mad_u64_u32 v[29:30], s[16:17], v92, v105, v[29:30]
	v_cvt_f32_i32_e32 v30, v72
	v_cvt_f32_i32_e32 v72, v74
	v_cvt_f32_i32_e32 v29, v29
	v_mul_f32_e32 v73, v107, v73
	v_mul_f32_e32 v72, v107, v72
	v_fma_mix_f32 v30, v98, v30, -v72 op_sel_hi:[1,0,0]
	v_fma_mix_f32 v29, v98, v29, -v73 op_sel_hi:[1,0,0]
	v_fma_f32 v50, v61, v29, v50
	v_fmac_f32_e32 v49, v62, v30
	v_dot4_i32_i8 v29, v84, v6, 0
	v_dot4_i32_i8 v30, v86, v6, 0
	;; [unrolled: 1-line block ×15, first 2 shown]
	v_mul_lo_u32 v30, v72, v85
	v_dot4_i32_i8 v74, v88, v5, v29
	v_mul_lo_u32 v29, v90, v89
	v_mad_u64_u32 v[72:73], s[16:17], v73, v89, v[30:31]
                                        ; kill: def $vgpr30 killed $sgpr0 killed $exec
	v_mad_u64_u32 v[29:30], s[16:17], v16, v85, v[29:30]
	v_cvt_f32_i32_e32 v30, v74
	v_cvt_f32_i32_e32 v16, v29
	;; [unrolled: 1-line block ×3, first 2 shown]
	v_mul_f32_e32 v30, v87, v30
	v_fma_mix_f32 v16, v23, v16, -v71 op_sel_hi:[1,0,0]
	v_fma_f32 v52, v61, v16, v52
	v_dot4_i32_i8 v16, v80, v6, 0
	v_dot4_i32_i8 v6, v20, v6, 0
	;; [unrolled: 1-line block ×15, first 2 shown]
	v_mul_lo_u32 v3, v7, v66
	v_dot4_i32_i8 v6, v18, v5, v2
	v_mul_lo_u32 v2, v126, v67
	v_fma_mix_f32 v29, v23, v29, -v30 op_sel_hi:[1,0,0]
	v_mad_u64_u32 v[3:4], s[16:17], v4, v67, v[3:4]
	v_fmac_f32_e32 v51, v62, v29
	v_mad_u64_u32 v[4:5], s[16:17], v77, v66, v[2:3]
	v_cvt_f32_i32_e32 v5, v102
	v_cvt_f32_i32_e32 v3, v3
	;; [unrolled: 1-line block ×4, first 2 shown]
	v_mul_f32_e32 v5, v65, v5
	v_fma_mix_f32 v2, v17, v2, -v5 op_sel_hi:[1,0,0]
	v_mul_f32_e32 v4, v65, v4
	v_fma_mix_f32 v3, v17, v3, -v4 op_sel_hi:[1,0,0]
	v_fma_f32 v54, v61, v2, v54
	v_fmac_f32_e32 v53, v62, v3
	ds_read2_b32 v[61:62], v64 offset0:128 offset1:160
	ds_read_b128 v[6:9], v63 offset:4096
	ds_read_b128 v[2:5], v63 offset:4112
	s_waitcnt lgkmcnt(1)
	v_dot4_i32_i8 v16, v97, v6, 0
	v_dot4_i32_i8 v29, v100, v6, 0
	v_dot4_i32_i8 v16, v96, v7, v16
	v_dot4_i32_i8 v29, v100, v7, v29
	v_dot4_i32_i8 v16, v28, v8, v16
	v_dot4_i32_i8 v29, v100, v8, v29
	v_dot4_i32_i8 v102, v78, v9, v16
	v_dot4_i32_i8 v16, v100, v9, v29
	s_waitcnt lgkmcnt(0)
	v_dot4_i32_i8 v29, v91, v2, 0
	v_dot4_i32_i8 v16, v120, v2, v16
	;; [unrolled: 1-line block ×56, first 2 shown]
	ds_read_b128 v[6:9], v63 offset:5120
	ds_read_b128 v[2:5], v63 offset:5136
	v_cvt_f32_i32_e32 v30, v30
	s_waitcnt lgkmcnt(1)
	v_dot4_i32_i8 v74, v97, v6, 0
	v_dot4_i32_i8 v75, v100, v6, 0
	;; [unrolled: 1-line block ×8, first 2 shown]
	s_waitcnt lgkmcnt(0)
	v_dot4_i32_i8 v75, v91, v2, 0
	v_dot4_i32_i8 v75, v93, v3, v75
	;; [unrolled: 1-line block ×4, first 2 shown]
	v_mul_lo_u32 v75, v76, v99
	v_dot4_i32_i8 v74, v120, v2, v74
	v_dot4_i32_i8 v74, v120, v3, v74
	;; [unrolled: 1-line block ×3, first 2 shown]
                                        ; kill: def $vgpr76 killed $sgpr0 killed $exec
	v_dot4_i32_i8 v118, v120, v5, v74
	v_mul_lo_u32 v74, v126, v104
	v_mad_u64_u32 v[75:76], s[16:17], v116, v104, v[75:76]
	v_cvt_f32_i32_e32 v76, v118
	v_mul_f32_e32 v30, v107, v30
	v_mad_u64_u32 v[116:117], s[16:17], v102, v99, v[74:75]
	v_cvt_f32_i32_e32 v102, v125
	v_cvt_f32_i32_e32 v75, v75
	v_cvt_f32_i32_e32 v74, v116
	v_mul_f32_e32 v76, v110, v76
	v_mul_f32_e32 v102, v110, v102
	v_fma_mix_f32 v75, v15, v75, -v76 op_sel_hi:[1,0,0]
	v_fma_mix_f32 v74, v15, v74, -v102 op_sel_hi:[1,0,0]
	v_fma_f32 v40, v61, v74, v40
	v_fmac_f32_e32 v39, v62, v75
	v_dot4_i32_i8 v74, v101, v6, 0
	v_dot4_i32_i8 v75, v106, v6, 0
	;; [unrolled: 1-line block ×12, first 2 shown]
	v_mul_lo_u32 v75, v76, v105
	v_dot4_i32_i8 v74, v108, v2, v74
	v_dot4_i32_i8 v74, v108, v3, v74
	;; [unrolled: 1-line block ×3, first 2 shown]
                                        ; kill: def $vgpr76 killed $sgpr0 killed $exec
	v_dot4_i32_i8 v118, v108, v5, v74
	v_mul_lo_u32 v74, v92, v109
	v_mad_u64_u32 v[75:76], s[16:17], v102, v109, v[75:76]
	v_mad_u64_u32 v[116:117], s[16:17], v29, v105, v[74:75]
	v_cvt_f32_i32_e32 v74, v75
	v_cvt_f32_i32_e32 v75, v118
	;; [unrolled: 1-line block ×3, first 2 shown]
	v_mul_f32_e32 v75, v107, v75
	v_fma_mix_f32 v29, v98, v29, -v30 op_sel_hi:[1,0,0]
	v_fma_f32 v42, v61, v29, v42
	v_dot4_i32_i8 v29, v84, v6, 0
	v_dot4_i32_i8 v30, v86, v6, 0
	;; [unrolled: 1-line block ×4, first 2 shown]
	v_fma_mix_f32 v74, v98, v74, -v75 op_sel_hi:[1,0,0]
	v_dot4_i32_i8 v29, v24, v8, v29
	v_dot4_i32_i8 v30, v86, v8, v30
	v_fmac_f32_e32 v41, v62, v74
	v_dot4_i32_i8 v74, v25, v9, v29
	v_dot4_i32_i8 v29, v86, v9, v30
	;; [unrolled: 1-line block ×9, first 2 shown]
	v_mul_lo_u32 v30, v74, v85
	v_dot4_i32_i8 v76, v88, v5, v29
	v_mul_lo_u32 v29, v90, v89
	v_mad_u64_u32 v[74:75], s[16:17], v75, v89, v[30:31]
                                        ; kill: def $vgpr30 killed $sgpr0 killed $exec
	v_mad_u64_u32 v[29:30], s[16:17], v71, v85, v[29:30]
	v_cvt_f32_i32_e32 v30, v74
	v_cvt_f32_i32_e32 v74, v77
	;; [unrolled: 1-line block ×4, first 2 shown]
	v_mul_f32_e32 v74, v87, v74
	v_fma_mix_f32 v29, v23, v29, -v74 op_sel_hi:[1,0,0]
	v_fma_f32 v44, v61, v29, v44
	v_dot4_i32_i8 v29, v80, v6, 0
	v_dot4_i32_i8 v6, v20, v6, 0
	;; [unrolled: 1-line block ×15, first 2 shown]
	v_mul_lo_u32 v3, v7, v66
	v_dot4_i32_i8 v6, v18, v5, v2
	v_mul_lo_u32 v2, v72, v67
	v_mul_f32_e32 v71, v87, v71
	v_mad_u64_u32 v[3:4], s[16:17], v4, v67, v[3:4]
	v_fma_mix_f32 v30, v23, v30, -v71 op_sel_hi:[1,0,0]
	v_fmac_f32_e32 v43, v62, v30
	v_mad_u64_u32 v[4:5], s[16:17], v16, v66, v[2:3]
	v_cvt_f32_i32_e32 v5, v73
	v_cvt_f32_i32_e32 v3, v3
	;; [unrolled: 1-line block ×4, first 2 shown]
	v_mul_f32_e32 v5, v65, v5
	v_fma_mix_f32 v2, v17, v2, -v5 op_sel_hi:[1,0,0]
	v_mul_f32_e32 v4, v65, v4
	v_fma_mix_f32 v3, v17, v3, -v4 op_sel_hi:[1,0,0]
	v_fma_f32 v46, v61, v2, v46
	v_fmac_f32_e32 v45, v62, v3
	ds_read2_b32 v[61:62], v64 offset0:192 offset1:224
	ds_read_b128 v[6:9], v63 offset:6144
	ds_read_b128 v[2:5], v63 offset:6160
	v_add_u32_e32 v64, 4, v64
	s_waitcnt lgkmcnt(1)
	v_dot4_i32_i8 v16, v97, v6, 0
	v_dot4_i32_i8 v29, v100, v6, 0
	;; [unrolled: 1-line block ×8, first 2 shown]
	s_waitcnt lgkmcnt(0)
	v_dot4_i32_i8 v29, v91, v2, 0
	v_dot4_i32_i8 v16, v120, v2, v16
	;; [unrolled: 1-line block ×56, first 2 shown]
	ds_read_b128 v[6:9], v63 offset:7168
	ds_read_b128 v[2:5], v63 offset:7184
	v_add_u32_e32 v63, 32, v63
	s_waitcnt lgkmcnt(1)
	v_dot4_i32_i8 v74, v97, v6, 0
	v_dot4_i32_i8 v75, v100, v6, 0
	;; [unrolled: 1-line block ×8, first 2 shown]
	s_waitcnt lgkmcnt(0)
	v_dot4_i32_i8 v74, v91, v2, 0
	v_dot4_i32_i8 v28, v120, v2, v28
	;; [unrolled: 1-line block ×7, first 2 shown]
	v_mul_lo_u32 v74, v75, v99
	v_dot4_i32_i8 v78, v120, v5, v28
	v_mul_lo_u32 v28, v126, v104
                                        ; kill: def $vgpr75 killed $sgpr0 killed $exec
	v_mad_u64_u32 v[74:75], s[16:17], v76, v104, v[74:75]
	v_mad_u64_u32 v[75:76], s[16:17], v102, v99, v[28:29]
	v_cvt_f32_i32_e32 v76, v125
	v_cvt_f32_i32_e32 v74, v74
	;; [unrolled: 1-line block ×4, first 2 shown]
	v_mul_f32_e32 v76, v110, v76
	buffer_load_dword v125, off, s[20:23], 0 offset:24 ; 4-byte Folded Reload
	v_mul_f32_e32 v75, v110, v75
	v_fma_mix_f32 v74, v15, v74, -v75 op_sel_hi:[1,0,0]
	v_fma_mix_f32 v15, v15, v28, -v76 op_sel_hi:[1,0,0]
	v_fma_f32 v32, v61, v15, v32
	v_dot4_i32_i8 v15, v101, v6, 0
	v_dot4_i32_i8 v28, v106, v6, 0
	v_dot4_i32_i8 v15, v103, v7, v15
	v_dot4_i32_i8 v28, v106, v7, v28
	v_dot4_i32_i8 v15, v114, v8, v15
	v_dot4_i32_i8 v28, v106, v8, v28
	v_fmac_f32_e32 v31, v62, v74
	v_dot4_i32_i8 v74, v115, v9, v15
	v_dot4_i32_i8 v15, v106, v9, v28
	;; [unrolled: 1-line block ×9, first 2 shown]
	v_mul_lo_u32 v28, v74, v105
	v_dot4_i32_i8 v78, v108, v5, v15
	v_mul_lo_u32 v15, v92, v109
	v_mad_u64_u32 v[74:75], s[16:17], v75, v109, v[28:29]
	v_mad_u64_u32 v[75:76], s[16:17], v73, v105, v[15:16]
	v_cvt_f32_i32_e32 v28, v74
	v_cvt_f32_i32_e32 v73, v78
	;; [unrolled: 1-line block ×4, first 2 shown]
	v_mov_b32_e32 v76, v13
	v_mul_f32_e32 v73, v107, v73
	v_mul_f32_e32 v74, v107, v74
	v_fma_mix_f32 v28, v98, v28, -v73 op_sel_hi:[1,0,0]
	v_fma_mix_f32 v15, v98, v15, -v74 op_sel_hi:[1,0,0]
	v_fma_f32 v34, v61, v15, v34
	v_fmac_f32_e32 v33, v62, v28
	v_dot4_i32_i8 v15, v84, v6, 0
	v_dot4_i32_i8 v28, v86, v6, 0
	;; [unrolled: 1-line block ×15, first 2 shown]
	v_mul_lo_u32 v24, v25, v85
	v_dot4_i32_i8 v27, v88, v5, v15
	v_mul_lo_u32 v15, v72, v89
                                        ; kill: def $vgpr25 killed $sgpr0 killed $exec
	v_mov_b32_e32 v75, v111
	v_mad_u64_u32 v[24:25], s[16:17], v26, v89, v[24:25]
	v_mad_u64_u32 v[25:26], s[16:17], v29, v85, v[15:16]
	v_cvt_f32_i32_e32 v26, v30
	v_cvt_f32_i32_e32 v24, v24
	;; [unrolled: 1-line block ×4, first 2 shown]
	v_mul_f32_e32 v26, v87, v26
	v_mov_b32_e32 v30, v0
	v_fma_mix_f32 v15, v23, v15, -v26 op_sel_hi:[1,0,0]
	v_fma_f32 v36, v61, v15, v36
	v_dot4_i32_i8 v15, v80, v6, 0
	v_dot4_i32_i8 v6, v20, v6, 0
	;; [unrolled: 1-line block ×16, first 2 shown]
	v_mul_lo_u32 v5, v90, v67
	v_mul_f32_e32 v25, v87, v25
	v_mul_lo_u32 v2, v6, v66
                                        ; kill: def $vgpr6 killed $sgpr0 killed $exec
	v_fma_mix_f32 v24, v23, v24, -v25 op_sel_hi:[1,0,0]
	buffer_load_dword v23, off, s[20:23], 0 offset:4 ; 4-byte Folded Reload
	buffer_load_dword v22, off, s[20:23], 0 offset:8 ; 4-byte Folded Reload
	;; [unrolled: 1-line block ×4, first 2 shown]
	v_mad_u64_u32 v[5:6], s[16:17], v71, v66, v[5:6]
	buffer_load_dword v66, off, s[20:23], 0 offset:20 ; 4-byte Folded Reload
	buffer_load_dword v18, off, s[20:23], 0 ; 4-byte Folded Reload
	v_mad_u64_u32 v[2:3], s[16:17], v3, v67, v[2:3]
	v_cvt_f32_i32_e32 v3, v5
	v_cvt_f32_i32_e32 v4, v4
	;; [unrolled: 1-line block ×4, first 2 shown]
	s_add_i32 s16, s11, 2
	v_mul_f32_e32 v4, v65, v4
	v_mul_f32_e32 v5, v65, v5
	v_fma_mix_f32 v2, v17, v2, -v4 op_sel_hi:[1,0,0]
	v_fma_mix_f32 v3, v17, v3, -v5 op_sel_hi:[1,0,0]
	v_fmac_f32_e32 v35, v62, v24
	v_mov_b32_e32 v65, v12
	v_fma_f32 v38, v61, v3, v38
	v_fmac_f32_e32 v37, v62, v2
	s_cmp_lt_u32 s11, 22
	s_mov_b32 s11, s16
	s_cbranch_scc1 .LBB148_12
; %bb.13:                               ;   in Loop: Header=BB148_6 Depth=1
	s_waitcnt vmcnt(0)
	s_barrier
	buffer_load_dword v2, off, s[20:23], 0 offset:396 ; 4-byte Folded Reload
	s_waitcnt vmcnt(0)
	v_add_u32_e32 v4, s9, v2
	buffer_load_dword v2, off, s[20:23], 0 offset:32 ; 4-byte Folded Reload
	buffer_load_dword v5, off, s[20:23], 0 offset:64 ; 4-byte Folded Reload
	;; [unrolled: 1-line block ×3, first 2 shown]
	s_mov_b32 s9, 24
	s_waitcnt vmcnt(2)
	v_add_u32_e32 v2, v4, v2
	s_waitcnt vmcnt(0)
	v_mad_i64_i32 v[2:3], s[16:17], v2, 36, v[5:6]
	global_load_dword v2, v[2:3], off offset:4
	s_nop 0
	buffer_load_dword v3, off, s[20:23], 0 offset:112 ; 4-byte Folded Reload
	s_waitcnt vmcnt(0)
	ds_write_b32 v3, v2
	buffer_load_dword v2, off, s[20:23], 0 offset:36 ; 4-byte Folded Reload
	s_waitcnt vmcnt(0)
	v_add_u32_e32 v2, v4, v2
	v_mad_i64_i32 v[2:3], s[16:17], v2, 36, v[5:6]
	global_load_dword v2, v[2:3], off offset:4
	s_nop 0
	buffer_load_dword v3, off, s[20:23], 0 offset:80 ; 4-byte Folded Reload
	s_waitcnt vmcnt(0)
	ds_write_b32 v3, v2
	buffer_load_dword v2, off, s[20:23], 0 offset:40 ; 4-byte Folded Reload
	s_waitcnt vmcnt(0)
	v_add_u32_e32 v2, v4, v2
	;; [unrolled: 9-line block ×8, first 2 shown]
	v_mad_u64_u32 v[2:3], s[16:17], v2, 36, s[2:3]
	global_load_dword v2, v[2:3], off
	s_nop 0
	buffer_load_dword v3, off, s[20:23], 0 offset:28 ; 4-byte Folded Reload
	s_waitcnt vmcnt(1)
	v_cvt_f32_f16_e32 v2, v2
	s_waitcnt vmcnt(0)
	ds_write_b32 v3, v2
	s_waitcnt lgkmcnt(0)
	s_barrier
	buffer_load_dword v15, off, s[20:23], 0 offset:76 ; 4-byte Folded Reload
	buffer_load_dword v63, off, s[20:23], 0 offset:72 ; 4-byte Folded Reload
.LBB148_14:                             ;   Parent Loop BB148_6 Depth=1
                                        ; =>  This Inner Loop Header: Depth=2
	s_and_b32 s16, s9, 0x3ffffff8
	v_lshl_add_u32 v19, s16, 2, v113
	s_waitcnt vmcnt(0)
	ds_read2_b32 v[61:62], v63 offset1:32
	ds_read_b128 v[6:9], v15
	ds_read_b128 v[2:5], v15 offset:16
	ds_read2_b32 v[16:17], v19 offset1:1
	s_sub_i32 s17, s9, 24
	s_lshr_b32 s16, s9, 2
	s_and_b32 s16, s16, 0x3ffffffc
	s_addk_i32 s16, 0x7280
	s_waitcnt lgkmcnt(0)
	v_ashrrev_i32_e32 v16, s17, v16
	v_and_b32_e32 v97, 0x3030303, v16
	v_ashrrev_i32_e32 v16, s17, v17
	v_and_b32_e32 v89, 0x3030303, v16
	ds_read2_b32 v[16:17], v19 offset0:2 offset1:3
	s_and_b32 s11, s9, -16
	s_add_i32 s11, s9, s11
	v_add_u32_e32 v107, s11, v20
	v_add_u32_e32 v105, s11, v65
	s_waitcnt lgkmcnt(0)
	v_ashrrev_i32_e32 v16, s17, v16
	v_and_b32_e32 v83, 0x3030303, v16
	v_ashrrev_i32_e32 v16, s17, v17
	v_and_b32_e32 v84, 0x3030303, v16
	ds_read2_b32 v[16:17], v19 offset0:4 offset1:5
	v_add_u32_e32 v67, s11, v75
	s_waitcnt lgkmcnt(0)
	v_ashrrev_i32_e32 v16, s17, v16
	v_and_b32_e32 v85, 0x3030303, v16
	v_ashrrev_i32_e32 v16, s17, v17
	v_and_b32_e32 v86, 0x3030303, v16
	ds_read2_b32 v[16:17], v19 offset0:6 offset1:7
	s_waitcnt lgkmcnt(0)
	v_ashrrev_i32_e32 v16, s17, v16
	v_and_b32_e32 v87, 0x3030303, v16
	v_ashrrev_i32_e32 v16, s17, v17
	v_add3_u32 v17, s16, v14, v21
	ds_read_b32 v28, v17
	v_dot4_i32_i8 v17, v97, v6, 0
	v_dot4_i32_i8 v17, v89, v7, v17
	v_dot4_i32_i8 v17, v83, v8, v17
	v_dot4_i32_i8 v102, v84, v9, v17
	v_dot4_i32_i8 v17, v85, v2, 0
	v_dot4_i32_i8 v17, v86, v3, v17
	v_and_b32_e32 v88, 0x3030303, v16
	v_dot4_i32_i8 v17, v87, v4, v17
	v_dot4_i32_i8 v108, v88, v5, v17
	v_add_u32_e32 v17, 0x1080, v19
	v_add_u32_e32 v16, s11, v18
	ds_read2_b32 v[17:18], v17 offset1:1
	s_waitcnt lgkmcnt(1)
	v_cvt_f32_f16_sdwa v94, v28 dst_sel:DWORD dst_unused:UNUSED_PAD src0_sel:WORD_1
	s_add_i32 s11, s9, 2
	s_cmp_lt_u32 s9, 30
	s_mov_b32 s9, s11
	s_waitcnt lgkmcnt(0)
	v_ashrrev_i32_e32 v17, s17, v17
	v_and_b32_e32 v91, 0x3030303, v17
	v_ashrrev_i32_e32 v17, s17, v18
	v_and_b32_e32 v93, 0x3030303, v17
	v_add_u32_e32 v17, 0x1088, v19
	ds_read2_b32 v[17:18], v17 offset1:1
	s_waitcnt lgkmcnt(0)
	v_ashrrev_i32_e32 v17, s17, v17
	v_and_b32_e32 v95, 0x3030303, v17
	v_ashrrev_i32_e32 v17, s17, v18
	v_and_b32_e32 v96, 0x3030303, v17
	v_add_u32_e32 v17, 0x1090, v19
	ds_read2_b32 v[17:18], v17 offset1:1
	;; [unrolled: 7-line block ×3, first 2 shown]
	s_waitcnt lgkmcnt(0)
	v_ashrrev_i32_e32 v17, s17, v17
	v_and_b32_e32 v101, 0x3030303, v17
	v_ashrrev_i32_e32 v17, s17, v18
	v_and_b32_e32 v103, 0x3030303, v17
	v_add3_u32 v17, s16, v22, v23
	ds_read_b32 v78, v17
	v_dot4_i32_i8 v17, v91, v6, 0
	v_dot4_i32_i8 v17, v93, v7, v17
	;; [unrolled: 1-line block ×8, first 2 shown]
	v_add_u32_e32 v17, 0x2100, v19
	ds_read2_b32 v[17:18], v17 offset1:1
	s_waitcnt lgkmcnt(1)
	v_cvt_f32_f16_sdwa v100, v78 dst_sel:DWORD dst_unused:UNUSED_PAD src0_sel:WORD_1
	s_waitcnt lgkmcnt(0)
	v_ashrrev_i32_e32 v17, s17, v17
	v_and_b32_e32 v82, 0x3030303, v17
	v_ashrrev_i32_e32 v17, s17, v18
	v_and_b32_e32 v81, 0x3030303, v17
	v_add_u32_e32 v17, 0x2108, v19
	ds_read2_b32 v[17:18], v17 offset1:1
	s_waitcnt lgkmcnt(0)
	v_ashrrev_i32_e32 v17, s17, v17
	v_and_b32_e32 v24, 0x3030303, v17
	v_ashrrev_i32_e32 v17, s17, v18
	v_and_b32_e32 v25, 0x3030303, v17
	v_add_u32_e32 v17, 0x2110, v19
	ds_read2_b32 v[17:18], v17 offset1:1
	;; [unrolled: 7-line block ×3, first 2 shown]
	s_waitcnt lgkmcnt(0)
	v_ashrrev_i32_e32 v17, s17, v17
	v_and_b32_e32 v79, 0x3030303, v17
	v_ashrrev_i32_e32 v17, s17, v18
	v_and_b32_e32 v80, 0x3030303, v17
	v_add3_u32 v17, s16, v30, v66
	ds_read_b32 v23, v17
	v_dot4_i32_i8 v17, v82, v6, 0
	v_dot4_i32_i8 v17, v81, v7, v17
	;; [unrolled: 1-line block ×8, first 2 shown]
	v_add_u32_e32 v17, 0x3180, v19
	ds_read2_b32 v[17:18], v17 offset1:1
	s_waitcnt lgkmcnt(1)
	v_cvt_f32_f16_sdwa v77, v23 dst_sel:DWORD dst_unused:UNUSED_PAD src0_sel:WORD_1
	s_waitcnt lgkmcnt(0)
	v_ashrrev_i32_e32 v17, s17, v17
	v_and_b32_e32 v70, 0x3030303, v17
	v_ashrrev_i32_e32 v17, s17, v18
	v_and_b32_e32 v69, 0x3030303, v17
	v_add_u32_e32 v17, 0x3188, v19
	ds_read2_b32 v[17:18], v17 offset1:1
	s_waitcnt lgkmcnt(0)
	v_ashrrev_i32_e32 v17, s17, v17
	v_and_b32_e32 v22, 0x3030303, v17
	v_ashrrev_i32_e32 v17, s17, v18
	v_and_b32_e32 v21, 0x3030303, v17
	v_add_u32_e32 v17, 0x3190, v19
	ds_read2_b32 v[17:18], v17 offset1:1
	;; [unrolled: 7-line block ×3, first 2 shown]
	s_waitcnt lgkmcnt(0)
	v_ashrrev_i32_e32 v17, s17, v17
	v_and_b32_e32 v19, 0x3030303, v17
	v_ashrrev_i32_e32 v17, s17, v18
	v_and_b32_e32 v18, 0x3030303, v17
	v_add3_u32 v17, s16, v76, v125
	ds_read_b32 v64, v17
	ds_read_b128 v[72:75], v15 offset:1024
	ds_read_b128 v[116:119], v15 offset:1040
	ds_read_u16 v67, v67 offset:28144
	v_dot4_i32_i8 v17, v70, v6, 0
	v_dot4_i32_i8 v17, v69, v7, v17
	s_waitcnt lgkmcnt(2)
	v_dot4_i32_i8 v29, v97, v72, 0
	v_dot4_i32_i8 v29, v89, v73, v29
	;; [unrolled: 1-line block ×4, first 2 shown]
	s_waitcnt lgkmcnt(1)
	v_dot4_i32_i8 v29, v85, v116, 0
	v_dot4_i32_i8 v29, v86, v117, v29
	;; [unrolled: 1-line block ×4, first 2 shown]
	ds_read_u16 v29, v16 offset:25072
	v_dot4_i32_i8 v17, v22, v8, v17
	v_dot4_i32_i8 v115, v21, v9, v17
	;; [unrolled: 1-line block ×4, first 2 shown]
	s_waitcnt lgkmcnt(0)
	v_bfe_u32 v16, v29, 4, 4
	v_mul_lo_u32 v90, v16, s8
	v_and_b32_sdwa v92, v29, v112 dst_sel:DWORD dst_unused:UNUSED_PAD src0_sel:BYTE_1 src1_sel:DWORD
	v_and_b32_e32 v92, 0xffff, v92
	v_dot4_i32_i8 v17, v19, v4, v17
	v_dot4_i32_i8 v16, v90, v6, 0
	;; [unrolled: 1-line block ×5, first 2 shown]
	v_lshrrev_b32_sdwa v16, v1, v29 dst_sel:DWORD dst_unused:UNUSED_PAD src0_sel:DWORD src1_sel:BYTE_1
	v_mul_lo_u32 v16, v16, s8
	v_and_b32_e32 v29, 15, v29
	v_dot4_i32_i8 v120, v18, v5, v17
	v_cvt_f32_f16_sdwa v17, v64 dst_sel:DWORD dst_unused:UNUSED_PAD src0_sel:WORD_1
	v_dot4_i32_i8 v71, v16, v2, v71
	v_dot4_i32_i8 v71, v16, v3, v71
	;; [unrolled: 1-line block ×4, first 2 shown]
	v_and_b32_e32 v71, 0xffff, v29
	v_dot4_i32_i8 v29, v90, v72, 0
	v_dot4_i32_i8 v29, v90, v73, v29
	;; [unrolled: 1-line block ×4, first 2 shown]
	v_mul_lo_u32 v30, v30, v71
	v_mul_lo_u32 v29, v108, v92
	v_dot4_i32_i8 v108, v16, v116, v109
	v_dot4_i32_i8 v108, v16, v117, v108
	;; [unrolled: 1-line block ×4, first 2 shown]
	v_mad_u64_u32 v[108:109], s[16:17], v76, v92, v[30:31]
                                        ; kill: def $vgpr30 killed $sgpr0 killed $exec
	v_cvt_f32_i32_e32 v76, v114
	v_mad_u64_u32 v[29:30], s[16:17], v102, v71, v[29:30]
	v_cvt_f32_i32_e32 v102, v110
	v_cvt_f32_i32_e32 v30, v108
	v_cvt_f32_i32_e32 v29, v29
	v_mul_f32_e32 v76, v94, v76
	v_mul_f32_e32 v102, v94, v102
	v_fma_mix_f32 v30, v28, v30, -v76 op_sel_hi:[1,0,0]
	v_fma_mix_f32 v29, v28, v29, -v102 op_sel_hi:[1,0,0]
	v_fma_f32 v11, v61, v29, v11
	v_dot4_i32_i8 v29, v91, v72, 0
	v_dot4_i32_i8 v29, v93, v73, v29
	;; [unrolled: 1-line block ×3, first 2 shown]
	v_fmac_f32_e32 v10, v62, v30
	v_dot4_i32_i8 v30, v96, v75, v29
	v_dot4_i32_i8 v29, v98, v116, 0
	;; [unrolled: 1-line block ×5, first 2 shown]
	ds_read_u16 v29, v107 offset:26096
	s_waitcnt lgkmcnt(0)
	v_bfe_u32 v102, v29, 4, 4
	v_mul_lo_u32 v110, v102, s8
	v_dot4_i32_i8 v102, v110, v6, 0
	v_dot4_i32_i8 v102, v110, v7, v102
	;; [unrolled: 1-line block ×4, first 2 shown]
	v_lshrrev_b32_sdwa v102, v1, v29 dst_sel:DWORD dst_unused:UNUSED_PAD src0_sel:DWORD src1_sel:BYTE_1
	v_mul_lo_u32 v102, v102, s8
	v_dot4_i32_i8 v107, v102, v2, v107
	v_dot4_i32_i8 v107, v102, v3, v107
	;; [unrolled: 1-line block ×4, first 2 shown]
	v_and_b32_sdwa v107, v29, v112 dst_sel:DWORD dst_unused:UNUSED_PAD src0_sel:BYTE_1 src1_sel:DWORD
	v_and_b32_e32 v29, 15, v29
	v_and_b32_e32 v109, 0xffff, v29
	v_dot4_i32_i8 v29, v110, v72, 0
	v_dot4_i32_i8 v29, v110, v73, v29
	;; [unrolled: 1-line block ×3, first 2 shown]
	v_and_b32_e32 v114, 0xffff, v107
	v_dot4_i32_i8 v107, v110, v75, v29
	v_mul_lo_u32 v30, v30, v109
	v_mul_lo_u32 v29, v106, v114
	v_dot4_i32_i8 v106, v102, v116, v107
	v_dot4_i32_i8 v106, v102, v117, v106
	;; [unrolled: 1-line block ×4, first 2 shown]
	v_mad_u64_u32 v[106:107], s[16:17], v76, v114, v[30:31]
                                        ; kill: def $vgpr30 killed $sgpr0 killed $exec
	v_cvt_f32_i32_e32 v76, v108
	v_mad_u64_u32 v[29:30], s[16:17], v68, v109, v[29:30]
	v_cvt_f32_i32_e32 v68, v121
	v_cvt_f32_i32_e32 v30, v106
	;; [unrolled: 1-line block ×3, first 2 shown]
	v_mul_f32_e32 v76, v100, v76
	v_mul_f32_e32 v68, v100, v68
	v_fma_mix_f32 v30, v78, v30, -v68 op_sel_hi:[1,0,0]
	v_fma_mix_f32 v29, v78, v29, -v76 op_sel_hi:[1,0,0]
	v_fma_f32 v56, v61, v29, v56
	v_dot4_i32_i8 v29, v82, v72, 0
	v_dot4_i32_i8 v29, v81, v73, v29
	;; [unrolled: 1-line block ×3, first 2 shown]
	v_fmac_f32_e32 v55, v62, v30
	v_dot4_i32_i8 v30, v25, v75, v29
	v_dot4_i32_i8 v29, v26, v116, 0
	;; [unrolled: 1-line block ×5, first 2 shown]
	ds_read_u16 v29, v105 offset:27120
	s_waitcnt lgkmcnt(0)
	v_bfe_u32 v76, v29, 4, 4
	v_mul_lo_u32 v107, v76, s8
	v_lshrrev_b32_sdwa v105, v1, v29 dst_sel:DWORD dst_unused:UNUSED_PAD src0_sel:DWORD src1_sel:BYTE_1
	v_and_b32_sdwa v108, v29, v112 dst_sel:DWORD dst_unused:UNUSED_PAD src0_sel:BYTE_1 src1_sel:DWORD
	v_and_b32_e32 v29, 15, v29
	v_and_b32_e32 v106, 0xffff, v29
	v_dot4_i32_i8 v29, v107, v72, 0
	v_dot4_i32_i8 v29, v107, v73, v29
	;; [unrolled: 1-line block ×3, first 2 shown]
	v_mul_lo_u32 v105, v105, s8
	v_and_b32_e32 v108, 0xffff, v108
	v_dot4_i32_i8 v29, v107, v74, v29
	v_mul_lo_u32 v30, v30, v106
	v_dot4_i32_i8 v76, v107, v7, v76
	v_dot4_i32_i8 v121, v107, v75, v29
	v_mul_lo_u32 v29, v104, v108
	v_dot4_i32_i8 v76, v107, v8, v76
	v_dot4_i32_i8 v76, v107, v9, v76
	;; [unrolled: 1-line block ×4, first 2 shown]
	v_mad_u64_u32 v[121:122], s[16:17], v68, v108, v[30:31]
                                        ; kill: def $vgpr30 killed $sgpr0 killed $exec
	v_dot4_i32_i8 v76, v105, v3, v76
	v_mad_u64_u32 v[29:30], s[16:17], v20, v106, v[29:30]
	v_dot4_i32_i8 v76, v105, v4, v76
	v_dot4_i32_i8 v76, v105, v5, v76
	;; [unrolled: 1-line block ×3, first 2 shown]
	v_cvt_f32_i32_e32 v68, v76
	v_dot4_i32_i8 v104, v105, v118, v104
	v_cvt_f32_i32_e32 v20, v29
	v_dot4_i32_i8 v104, v105, v119, v104
	v_cvt_f32_i32_e32 v30, v104
	v_cvt_f32_i32_e32 v29, v121
	v_mul_f32_e32 v68, v77, v68
	v_fma_mix_f32 v20, v23, v20, -v68 op_sel_hi:[1,0,0]
	v_fma_f32 v58, v61, v20, v58
	v_dot4_i32_i8 v20, v70, v72, 0
	v_mul_f32_e32 v30, v77, v30
	v_dot4_i32_i8 v20, v69, v73, v20
	v_fma_mix_f32 v29, v23, v29, -v30 op_sel_hi:[1,0,0]
	v_dot4_i32_i8 v20, v22, v74, v20
	v_fmac_f32_e32 v57, v62, v29
	v_dot4_i32_i8 v29, v21, v75, v20
	v_dot4_i32_i8 v20, v66, v116, 0
	;; [unrolled: 1-line block ×5, first 2 shown]
	v_bfe_u32 v20, v67, 4, 4
	v_mul_lo_u32 v104, v20, s8
	v_dot4_i32_i8 v6, v104, v6, 0
	v_dot4_i32_i8 v6, v104, v7, v6
	v_lshrrev_b32_sdwa v7, v1, v67 dst_sel:DWORD dst_unused:UNUSED_PAD src0_sel:DWORD src1_sel:BYTE_1
	v_mul_lo_u32 v20, v7, s8
	v_dot4_i32_i8 v6, v104, v8, v6
	v_dot4_i32_i8 v6, v104, v9, v6
	v_mov_b32_e32 v1, 4
	v_dot4_i32_i8 v2, v20, v2, v6
	v_dot4_i32_i8 v2, v20, v3, v2
	;; [unrolled: 1-line block ×4, first 2 shown]
	v_and_b32_sdwa v2, v67, v112 dst_sel:DWORD dst_unused:UNUSED_PAD src0_sel:BYTE_1 src1_sel:DWORD
	v_and_b32_e32 v68, 0xffff, v2
	v_dot4_i32_i8 v2, v104, v72, 0
	v_dot4_i32_i8 v2, v104, v73, v2
	v_and_b32_e32 v3, 15, v67
	v_dot4_i32_i8 v2, v104, v74, v2
	v_and_b32_e32 v67, 0xffff, v3
	v_dot4_i32_i8 v4, v104, v75, v2
	v_mul_lo_u32 v3, v29, v67
	v_dot4_i32_i8 v4, v20, v116, v4
	v_dot4_i32_i8 v4, v20, v117, v4
	;; [unrolled: 1-line block ×4, first 2 shown]
                                        ; kill: def $vgpr4 killed $sgpr0 killed $exec
	v_mul_lo_u32 v2, v120, v68
	v_mad_u64_u32 v[3:4], s[16:17], v30, v68, v[3:4]
	v_mov_b32_e32 v112, 15
	v_mad_u64_u32 v[4:5], s[16:17], v115, v67, v[2:3]
	v_cvt_f32_i32_e32 v5, v6
	v_cvt_f32_i32_e32 v3, v3
	;; [unrolled: 1-line block ×4, first 2 shown]
	v_mul_f32_e32 v5, v17, v5
	v_fma_mix_f32 v2, v64, v2, -v5 op_sel_hi:[1,0,0]
	v_mul_f32_e32 v4, v17, v4
	v_fma_mix_f32 v3, v64, v3, -v4 op_sel_hi:[1,0,0]
	v_fma_f32 v60, v61, v2, v60
	v_fmac_f32_e32 v59, v62, v3
	ds_read2_b32 v[61:62], v63 offset0:64 offset1:96
	ds_read_b128 v[6:9], v15 offset:2048
	ds_read_b128 v[2:5], v15 offset:2064
	s_waitcnt lgkmcnt(1)
	v_dot4_i32_i8 v29, v97, v6, 0
	v_dot4_i32_i8 v30, v90, v6, 0
	;; [unrolled: 1-line block ×8, first 2 shown]
	s_waitcnt lgkmcnt(0)
	v_dot4_i32_i8 v30, v85, v2, 0
	v_dot4_i32_i8 v29, v16, v2, v29
	;; [unrolled: 1-line block ×56, first 2 shown]
	ds_read_b128 v[6:9], v15 offset:3072
	ds_read_b128 v[2:5], v15 offset:3088
	v_mul_lo_u32 v29, v29, v92
	v_cvt_f32_i32_e32 v72, v72
	s_waitcnt lgkmcnt(1)
	v_dot4_i32_i8 v30, v97, v6, 0
	v_dot4_i32_i8 v74, v90, v6, 0
	;; [unrolled: 1-line block ×8, first 2 shown]
	s_waitcnt lgkmcnt(0)
	v_dot4_i32_i8 v75, v85, v2, 0
	v_mul_lo_u32 v30, v30, v71
	v_dot4_i32_i8 v74, v16, v2, v74
	v_dot4_i32_i8 v75, v86, v3, v75
	;; [unrolled: 1-line block ×7, first 2 shown]
	v_mad_u64_u32 v[74:75], s[16:17], v75, v92, v[30:31]
                                        ; kill: def $vgpr30 killed $sgpr0 killed $exec
	v_mul_f32_e32 v72, v94, v72
	v_mad_u64_u32 v[29:30], s[16:17], v73, v71, v[29:30]
	v_cvt_f32_i32_e32 v73, v76
	v_cvt_f32_i32_e32 v30, v74
	;; [unrolled: 1-line block ×3, first 2 shown]
	v_mul_f32_e32 v73, v94, v73
	v_fma_mix_f32 v30, v28, v30, -v73 op_sel_hi:[1,0,0]
	v_fma_mix_f32 v29, v28, v29, -v72 op_sel_hi:[1,0,0]
	v_fma_f32 v48, v61, v29, v48
	v_fmac_f32_e32 v47, v62, v30
	v_dot4_i32_i8 v29, v91, v6, 0
	v_dot4_i32_i8 v30, v110, v6, 0
	;; [unrolled: 1-line block ×15, first 2 shown]
	v_mul_lo_u32 v30, v72, v109
	v_dot4_i32_i8 v74, v102, v5, v29
	v_mul_lo_u32 v29, v127, v114
	v_mad_u64_u32 v[72:73], s[16:17], v73, v114, v[30:31]
                                        ; kill: def $vgpr30 killed $sgpr0 killed $exec
	v_cvt_f32_i32_e32 v73, v125
	v_mad_u64_u32 v[29:30], s[16:17], v123, v109, v[29:30]
	v_cvt_f32_i32_e32 v30, v72
	v_cvt_f32_i32_e32 v72, v74
	;; [unrolled: 1-line block ×3, first 2 shown]
	v_mul_f32_e32 v73, v100, v73
	v_mul_f32_e32 v72, v100, v72
	v_fma_mix_f32 v30, v78, v30, -v72 op_sel_hi:[1,0,0]
	v_fma_mix_f32 v29, v78, v29, -v73 op_sel_hi:[1,0,0]
	v_fma_f32 v50, v61, v29, v50
	v_fmac_f32_e32 v49, v62, v30
	v_dot4_i32_i8 v29, v82, v6, 0
	v_dot4_i32_i8 v30, v107, v6, 0
	;; [unrolled: 1-line block ×15, first 2 shown]
	v_mul_lo_u32 v30, v72, v106
	v_dot4_i32_i8 v74, v105, v5, v29
	v_mul_lo_u32 v29, v121, v108
	v_mad_u64_u32 v[72:73], s[16:17], v73, v108, v[30:31]
                                        ; kill: def $vgpr30 killed $sgpr0 killed $exec
	v_cvt_f32_i32_e32 v73, v120
	v_mad_u64_u32 v[29:30], s[16:17], v115, v106, v[29:30]
	v_cvt_f32_i32_e32 v30, v72
	v_mul_f32_e32 v73, v77, v73
	v_cvt_f32_i32_e32 v29, v29
	v_cvt_f32_i32_e32 v72, v74
	v_fma_mix_f32 v29, v23, v29, -v73 op_sel_hi:[1,0,0]
	v_fma_f32 v52, v61, v29, v52
	v_dot4_i32_i8 v29, v70, v6, 0
	v_dot4_i32_i8 v6, v104, v6, 0
	;; [unrolled: 1-line block ×15, first 2 shown]
	v_mul_lo_u32 v3, v7, v67
	v_dot4_i32_i8 v6, v20, v5, v2
	v_mul_lo_u32 v2, v126, v68
	v_mul_f32_e32 v72, v77, v72
	v_mad_u64_u32 v[3:4], s[16:17], v4, v68, v[3:4]
	v_fma_mix_f32 v30, v23, v30, -v72 op_sel_hi:[1,0,0]
	v_fmac_f32_e32 v51, v62, v30
	v_mad_u64_u32 v[4:5], s[16:17], v122, v67, v[2:3]
	v_cvt_f32_i32_e32 v5, v124
	v_cvt_f32_i32_e32 v3, v3
	;; [unrolled: 1-line block ×4, first 2 shown]
	v_mul_f32_e32 v5, v17, v5
	v_fma_mix_f32 v2, v64, v2, -v5 op_sel_hi:[1,0,0]
	v_mul_f32_e32 v4, v17, v4
	v_fma_mix_f32 v3, v64, v3, -v4 op_sel_hi:[1,0,0]
	v_fma_f32 v54, v61, v2, v54
	v_fmac_f32_e32 v53, v62, v3
	ds_read2_b32 v[61:62], v63 offset0:128 offset1:160
	ds_read_b128 v[6:9], v15 offset:4096
	ds_read_b128 v[2:5], v15 offset:4112
	s_waitcnt lgkmcnt(1)
	v_dot4_i32_i8 v29, v97, v6, 0
	s_waitcnt lgkmcnt(0)
	v_dot4_i32_i8 v72, v98, v2, 0
	v_dot4_i32_i8 v72, v99, v3, v72
	;; [unrolled: 1-line block ×63, first 2 shown]
	ds_read_b128 v[6:9], v15 offset:5120
	ds_read_b128 v[2:5], v15 offset:5136
	v_cvt_f32_i32_e32 v30, v30
	s_waitcnt lgkmcnt(1)
	v_dot4_i32_i8 v74, v97, v6, 0
	v_dot4_i32_i8 v75, v90, v6, 0
	;; [unrolled: 1-line block ×8, first 2 shown]
	s_waitcnt lgkmcnt(0)
	v_dot4_i32_i8 v75, v85, v2, 0
	v_dot4_i32_i8 v75, v86, v3, v75
	v_dot4_i32_i8 v75, v87, v4, v75
	v_dot4_i32_i8 v116, v88, v5, v75
	v_mul_lo_u32 v75, v76, v71
	v_dot4_i32_i8 v74, v16, v2, v74
	v_dot4_i32_i8 v74, v16, v3, v74
	;; [unrolled: 1-line block ×3, first 2 shown]
                                        ; kill: def $vgpr76 killed $sgpr0 killed $exec
	v_dot4_i32_i8 v118, v16, v5, v74
	v_mul_lo_u32 v74, v126, v92
	v_mad_u64_u32 v[75:76], s[16:17], v116, v92, v[75:76]
	v_cvt_f32_i32_e32 v76, v118
	v_mul_f32_e32 v30, v100, v30
	v_mad_u64_u32 v[116:117], s[16:17], v124, v71, v[74:75]
	v_cvt_f32_i32_e32 v75, v75
	v_mul_f32_e32 v76, v94, v76
	v_cvt_f32_i32_e32 v74, v116
	v_cvt_f32_i32_e32 v116, v125
	v_fma_mix_f32 v75, v28, v75, -v76 op_sel_hi:[1,0,0]
	v_fmac_f32_e32 v39, v62, v75
	v_dot4_i32_i8 v75, v110, v6, 0
	v_mul_f32_e32 v116, v94, v116
	v_fma_mix_f32 v74, v28, v74, -v116 op_sel_hi:[1,0,0]
	v_fma_f32 v40, v61, v74, v40
	v_dot4_i32_i8 v74, v91, v6, 0
	v_dot4_i32_i8 v74, v93, v7, v74
	;; [unrolled: 1-line block ×11, first 2 shown]
	v_mul_lo_u32 v75, v76, v109
	v_dot4_i32_i8 v74, v102, v2, v74
	v_dot4_i32_i8 v74, v102, v3, v74
	;; [unrolled: 1-line block ×3, first 2 shown]
                                        ; kill: def $vgpr76 killed $sgpr0 killed $exec
	v_dot4_i32_i8 v118, v102, v5, v74
	v_mul_lo_u32 v74, v123, v114
	v_mad_u64_u32 v[75:76], s[16:17], v116, v114, v[75:76]
	v_mad_u64_u32 v[116:117], s[16:17], v29, v109, v[74:75]
	v_cvt_f32_i32_e32 v74, v75
	v_cvt_f32_i32_e32 v75, v118
	;; [unrolled: 1-line block ×3, first 2 shown]
	v_mul_f32_e32 v75, v100, v75
	v_fma_mix_f32 v29, v78, v29, -v30 op_sel_hi:[1,0,0]
	v_fma_f32 v42, v61, v29, v42
	v_dot4_i32_i8 v29, v82, v6, 0
	v_dot4_i32_i8 v30, v107, v6, 0
	;; [unrolled: 1-line block ×4, first 2 shown]
	v_fma_mix_f32 v74, v78, v74, -v75 op_sel_hi:[1,0,0]
	v_dot4_i32_i8 v29, v24, v8, v29
	v_dot4_i32_i8 v30, v107, v8, v30
	v_fmac_f32_e32 v41, v62, v74
	v_dot4_i32_i8 v74, v25, v9, v29
	v_dot4_i32_i8 v29, v107, v9, v30
	;; [unrolled: 1-line block ×9, first 2 shown]
	v_mul_lo_u32 v30, v74, v106
	v_dot4_i32_i8 v76, v105, v5, v29
	v_mul_lo_u32 v29, v122, v108
	v_mad_u64_u32 v[74:75], s[16:17], v75, v108, v[30:31]
                                        ; kill: def $vgpr30 killed $sgpr0 killed $exec
	v_cvt_f32_i32_e32 v75, v121
	v_mad_u64_u32 v[29:30], s[16:17], v120, v106, v[29:30]
	v_cvt_f32_i32_e32 v30, v74
	v_mul_f32_e32 v75, v77, v75
	v_cvt_f32_i32_e32 v29, v29
	v_cvt_f32_i32_e32 v74, v76
	v_fma_mix_f32 v29, v23, v29, -v75 op_sel_hi:[1,0,0]
	v_fma_f32 v44, v61, v29, v44
	v_dot4_i32_i8 v29, v70, v6, 0
	v_dot4_i32_i8 v6, v104, v6, 0
	;; [unrolled: 1-line block ×15, first 2 shown]
	v_mul_lo_u32 v3, v7, v67
	v_dot4_i32_i8 v6, v20, v5, v2
	v_mul_lo_u32 v2, v72, v68
	v_mul_f32_e32 v74, v77, v74
	v_mad_u64_u32 v[3:4], s[16:17], v4, v68, v[3:4]
	v_fma_mix_f32 v30, v23, v30, -v74 op_sel_hi:[1,0,0]
	v_fmac_f32_e32 v43, v62, v30
	v_mad_u64_u32 v[4:5], s[16:17], v115, v67, v[2:3]
	v_cvt_f32_i32_e32 v5, v73
	v_cvt_f32_i32_e32 v3, v3
	;; [unrolled: 1-line block ×4, first 2 shown]
	v_mul_f32_e32 v5, v17, v5
	v_fma_mix_f32 v2, v64, v2, -v5 op_sel_hi:[1,0,0]
	v_mul_f32_e32 v4, v17, v4
	v_fma_mix_f32 v3, v64, v3, -v4 op_sel_hi:[1,0,0]
	v_fma_f32 v46, v61, v2, v46
	v_fmac_f32_e32 v45, v62, v3
	ds_read2_b32 v[61:62], v63 offset0:192 offset1:224
	ds_read_b128 v[6:9], v15 offset:6144
	ds_read_b128 v[2:5], v15 offset:6160
	v_add_u32_e32 v63, 4, v63
	s_waitcnt lgkmcnt(1)
	v_dot4_i32_i8 v29, v97, v6, 0
	v_dot4_i32_i8 v30, v90, v6, 0
	;; [unrolled: 1-line block ×8, first 2 shown]
	s_waitcnt lgkmcnt(0)
	v_dot4_i32_i8 v30, v85, v2, 0
	v_dot4_i32_i8 v29, v16, v2, v29
	;; [unrolled: 1-line block ×56, first 2 shown]
	ds_read_b128 v[6:9], v15 offset:7168
	ds_read_b128 v[2:5], v15 offset:7184
	v_add_u32_e32 v15, 32, v15
	s_waitcnt lgkmcnt(1)
	v_dot4_i32_i8 v75, v90, v6, 0
	v_dot4_i32_i8 v75, v90, v7, v75
	;; [unrolled: 1-line block ×7, first 2 shown]
	s_waitcnt lgkmcnt(0)
	v_dot4_i32_i8 v75, v16, v2, v75
	v_dot4_i32_i8 v74, v84, v9, v74
	v_dot4_i32_i8 v75, v16, v3, v75
	v_dot4_i32_i8 v76, v85, v2, 0
	v_dot4_i32_i8 v75, v16, v4, v75
	v_mul_lo_u32 v74, v74, v71
	v_dot4_i32_i8 v76, v86, v3, v76
	v_dot4_i32_i8 v83, v16, v5, v75
	v_mul_lo_u32 v16, v126, v92
	v_dot4_i32_i8 v76, v87, v4, v76
	v_dot4_i32_i8 v76, v88, v5, v76
                                        ; kill: def $vgpr75 killed $sgpr0 killed $exec
	v_mad_u64_u32 v[74:75], s[16:17], v76, v92, v[74:75]
	v_mad_u64_u32 v[75:76], s[16:17], v124, v71, v[16:17]
	v_cvt_f32_i32_e32 v71, v74
	v_cvt_f32_i32_e32 v74, v83
	;; [unrolled: 1-line block ×4, first 2 shown]
	buffer_load_dword v125, off, s[20:23], 0 offset:24 ; 4-byte Folded Reload
	v_mul_f32_e32 v74, v94, v74
	v_fma_mix_f32 v71, v28, v71, -v74 op_sel_hi:[1,0,0]
	v_mul_f32_e32 v75, v94, v75
	v_fma_mix_f32 v16, v28, v16, -v75 op_sel_hi:[1,0,0]
	v_fma_f32 v32, v61, v16, v32
	v_dot4_i32_i8 v16, v91, v6, 0
	v_dot4_i32_i8 v28, v110, v6, 0
	;; [unrolled: 1-line block ×6, first 2 shown]
	v_fmac_f32_e32 v31, v62, v71
	v_dot4_i32_i8 v71, v96, v9, v16
	v_dot4_i32_i8 v16, v110, v9, v28
	v_dot4_i32_i8 v28, v98, v2, 0
	v_dot4_i32_i8 v16, v102, v2, v16
	v_dot4_i32_i8 v28, v99, v3, v28
	v_dot4_i32_i8 v16, v102, v3, v16
	v_dot4_i32_i8 v28, v101, v4, v28
	v_dot4_i32_i8 v16, v102, v4, v16
	v_dot4_i32_i8 v74, v103, v5, v28
	v_mul_lo_u32 v28, v71, v109
	v_dot4_i32_i8 v83, v102, v5, v16
	v_mul_lo_u32 v16, v123, v114
	v_cvt_f32_i32_e32 v71, v83
	v_mad_u64_u32 v[74:75], s[16:17], v74, v114, v[28:29]
	v_mad_u64_u32 v[75:76], s[16:17], v73, v109, v[16:17]
	v_cvt_f32_i32_e32 v73, v122
	v_cvt_f32_i32_e32 v28, v74
	;; [unrolled: 1-line block ×3, first 2 shown]
	v_mul_f32_e32 v71, v100, v71
	v_mul_f32_e32 v73, v100, v73
	v_fma_mix_f32 v28, v78, v28, -v71 op_sel_hi:[1,0,0]
	v_fma_mix_f32 v16, v78, v16, -v73 op_sel_hi:[1,0,0]
	v_fma_f32 v34, v61, v16, v34
	v_fmac_f32_e32 v33, v62, v28
	v_dot4_i32_i8 v16, v82, v6, 0
	v_dot4_i32_i8 v28, v107, v6, 0
	;; [unrolled: 1-line block ×15, first 2 shown]
	v_mul_lo_u32 v24, v25, v106
	v_dot4_i32_i8 v27, v105, v5, v16
	v_mul_lo_u32 v16, v72, v108
                                        ; kill: def $vgpr25 killed $sgpr0 killed $exec
	v_mov_b32_e32 v76, v13
	v_mad_u64_u32 v[24:25], s[16:17], v26, v108, v[24:25]
	v_mad_u64_u32 v[25:26], s[16:17], v29, v106, v[16:17]
	v_cvt_f32_i32_e32 v26, v30
	v_cvt_f32_i32_e32 v24, v24
	;; [unrolled: 1-line block ×4, first 2 shown]
	v_mul_f32_e32 v26, v77, v26
	v_mov_b32_e32 v75, v111
	v_fma_mix_f32 v16, v23, v16, -v26 op_sel_hi:[1,0,0]
	v_fma_f32 v36, v61, v16, v36
	v_dot4_i32_i8 v16, v70, v6, 0
	v_dot4_i32_i8 v6, v104, v6, 0
	;; [unrolled: 1-line block ×12, first 2 shown]
	v_mul_f32_e32 v25, v77, v25
	v_dot4_i32_i8 v3, v19, v4, v7
	v_dot4_i32_i8 v2, v20, v4, v2
	v_fma_mix_f32 v24, v23, v24, -v25 op_sel_hi:[1,0,0]
	buffer_load_dword v23, off, s[20:23], 0 offset:4 ; 4-byte Folded Reload
	buffer_load_dword v22, off, s[20:23], 0 offset:8 ; 4-byte Folded Reload
	;; [unrolled: 1-line block ×4, first 2 shown]
	v_dot4_i32_i8 v3, v18, v5, v3
	v_dot4_i32_i8 v4, v20, v5, v2
	buffer_load_dword v20, off, s[20:23], 0 offset:16 ; 4-byte Folded Reload
	buffer_load_dword v18, off, s[20:23], 0 ; 4-byte Folded Reload
	v_mul_lo_u32 v5, v121, v68
	v_mul_lo_u32 v2, v6, v67
                                        ; kill: def $vgpr6 killed $sgpr0 killed $exec
	v_cvt_f32_i32_e32 v4, v4
	v_mov_b32_e32 v30, v0
	v_mad_u64_u32 v[5:6], s[16:17], v120, v67, v[5:6]
	v_mad_u64_u32 v[2:3], s[16:17], v3, v68, v[2:3]
	v_cvt_f32_i32_e32 v3, v5
	v_cvt_f32_i32_e32 v5, v115
	v_cvt_f32_i32_e32 v2, v2
	v_mul_f32_e32 v4, v17, v4
	v_fmac_f32_e32 v35, v62, v24
	v_mul_f32_e32 v5, v17, v5
	v_fma_mix_f32 v2, v64, v2, -v4 op_sel_hi:[1,0,0]
	v_fma_mix_f32 v3, v64, v3, -v5 op_sel_hi:[1,0,0]
	v_mov_b32_e32 v65, v12
	v_fma_f32 v38, v61, v3, v38
	v_fmac_f32_e32 v37, v62, v2
	s_cbranch_scc1 .LBB148_14
; %bb.15:                               ;   in Loop: Header=BB148_6 Depth=1
	v_mov_b32_e32 v19, v113
	s_waitcnt vmcnt(0)
	s_barrier
	s_branch .LBB148_5
.LBB148_16:
	v_cvt_f16_f32_e32 v2, v56
	v_cvt_f16_f32_e32 v3, v55
	;; [unrolled: 1-line block ×6, first 2 shown]
	v_pack_b32_f16 v18, v3, v2
	v_pack_b32_f16 v17, v5, v4
	v_cvt_f16_f32_e32 v2, v50
	v_cvt_f16_f32_e32 v3, v49
	;; [unrolled: 1-line block ×4, first 2 shown]
	v_pack_b32_f16 v19, v1, v0
	v_cvt_f16_f32_e32 v0, v48
	v_cvt_f16_f32_e32 v1, v47
	v_pack_b32_f16 v14, v3, v2
	v_pack_b32_f16 v13, v5, v4
	v_cvt_f16_f32_e32 v2, v42
	v_cvt_f16_f32_e32 v3, v41
	;; [unrolled: 1-line block ×4, first 2 shown]
	v_pack_b32_f16 v15, v1, v0
	v_cvt_f16_f32_e32 v0, v40
	v_cvt_f16_f32_e32 v1, v39
	v_pack_b32_f16 v10, v3, v2
	v_pack_b32_f16 v9, v5, v4
	v_cvt_f16_f32_e32 v2, v34
	v_cvt_f16_f32_e32 v4, v33
	v_pack_b32_f16 v11, v1, v0
	v_cvt_f16_f32_e32 v0, v32
	v_cvt_f16_f32_e32 v6, v60
	v_pack_b32_f16 v2, v4, v2
	buffer_load_dword v4, off, s[20:23], 0 offset:408 ; 4-byte Folded Reload
	buffer_load_dword v32, off, s[20:23], 0 offset:400 ; 4-byte Folded Reload
	;; [unrolled: 1-line block ×3, first 2 shown]
	v_cvt_f16_f32_e32 v7, v59
	v_cvt_f16_f32_e32 v1, v31
	;; [unrolled: 1-line block ×4, first 2 shown]
	v_pack_b32_f16 v16, v7, v6
	v_cvt_f16_f32_e32 v6, v54
	v_cvt_f16_f32_e32 v7, v53
	v_pack_b32_f16 v3, v1, v0
	v_pack_b32_f16 v12, v7, v6
	v_cvt_f16_f32_e32 v6, v46
	v_cvt_f16_f32_e32 v7, v45
	v_pack_b32_f16 v8, v7, v6
	v_cvt_f16_f32_e32 v6, v35
	v_cvt_f16_f32_e32 v7, v38
	v_pack_b32_f16 v1, v6, v5
	v_pack_b32_f16 v0, v20, v7
.LBB148_17:
	s_waitcnt vmcnt(2)
	v_cmp_gt_u32_e32 vcc, s10, v4
	s_and_saveexec_b64 s[0:1], vcc
	s_cbranch_execz .LBB148_68
; %bb.18:
	v_mul_lo_u32 v20, v4, s14
	s_waitcnt vmcnt(0)
	v_add_u32_e32 v4, s6, v34
	v_cmp_gt_u32_e32 vcc, s14, v4
	s_and_saveexec_b64 s[2:3], vcc
	s_cbranch_execz .LBB148_20
; %bb.19:
	v_add_u32_e32 v5, v4, v20
	v_mov_b32_e32 v6, 0
	v_lshlrev_b64 v[5:6], 1, v[5:6]
	s_waitcnt lgkmcnt(0)
	v_mov_b32_e32 v7, s13
	v_add_co_u32_e64 v5, s[0:1], s12, v5
	v_addc_co_u32_e64 v6, s[0:1], v7, v6, s[0:1]
	global_store_short_d16_hi v[5:6], v19, off
.LBB148_20:
	s_or_b64 exec, exec, s[2:3]
	v_add_u32_e32 v5, 32, v4
	v_cmp_gt_u32_e64 s[0:1], s14, v5
	s_and_saveexec_b64 s[4:5], s[0:1]
	s_cbranch_execz .LBB148_22
; %bb.21:
	v_add_u32_e32 v6, v5, v20
	v_mov_b32_e32 v7, 0
	v_lshlrev_b64 v[6:7], 1, v[6:7]
	s_waitcnt lgkmcnt(0)
	v_mov_b32_e32 v21, s13
	v_add_co_u32_e64 v6, s[2:3], s12, v6
	v_addc_co_u32_e64 v7, s[2:3], v21, v7, s[2:3]
	global_store_short_d16_hi v[6:7], v18, off
.LBB148_22:
	s_or_b64 exec, exec, s[4:5]
	v_add_u32_e32 v6, 64, v4
	v_cmp_gt_u32_e64 s[2:3], s14, v6
	s_and_saveexec_b64 s[6:7], s[2:3]
	;; [unrolled: 15-line block ×3, first 2 shown]
	s_cbranch_execz .LBB148_26
; %bb.25:
	v_add_u32_e32 v20, v7, v20
	v_mov_b32_e32 v21, 0
	v_lshlrev_b64 v[20:21], 1, v[20:21]
	s_waitcnt lgkmcnt(0)
	v_mov_b32_e32 v22, s13
	v_add_co_u32_e64 v20, s[6:7], s12, v20
	v_addc_co_u32_e64 v21, s[6:7], v22, v21, s[6:7]
	global_store_short_d16_hi v[20:21], v16, off
.LBB148_26:
	s_or_b64 exec, exec, s[8:9]
	v_add3_u32 v20, v32, s15, 8
	v_cmp_gt_u32_e64 s[6:7], s10, v20
	s_and_b64 exec, exec, s[6:7]
	s_cbranch_execz .LBB148_68
; %bb.27:
	v_mul_lo_u32 v20, v20, s14
	s_and_saveexec_b64 s[8:9], vcc
	s_cbranch_execnz .LBB148_69
; %bb.28:
	s_or_b64 exec, exec, s[8:9]
	s_and_saveexec_b64 s[8:9], s[0:1]
	s_cbranch_execnz .LBB148_70
.LBB148_29:
	s_or_b64 exec, exec, s[8:9]
	s_and_saveexec_b64 s[8:9], s[2:3]
	s_cbranch_execnz .LBB148_71
.LBB148_30:
	s_or_b64 exec, exec, s[8:9]
	s_and_saveexec_b64 s[8:9], s[4:5]
	s_cbranch_execz .LBB148_32
.LBB148_31:
	v_add_u32_e32 v17, v20, v7
	v_mov_b32_e32 v18, 0
	v_lshlrev_b64 v[17:18], 1, v[17:18]
	s_waitcnt lgkmcnt(0)
	v_mov_b32_e32 v19, s13
	v_add_co_u32_e64 v17, s[6:7], s12, v17
	v_addc_co_u32_e64 v18, s[6:7], v19, v18, s[6:7]
	global_store_short v[17:18], v16, off
.LBB148_32:
	s_or_b64 exec, exec, s[8:9]
	v_add3_u32 v16, v32, s15, 16
	v_cmp_gt_u32_e64 s[6:7], s10, v16
	s_and_b64 exec, exec, s[6:7]
	s_cbranch_execz .LBB148_68
; %bb.33:
	v_mul_lo_u32 v16, v16, s14
	s_and_saveexec_b64 s[8:9], vcc
	s_cbranch_execnz .LBB148_72
; %bb.34:
	s_or_b64 exec, exec, s[8:9]
	s_and_saveexec_b64 s[8:9], s[0:1]
	s_cbranch_execnz .LBB148_73
.LBB148_35:
	s_or_b64 exec, exec, s[8:9]
	s_and_saveexec_b64 s[8:9], s[2:3]
	s_cbranch_execnz .LBB148_74
.LBB148_36:
	s_or_b64 exec, exec, s[8:9]
	s_and_saveexec_b64 s[8:9], s[4:5]
	s_cbranch_execz .LBB148_38
.LBB148_37:
	v_add_u32_e32 v16, v16, v7
	v_mov_b32_e32 v17, 0
	v_lshlrev_b64 v[16:17], 1, v[16:17]
	s_waitcnt lgkmcnt(0)
	v_mov_b32_e32 v18, s13
	v_add_co_u32_e64 v16, s[6:7], s12, v16
	v_addc_co_u32_e64 v17, s[6:7], v18, v17, s[6:7]
	global_store_short_d16_hi v[16:17], v12, off
.LBB148_38:
	s_or_b64 exec, exec, s[8:9]
	v_add3_u32 v16, v32, s15, 24
	v_cmp_gt_u32_e64 s[6:7], s10, v16
	s_and_b64 exec, exec, s[6:7]
	s_cbranch_execz .LBB148_68
; %bb.39:
	v_mul_lo_u32 v16, v16, s14
	s_and_saveexec_b64 s[8:9], vcc
	s_cbranch_execnz .LBB148_75
; %bb.40:
	s_or_b64 exec, exec, s[8:9]
	s_and_saveexec_b64 s[8:9], s[0:1]
	s_cbranch_execnz .LBB148_76
.LBB148_41:
	s_or_b64 exec, exec, s[8:9]
	s_and_saveexec_b64 s[8:9], s[2:3]
	s_cbranch_execnz .LBB148_77
.LBB148_42:
	s_or_b64 exec, exec, s[8:9]
	s_and_saveexec_b64 s[8:9], s[4:5]
	s_cbranch_execz .LBB148_44
.LBB148_43:
	v_add_u32_e32 v13, v16, v7
	v_mov_b32_e32 v14, 0
	v_lshlrev_b64 v[13:14], 1, v[13:14]
	s_waitcnt lgkmcnt(0)
	v_mov_b32_e32 v15, s13
	v_add_co_u32_e64 v13, s[6:7], s12, v13
	v_addc_co_u32_e64 v14, s[6:7], v15, v14, s[6:7]
	global_store_short v[13:14], v12, off
.LBB148_44:
	s_or_b64 exec, exec, s[8:9]
	v_add3_u32 v12, v32, s15, 32
	v_cmp_gt_u32_e64 s[6:7], s10, v12
	s_and_b64 exec, exec, s[6:7]
	s_cbranch_execz .LBB148_68
; %bb.45:
	v_mul_lo_u32 v12, v12, s14
	s_and_saveexec_b64 s[8:9], vcc
	s_cbranch_execnz .LBB148_78
; %bb.46:
	s_or_b64 exec, exec, s[8:9]
	s_and_saveexec_b64 s[8:9], s[0:1]
	s_cbranch_execnz .LBB148_79
.LBB148_47:
	s_or_b64 exec, exec, s[8:9]
	s_and_saveexec_b64 s[8:9], s[2:3]
	s_cbranch_execnz .LBB148_80
.LBB148_48:
	s_or_b64 exec, exec, s[8:9]
	s_and_saveexec_b64 s[8:9], s[4:5]
	s_cbranch_execz .LBB148_50
.LBB148_49:
	v_add_u32_e32 v12, v12, v7
	v_mov_b32_e32 v13, 0
	v_lshlrev_b64 v[12:13], 1, v[12:13]
	s_waitcnt lgkmcnt(0)
	v_mov_b32_e32 v14, s13
	v_add_co_u32_e64 v12, s[6:7], s12, v12
	v_addc_co_u32_e64 v13, s[6:7], v14, v13, s[6:7]
	global_store_short_d16_hi v[12:13], v8, off
.LBB148_50:
	s_or_b64 exec, exec, s[8:9]
	v_add3_u32 v12, v32, s15, 40
	v_cmp_gt_u32_e64 s[6:7], s10, v12
	s_and_b64 exec, exec, s[6:7]
	s_cbranch_execz .LBB148_68
; %bb.51:
	v_mul_lo_u32 v12, v12, s14
	s_and_saveexec_b64 s[8:9], vcc
	s_cbranch_execnz .LBB148_81
; %bb.52:
	s_or_b64 exec, exec, s[8:9]
	s_and_saveexec_b64 s[8:9], s[0:1]
	s_cbranch_execnz .LBB148_82
.LBB148_53:
	s_or_b64 exec, exec, s[8:9]
	s_and_saveexec_b64 s[8:9], s[2:3]
	s_cbranch_execnz .LBB148_83
.LBB148_54:
	s_or_b64 exec, exec, s[8:9]
	s_and_saveexec_b64 s[8:9], s[4:5]
	s_cbranch_execz .LBB148_56
.LBB148_55:
	v_add_u32_e32 v9, v12, v7
	v_mov_b32_e32 v10, 0
	v_lshlrev_b64 v[9:10], 1, v[9:10]
	s_waitcnt lgkmcnt(0)
	v_mov_b32_e32 v11, s13
	v_add_co_u32_e64 v9, s[6:7], s12, v9
	v_addc_co_u32_e64 v10, s[6:7], v11, v10, s[6:7]
	global_store_short v[9:10], v8, off
.LBB148_56:
	s_or_b64 exec, exec, s[8:9]
	v_add3_u32 v8, v32, s15, 48
	v_cmp_gt_u32_e64 s[6:7], s10, v8
	s_and_b64 exec, exec, s[6:7]
	s_cbranch_execz .LBB148_68
; %bb.57:
	v_mul_lo_u32 v8, v8, s14
	s_and_saveexec_b64 s[8:9], vcc
	s_cbranch_execnz .LBB148_84
; %bb.58:
	s_or_b64 exec, exec, s[8:9]
	s_and_saveexec_b64 s[8:9], s[0:1]
	s_cbranch_execnz .LBB148_85
.LBB148_59:
	s_or_b64 exec, exec, s[8:9]
	s_and_saveexec_b64 s[8:9], s[2:3]
	s_cbranch_execnz .LBB148_86
.LBB148_60:
	s_or_b64 exec, exec, s[8:9]
	s_and_saveexec_b64 s[8:9], s[4:5]
	s_cbranch_execz .LBB148_62
.LBB148_61:
	v_add_u32_e32 v8, v8, v7
	v_mov_b32_e32 v9, 0
	v_lshlrev_b64 v[8:9], 1, v[8:9]
	s_waitcnt lgkmcnt(0)
	v_mov_b32_e32 v10, s13
	v_add_co_u32_e64 v8, s[6:7], s12, v8
	v_addc_co_u32_e64 v9, s[6:7], v10, v9, s[6:7]
	global_store_short_d16_hi v[8:9], v0, off
.LBB148_62:
	s_or_b64 exec, exec, s[8:9]
	v_add3_u32 v8, v32, s15, 56
	v_cmp_gt_u32_e64 s[6:7], s10, v8
	s_and_b64 exec, exec, s[6:7]
	s_cbranch_execz .LBB148_68
; %bb.63:
	v_mul_lo_u32 v8, v8, s14
	s_and_saveexec_b64 s[6:7], vcc
	s_cbranch_execnz .LBB148_87
; %bb.64:
	s_or_b64 exec, exec, s[6:7]
	s_and_saveexec_b64 s[6:7], s[0:1]
	s_cbranch_execnz .LBB148_88
.LBB148_65:
	s_or_b64 exec, exec, s[6:7]
	s_and_saveexec_b64 s[0:1], s[2:3]
	s_cbranch_execnz .LBB148_89
.LBB148_66:
	s_or_b64 exec, exec, s[0:1]
	s_and_b64 exec, exec, s[4:5]
	s_cbranch_execz .LBB148_68
.LBB148_67:
	v_add_u32_e32 v1, v8, v7
	v_mov_b32_e32 v2, 0
	v_lshlrev_b64 v[1:2], 1, v[1:2]
	s_waitcnt lgkmcnt(0)
	v_mov_b32_e32 v3, s13
	v_add_co_u32_e32 v1, vcc, s12, v1
	v_addc_co_u32_e32 v2, vcc, v3, v2, vcc
	global_store_short v[1:2], v0, off
.LBB148_68:
	s_endpgm
.LBB148_69:
	v_add_u32_e32 v21, v20, v4
	v_mov_b32_e32 v22, 0
	v_lshlrev_b64 v[21:22], 1, v[21:22]
	s_waitcnt lgkmcnt(0)
	v_mov_b32_e32 v23, s13
	v_add_co_u32_e64 v21, s[6:7], s12, v21
	v_addc_co_u32_e64 v22, s[6:7], v23, v22, s[6:7]
	global_store_short v[21:22], v19, off
	s_or_b64 exec, exec, s[8:9]
	s_and_saveexec_b64 s[8:9], s[0:1]
	s_cbranch_execz .LBB148_29
.LBB148_70:
	v_add_u32_e32 v21, v20, v5
	v_mov_b32_e32 v22, 0
	v_lshlrev_b64 v[21:22], 1, v[21:22]
	s_waitcnt lgkmcnt(0)
	v_mov_b32_e32 v19, s13
	v_add_co_u32_e64 v21, s[6:7], s12, v21
	v_addc_co_u32_e64 v22, s[6:7], v19, v22, s[6:7]
	global_store_short v[21:22], v18, off
	s_or_b64 exec, exec, s[8:9]
	s_and_saveexec_b64 s[8:9], s[2:3]
	s_cbranch_execz .LBB148_30
.LBB148_71:
	v_add_u32_e32 v18, v20, v6
	v_mov_b32_e32 v19, 0
	v_lshlrev_b64 v[18:19], 1, v[18:19]
	s_waitcnt lgkmcnt(0)
	v_mov_b32_e32 v21, s13
	v_add_co_u32_e64 v18, s[6:7], s12, v18
	v_addc_co_u32_e64 v19, s[6:7], v21, v19, s[6:7]
	global_store_short v[18:19], v17, off
	s_or_b64 exec, exec, s[8:9]
	s_and_saveexec_b64 s[8:9], s[4:5]
	s_cbranch_execnz .LBB148_31
	s_branch .LBB148_32
.LBB148_72:
	v_add_u32_e32 v17, v16, v4
	v_mov_b32_e32 v18, 0
	v_lshlrev_b64 v[17:18], 1, v[17:18]
	s_waitcnt lgkmcnt(0)
	v_mov_b32_e32 v19, s13
	v_add_co_u32_e64 v17, s[6:7], s12, v17
	v_addc_co_u32_e64 v18, s[6:7], v19, v18, s[6:7]
	global_store_short_d16_hi v[17:18], v15, off
	s_or_b64 exec, exec, s[8:9]
	s_and_saveexec_b64 s[8:9], s[0:1]
	s_cbranch_execz .LBB148_35
.LBB148_73:
	v_add_u32_e32 v17, v16, v5
	v_mov_b32_e32 v18, 0
	v_lshlrev_b64 v[17:18], 1, v[17:18]
	s_waitcnt lgkmcnt(0)
	v_mov_b32_e32 v19, s13
	v_add_co_u32_e64 v17, s[6:7], s12, v17
	v_addc_co_u32_e64 v18, s[6:7], v19, v18, s[6:7]
	global_store_short_d16_hi v[17:18], v14, off
	s_or_b64 exec, exec, s[8:9]
	s_and_saveexec_b64 s[8:9], s[2:3]
	s_cbranch_execz .LBB148_36
.LBB148_74:
	v_add_u32_e32 v17, v16, v6
	v_mov_b32_e32 v18, 0
	v_lshlrev_b64 v[17:18], 1, v[17:18]
	s_waitcnt lgkmcnt(0)
	v_mov_b32_e32 v19, s13
	v_add_co_u32_e64 v17, s[6:7], s12, v17
	v_addc_co_u32_e64 v18, s[6:7], v19, v18, s[6:7]
	global_store_short_d16_hi v[17:18], v13, off
	s_or_b64 exec, exec, s[8:9]
	s_and_saveexec_b64 s[8:9], s[4:5]
	s_cbranch_execnz .LBB148_37
	s_branch .LBB148_38
.LBB148_75:
	v_add_u32_e32 v17, v16, v4
	v_mov_b32_e32 v18, 0
	v_lshlrev_b64 v[17:18], 1, v[17:18]
	s_waitcnt lgkmcnt(0)
	v_mov_b32_e32 v19, s13
	v_add_co_u32_e64 v17, s[6:7], s12, v17
	v_addc_co_u32_e64 v18, s[6:7], v19, v18, s[6:7]
	global_store_short v[17:18], v15, off
	s_or_b64 exec, exec, s[8:9]
	s_and_saveexec_b64 s[8:9], s[0:1]
	s_cbranch_execz .LBB148_41
.LBB148_76:
	v_add_u32_e32 v17, v16, v5
	v_mov_b32_e32 v18, 0
	v_lshlrev_b64 v[17:18], 1, v[17:18]
	s_waitcnt lgkmcnt(0)
	v_mov_b32_e32 v15, s13
	v_add_co_u32_e64 v17, s[6:7], s12, v17
	v_addc_co_u32_e64 v18, s[6:7], v15, v18, s[6:7]
	global_store_short v[17:18], v14, off
	s_or_b64 exec, exec, s[8:9]
	s_and_saveexec_b64 s[8:9], s[2:3]
	s_cbranch_execz .LBB148_42
.LBB148_77:
	v_add_u32_e32 v14, v16, v6
	v_mov_b32_e32 v15, 0
	v_lshlrev_b64 v[14:15], 1, v[14:15]
	s_waitcnt lgkmcnt(0)
	v_mov_b32_e32 v17, s13
	v_add_co_u32_e64 v14, s[6:7], s12, v14
	v_addc_co_u32_e64 v15, s[6:7], v17, v15, s[6:7]
	global_store_short v[14:15], v13, off
	s_or_b64 exec, exec, s[8:9]
	s_and_saveexec_b64 s[8:9], s[4:5]
	s_cbranch_execnz .LBB148_43
	s_branch .LBB148_44
.LBB148_78:
	v_add_u32_e32 v13, v12, v4
	v_mov_b32_e32 v14, 0
	v_lshlrev_b64 v[13:14], 1, v[13:14]
	s_waitcnt lgkmcnt(0)
	v_mov_b32_e32 v15, s13
	v_add_co_u32_e64 v13, s[6:7], s12, v13
	v_addc_co_u32_e64 v14, s[6:7], v15, v14, s[6:7]
	global_store_short_d16_hi v[13:14], v11, off
	s_or_b64 exec, exec, s[8:9]
	s_and_saveexec_b64 s[8:9], s[0:1]
	s_cbranch_execz .LBB148_47
.LBB148_79:
	v_add_u32_e32 v13, v12, v5
	v_mov_b32_e32 v14, 0
	v_lshlrev_b64 v[13:14], 1, v[13:14]
	s_waitcnt lgkmcnt(0)
	v_mov_b32_e32 v15, s13
	v_add_co_u32_e64 v13, s[6:7], s12, v13
	v_addc_co_u32_e64 v14, s[6:7], v15, v14, s[6:7]
	global_store_short_d16_hi v[13:14], v10, off
	s_or_b64 exec, exec, s[8:9]
	s_and_saveexec_b64 s[8:9], s[2:3]
	s_cbranch_execz .LBB148_48
.LBB148_80:
	v_add_u32_e32 v13, v12, v6
	v_mov_b32_e32 v14, 0
	v_lshlrev_b64 v[13:14], 1, v[13:14]
	s_waitcnt lgkmcnt(0)
	v_mov_b32_e32 v15, s13
	v_add_co_u32_e64 v13, s[6:7], s12, v13
	v_addc_co_u32_e64 v14, s[6:7], v15, v14, s[6:7]
	global_store_short_d16_hi v[13:14], v9, off
	s_or_b64 exec, exec, s[8:9]
	s_and_saveexec_b64 s[8:9], s[4:5]
	s_cbranch_execnz .LBB148_49
	s_branch .LBB148_50
.LBB148_81:
	v_add_u32_e32 v13, v12, v4
	v_mov_b32_e32 v14, 0
	v_lshlrev_b64 v[13:14], 1, v[13:14]
	s_waitcnt lgkmcnt(0)
	v_mov_b32_e32 v15, s13
	v_add_co_u32_e64 v13, s[6:7], s12, v13
	v_addc_co_u32_e64 v14, s[6:7], v15, v14, s[6:7]
	global_store_short v[13:14], v11, off
	s_or_b64 exec, exec, s[8:9]
	s_and_saveexec_b64 s[8:9], s[0:1]
	s_cbranch_execz .LBB148_53
.LBB148_82:
	v_add_u32_e32 v13, v12, v5
	v_mov_b32_e32 v14, 0
	v_lshlrev_b64 v[13:14], 1, v[13:14]
	s_waitcnt lgkmcnt(0)
	v_mov_b32_e32 v11, s13
	v_add_co_u32_e64 v13, s[6:7], s12, v13
	v_addc_co_u32_e64 v14, s[6:7], v11, v14, s[6:7]
	global_store_short v[13:14], v10, off
	s_or_b64 exec, exec, s[8:9]
	s_and_saveexec_b64 s[8:9], s[2:3]
	s_cbranch_execz .LBB148_54
.LBB148_83:
	v_add_u32_e32 v10, v12, v6
	v_mov_b32_e32 v11, 0
	v_lshlrev_b64 v[10:11], 1, v[10:11]
	s_waitcnt lgkmcnt(0)
	v_mov_b32_e32 v13, s13
	v_add_co_u32_e64 v10, s[6:7], s12, v10
	v_addc_co_u32_e64 v11, s[6:7], v13, v11, s[6:7]
	global_store_short v[10:11], v9, off
	s_or_b64 exec, exec, s[8:9]
	s_and_saveexec_b64 s[8:9], s[4:5]
	s_cbranch_execnz .LBB148_55
	s_branch .LBB148_56
.LBB148_84:
	v_add_u32_e32 v9, v8, v4
	v_mov_b32_e32 v10, 0
	v_lshlrev_b64 v[9:10], 1, v[9:10]
	s_waitcnt lgkmcnt(0)
	v_mov_b32_e32 v11, s13
	v_add_co_u32_e64 v9, s[6:7], s12, v9
	v_addc_co_u32_e64 v10, s[6:7], v11, v10, s[6:7]
	global_store_short_d16_hi v[9:10], v3, off
	s_or_b64 exec, exec, s[8:9]
	s_and_saveexec_b64 s[8:9], s[0:1]
	s_cbranch_execz .LBB148_59
.LBB148_85:
	v_add_u32_e32 v9, v8, v5
	v_mov_b32_e32 v10, 0
	v_lshlrev_b64 v[9:10], 1, v[9:10]
	s_waitcnt lgkmcnt(0)
	v_mov_b32_e32 v11, s13
	v_add_co_u32_e64 v9, s[6:7], s12, v9
	v_addc_co_u32_e64 v10, s[6:7], v11, v10, s[6:7]
	global_store_short_d16_hi v[9:10], v2, off
	s_or_b64 exec, exec, s[8:9]
	s_and_saveexec_b64 s[8:9], s[2:3]
	s_cbranch_execz .LBB148_60
.LBB148_86:
	v_add_u32_e32 v9, v8, v6
	v_mov_b32_e32 v10, 0
	v_lshlrev_b64 v[9:10], 1, v[9:10]
	s_waitcnt lgkmcnt(0)
	v_mov_b32_e32 v11, s13
	v_add_co_u32_e64 v9, s[6:7], s12, v9
	v_addc_co_u32_e64 v10, s[6:7], v11, v10, s[6:7]
	global_store_short_d16_hi v[9:10], v1, off
	s_or_b64 exec, exec, s[8:9]
	s_and_saveexec_b64 s[8:9], s[4:5]
	s_cbranch_execnz .LBB148_61
	s_branch .LBB148_62
.LBB148_87:
	v_add_u32_e32 v9, v8, v4
	v_mov_b32_e32 v10, 0
	v_lshlrev_b64 v[9:10], 1, v[9:10]
	s_waitcnt lgkmcnt(0)
	v_mov_b32_e32 v4, s13
	v_add_co_u32_e32 v9, vcc, s12, v9
	v_addc_co_u32_e32 v10, vcc, v4, v10, vcc
	global_store_short v[9:10], v3, off
	s_or_b64 exec, exec, s[6:7]
	s_and_saveexec_b64 s[6:7], s[0:1]
	s_cbranch_execz .LBB148_65
.LBB148_88:
	v_add_u32_e32 v3, v8, v5
	v_mov_b32_e32 v4, 0
	v_lshlrev_b64 v[3:4], 1, v[3:4]
	s_waitcnt lgkmcnt(0)
	v_mov_b32_e32 v5, s13
	v_add_co_u32_e32 v3, vcc, s12, v3
	v_addc_co_u32_e32 v4, vcc, v5, v4, vcc
	global_store_short v[3:4], v2, off
	s_or_b64 exec, exec, s[6:7]
	s_and_saveexec_b64 s[0:1], s[2:3]
	s_cbranch_execz .LBB148_66
.LBB148_89:
	v_add_u32_e32 v2, v8, v6
	v_mov_b32_e32 v3, 0
	v_lshlrev_b64 v[2:3], 1, v[2:3]
	s_waitcnt lgkmcnt(0)
	v_mov_b32_e32 v4, s13
	v_add_co_u32_e32 v2, vcc, s12, v2
	v_addc_co_u32_e32 v3, vcc, v4, v3, vcc
	global_store_short v[2:3], v1, off
	s_or_b64 exec, exec, s[0:1]
	s_and_b64 exec, exec, s[4:5]
	s_cbranch_execnz .LBB148_67
	s_branch .LBB148_68
	.section	.rodata,"a",@progbits
	.p2align	6, 0x0
	.amdhsa_kernel _ZL12mul_mat_q2_KIN3c104HalfELb1EEvPKvS3_PT_iiiii
		.amdhsa_group_segment_fixed_size 31392
		.amdhsa_private_segment_fixed_size 416
		.amdhsa_kernarg_size 44
		.amdhsa_user_sgpr_count 6
		.amdhsa_user_sgpr_private_segment_buffer 1
		.amdhsa_user_sgpr_dispatch_ptr 0
		.amdhsa_user_sgpr_queue_ptr 0
		.amdhsa_user_sgpr_kernarg_segment_ptr 1
		.amdhsa_user_sgpr_dispatch_id 0
		.amdhsa_user_sgpr_flat_scratch_init 0
		.amdhsa_user_sgpr_private_segment_size 0
		.amdhsa_uses_dynamic_stack 0
		.amdhsa_system_sgpr_private_segment_wavefront_offset 1
		.amdhsa_system_sgpr_workgroup_id_x 1
		.amdhsa_system_sgpr_workgroup_id_y 1
		.amdhsa_system_sgpr_workgroup_id_z 0
		.amdhsa_system_sgpr_workgroup_info 0
		.amdhsa_system_vgpr_workitem_id 1
		.amdhsa_next_free_vgpr 128
		.amdhsa_next_free_sgpr 98
		.amdhsa_reserve_vcc 1
		.amdhsa_reserve_flat_scratch 0
		.amdhsa_float_round_mode_32 0
		.amdhsa_float_round_mode_16_64 0
		.amdhsa_float_denorm_mode_32 3
		.amdhsa_float_denorm_mode_16_64 3
		.amdhsa_dx10_clamp 1
		.amdhsa_ieee_mode 1
		.amdhsa_fp16_overflow 0
		.amdhsa_exception_fp_ieee_invalid_op 0
		.amdhsa_exception_fp_denorm_src 0
		.amdhsa_exception_fp_ieee_div_zero 0
		.amdhsa_exception_fp_ieee_overflow 0
		.amdhsa_exception_fp_ieee_underflow 0
		.amdhsa_exception_fp_ieee_inexact 0
		.amdhsa_exception_int_div_zero 0
	.end_amdhsa_kernel
	.section	.text._ZL12mul_mat_q2_KIN3c104HalfELb1EEvPKvS3_PT_iiiii,"axG",@progbits,_ZL12mul_mat_q2_KIN3c104HalfELb1EEvPKvS3_PT_iiiii,comdat
.Lfunc_end148:
	.size	_ZL12mul_mat_q2_KIN3c104HalfELb1EEvPKvS3_PT_iiiii, .Lfunc_end148-_ZL12mul_mat_q2_KIN3c104HalfELb1EEvPKvS3_PT_iiiii
                                        ; -- End function
	.set _ZL12mul_mat_q2_KIN3c104HalfELb1EEvPKvS3_PT_iiiii.num_vgpr, 128
	.set _ZL12mul_mat_q2_KIN3c104HalfELb1EEvPKvS3_PT_iiiii.num_agpr, 0
	.set _ZL12mul_mat_q2_KIN3c104HalfELb1EEvPKvS3_PT_iiiii.numbered_sgpr, 24
	.set _ZL12mul_mat_q2_KIN3c104HalfELb1EEvPKvS3_PT_iiiii.num_named_barrier, 0
	.set _ZL12mul_mat_q2_KIN3c104HalfELb1EEvPKvS3_PT_iiiii.private_seg_size, 416
	.set _ZL12mul_mat_q2_KIN3c104HalfELb1EEvPKvS3_PT_iiiii.uses_vcc, 1
	.set _ZL12mul_mat_q2_KIN3c104HalfELb1EEvPKvS3_PT_iiiii.uses_flat_scratch, 0
	.set _ZL12mul_mat_q2_KIN3c104HalfELb1EEvPKvS3_PT_iiiii.has_dyn_sized_stack, 0
	.set _ZL12mul_mat_q2_KIN3c104HalfELb1EEvPKvS3_PT_iiiii.has_recursion, 0
	.set _ZL12mul_mat_q2_KIN3c104HalfELb1EEvPKvS3_PT_iiiii.has_indirect_call, 0
	.section	.AMDGPU.csdata,"",@progbits
; Kernel info:
; codeLenInByte = 36664
; TotalNumSgprs: 28
; NumVgprs: 128
; ScratchSize: 416
; MemoryBound: 0
; FloatMode: 240
; IeeeMode: 1
; LDSByteSize: 31392 bytes/workgroup (compile time only)
; SGPRBlocks: 12
; VGPRBlocks: 31
; NumSGPRsForWavesPerEU: 102
; NumVGPRsForWavesPerEU: 128
; Occupancy: 2
; WaveLimiterHint : 0
; COMPUTE_PGM_RSRC2:SCRATCH_EN: 1
; COMPUTE_PGM_RSRC2:USER_SGPR: 6
; COMPUTE_PGM_RSRC2:TRAP_HANDLER: 0
; COMPUTE_PGM_RSRC2:TGID_X_EN: 1
; COMPUTE_PGM_RSRC2:TGID_Y_EN: 1
; COMPUTE_PGM_RSRC2:TGID_Z_EN: 0
; COMPUTE_PGM_RSRC2:TIDIG_COMP_CNT: 1
	.section	.text._ZL12mul_mat_q3_KIN3c104HalfELb0EEvPKvS3_PT_iiiii,"axG",@progbits,_ZL12mul_mat_q3_KIN3c104HalfELb0EEvPKvS3_PT_iiiii,comdat
	.globl	_ZL12mul_mat_q3_KIN3c104HalfELb0EEvPKvS3_PT_iiiii ; -- Begin function _ZL12mul_mat_q3_KIN3c104HalfELb0EEvPKvS3_PT_iiiii
	.p2align	8
	.type	_ZL12mul_mat_q3_KIN3c104HalfELb0EEvPKvS3_PT_iiiii,@function
_ZL12mul_mat_q3_KIN3c104HalfELb0EEvPKvS3_PT_iiiii: ; @_ZL12mul_mat_q3_KIN3c104HalfELb0EEvPKvS3_PT_iiiii
; %bb.0:
	s_load_dword s14, s[4:5], 0x18
	s_load_dwordx4 s[8:11], s[4:5], 0x20
	s_waitcnt lgkmcnt(0)
	s_lshl_b32 s11, s7, 6
	v_add_u32_e32 v50, s11, v1
	s_cmpk_gt_i32 s14, 0xff
	s_cbranch_scc1 .LBB149_2
; %bb.1:
	v_add_u32_e32 v6, s11, v1
	s_mov_b64 s[0:1], 0
	s_branch .LBB149_3
.LBB149_2:
	s_mov_b64 s[0:1], -1
                                        ; implicit-def: $vgpr6
.LBB149_3:
	s_load_dwordx2 s[12:13], s[4:5], 0x10
	s_lshl_b32 s6, s6, 7
	s_mov_b32 s7, 0
	v_mov_b32_e32 v2, 0
	s_andn2_b64 vcc, exec, s[0:1]
	v_mov_b32_e32 v9, 0
	v_mov_b32_e32 v13, 0
	;; [unrolled: 1-line block ×15, first 2 shown]
	s_cbranch_vccnz .LBB149_17
; %bb.4:
	s_load_dwordx4 s[0:3], s[4:5], 0x0
	s_ashr_i32 s4, s14, 31
	s_lshr_b32 s4, s4, 24
	s_add_i32 s14, s14, s4
	s_ashr_i32 s5, s9, 31
	s_ashr_i32 s4, s14, 8
	s_lshr_b32 s5, s5, 27
	s_add_i32 s5, s9, s5
	s_mul_i32 s14, s4, s6
	s_ashr_i32 s9, s5, 5
	s_mul_hi_i32 s15, s14, 0x6e
	s_mulk_i32 s14, 0x6e
	s_waitcnt lgkmcnt(0)
	s_add_u32 s0, s0, s14
	v_lshlrev_b32_e32 v5, 2, v0
	s_movk_i32 s14, 0x84
	s_addc_u32 s1, s1, s15
	v_mad_u32_u24 v54, v1, s14, v5
	s_lshl_b32 s14, s4, 3
	v_mov_b32_e32 v3, s14
	v_mad_i32_i24 v55, s4, v1, v3
	v_add_u32_e32 v57, s14, v55
	v_add_u32_e32 v59, s14, v57
	;; [unrolled: 1-line block ×11, first 2 shown]
	v_lshlrev_b32_e32 v9, 4, v1
	v_lshrrev_b32_e32 v86, 1, v0
	v_add_u32_e32 v79, s14, v77
	v_and_b32_e32 v85, 1, v0
	v_add_u32_e32 v3, v86, v9
	v_add_u32_e32 v81, s14, v79
	v_and_b32_e32 v4, 0x7f, v3
	v_lshlrev_b32_e32 v6, 2, v85
	v_lshrrev_b32_e32 v3, 2, v3
	v_add_u32_e32 v83, s14, v81
	v_mul_i32_i24_e32 v87, s4, v4
	v_lshl_or_b32 v4, v4, 3, v6
	v_and_b32_e32 v3, 28, v3
	s_mov_b32 s14, 0x9380
	v_lshrrev_b32_e32 v51, 4, v0
	v_add3_u32 v88, v4, v3, s14
	v_lshlrev_b32_e32 v3, 1, v1
	v_add_u32_e32 v4, v51, v3
	v_add_u16_e32 v3, v51, v3
	v_and_b32_e32 v2, 15, v0
	v_lshrrev_b16_e32 v3, 1, v3
	v_lshlrev_b32_e32 v52, 2, v2
	v_lshlrev_b32_e32 v3, 2, v3
	s_movk_i32 s14, 0x4200
	s_lshl_b32 s15, s4, 4
	v_add3_u32 v19, v3, v52, s14
	v_add_u32_e32 v3, 16, v4
	v_mov_b32_e32 v6, s15
	v_mad_i32_i24 v92, s4, v4, v6
	v_lshlrev_b32_e32 v6, 1, v3
	v_and_b32_e32 v6, 0xffc, v6
	v_lshlrev_b32_e32 v22, 6, v3
	v_add_u32_e32 v3, 32, v4
	v_add3_u32 v21, v6, v52, s14
	v_lshlrev_b32_e32 v6, 1, v3
	v_and_b32_e32 v6, 0xffc, v6
	v_lshlrev_b32_e32 v24, 6, v3
	v_add_u32_e32 v3, 48, v4
	v_add3_u32 v23, v6, v52, s14
	;; [unrolled: 5-line block ×4, first 2 shown]
	v_lshlrev_b32_e32 v6, 1, v3
	v_and_b32_e32 v6, 0xffc, v6
	v_lshlrev_b32_e32 v30, 6, v3
	v_add_u32_e32 v3, 0x60, v4
	v_add_u32_e32 v93, s15, v92
	v_add3_u32 v29, v6, v52, s14
	v_lshlrev_b32_e32 v6, 1, v3
	v_lshlrev_b32_e32 v32, 6, v3
	v_add_u32_e32 v3, 0x70, v4
	v_cmp_lt_u32_e32 vcc, 7, v2
	v_and_b32_e32 v2, 7, v0
	v_mul_i32_i24_e32 v91, s4, v4
	v_lshlrev_b32_e32 v20, 6, v4
	v_add_u32_e32 v94, s15, v93
	v_lshlrev_b32_e32 v4, 1, v3
	v_cndmask_b32_e64 v89, 0, 1, vcc
	v_lshlrev_b32_e32 v90, 2, v2
	v_add_u32_e32 v95, s15, v94
	v_and_b32_e32 v4, 0xffc, v4
	v_cmp_lt_u32_e32 vcc, 3, v2
	v_and_b32_e32 v2, 3, v0
	v_add_u32_e32 v96, s15, v95
	v_and_b32_e32 v6, 0xffc, v6
	v_add3_u32 v33, v4, v52, s14
	v_lshrrev_b32_e32 v99, 3, v0
	v_cndmask_b32_e64 v100, 0, 1, vcc
	v_add_u16_e32 v4, -2, v2
	v_cmp_gt_u32_e32 vcc, 2, v2
	v_add_u32_e32 v97, s15, v96
	v_add3_u32 v31, v6, v52, s14
	v_lshlrev_b32_e32 v34, 6, v3
	v_lshl_add_u32 v3, v1, 2, v99
	v_cndmask_b32_e32 v4, v4, v2, vcc
	v_mov_b32_e32 v6, 2
	v_add_u32_e32 v98, s15, v97
	v_lshlrev_b32_sdwa v103, v6, v4 dst_sel:DWORD dst_unused:UNUSED_PAD src0_sel:DWORD src1_sel:BYTE_0
	v_and_b32_e32 v4, 0x7fc, v3
	s_mov_b32 s14, 0x8300
	s_lshl_b32 s15, s4, 5
	v_add3_u32 v35, v4, v90, s14
	v_add_u32_e32 v4, 32, v3
	v_mov_b32_e32 v6, s15
	v_mul_i32_i24_e32 v105, s4, v3
	v_lshlrev_b32_e32 v36, 5, v3
	v_mad_i32_i24 v106, s4, v3, v6
	v_and_b32_e32 v6, 0xffc, v4
	v_lshlrev_b32_e32 v38, 5, v4
	v_add_u32_e32 v4, 64, v3
	v_add_u32_e32 v3, 0x60, v3
	v_add3_u32 v37, v6, v90, s14
	v_and_b32_e32 v6, 0xffc, v4
	v_lshlrev_b32_e32 v40, 5, v4
	v_and_b32_e32 v4, 0xffc, v3
	v_add3_u32 v39, v6, v90, s14
	v_add3_u32 v41, v4, v90, s14
	s_add_i32 s14, s8, -1
	v_and_b32_e32 v6, 31, v0
	v_and_b32_e32 v43, 28, v5
	v_mov_b32_e32 v5, 0x6300
	v_lshlrev_b32_e32 v42, 5, v3
	v_cvt_f64_i32_e32 v[3:4], s14
	v_lshl_or_b32 v44, v6, 2, v5
	v_lshrrev_b32_e32 v7, 2, v0
	v_cvt_f64_u32_e32 v[5:6], v50
	v_lshl_add_u32 v7, v1, 3, v7
	v_and_b32_e32 v16, 63, v7
	v_add_u32_e32 v7, 8, v50
	v_cvt_f64_u32_e32 v[7:8], v7
	v_add_u32_e32 v11, 16, v50
	v_min_f64 v[5:6], v[5:6], v[3:4]
	v_cvt_f64_u32_e32 v[11:12], v11
	v_min_f64 v[7:8], v[7:8], v[3:4]
	v_or_b32_e32 v13, s11, v16
	v_add_u32_e32 v107, s15, v106
	v_min_f64 v[14:15], v[11:12], v[3:4]
	v_min_i32_e32 v13, s14, v13
	v_lshlrev_b32_e32 v104, 1, v2
	v_cvt_i32_f64_e32 v5, v[5:6]
	v_add_u32_e32 v108, s15, v107
	v_mad_u64_u32 v[12:13], s[14:15], v13, s9, v[2:3]
	v_lshlrev_b32_e32 v2, 2, v2
	v_lshl_or_b32 v2, v16, 4, v2
	v_add_u32_e32 v109, 0x97a0, v2
	v_cvt_i32_f64_e32 v2, v[7:8]
	v_mul_lo_u32 v110, s9, v5
	v_cvt_i32_f64_e32 v5, v[14:15]
	v_mov_b32_e32 v10, 0
	v_mul_lo_u32 v111, s9, v2
	v_add_u32_e32 v2, 24, v50
	v_mul_lo_u32 v112, s9, v5
	v_cvt_f64_u32_e32 v[5:6], v2
	v_add_u32_e32 v2, 32, v50
	v_cvt_f64_u32_e32 v[7:8], v2
	v_add_u32_e32 v2, 40, v50
	v_min_f64 v[5:6], v[5:6], v[3:4]
	v_cvt_f64_u32_e32 v[13:14], v2
	v_add_u32_e32 v2, 48, v50
	v_cvt_f64_u32_e32 v[15:16], v2
	v_add_u32_e32 v2, 56, v50
	v_cvt_f64_u32_e32 v[17:18], v2
	v_min_f64 v[7:8], v[7:8], v[3:4]
	v_min_f64 v[13:14], v[13:14], v[3:4]
	v_cvt_i32_f64_e32 v11, v[5:6]
	v_min_f64 v[5:6], v[15:16], v[3:4]
	v_min_f64 v[2:3], v[17:18], v[3:4]
	v_lshlrev_b32_e32 v45, 7, v1
	v_mul_lo_u32 v113, s9, v11
	v_add_u32_e32 v11, 64, v0
	v_cvt_i32_f64_e32 v7, v[7:8]
	v_cvt_i32_f64_e32 v8, v[13:14]
	v_add_u32_e32 v48, 0x60, v0
	v_cvt_i32_f64_e32 v5, v[5:6]
	v_cvt_i32_f64_e32 v2, v[2:3]
	v_mul_lo_u32 v115, s9, v8
	v_add_u32_e32 v8, 32, v0
	v_lshlrev_b32_e32 v6, 5, v0
	v_lshrrev_b32_e32 v15, 1, v8
	v_lshrrev_b32_e32 v16, 4, v8
	v_lshlrev_b32_e32 v120, 6, v8
	v_lshlrev_b32_e32 v121, 3, v8
	v_lshrrev_b32_e32 v126, 3, v8
	v_and_b32_e32 v8, 0x1fc, v8
	v_mul_lo_u32 v114, s9, v7
	v_mul_lo_u32 v116, s9, v5
	;; [unrolled: 1-line block ×3, first 2 shown]
	v_add_u32_e32 v131, v6, v8
	v_and_b32_e32 v8, 0x1fc, v11
	v_add_u32_e32 v46, 0x400, v45
	v_add_u32_e32 v47, 0x800, v45
	;; [unrolled: 1-line block ×7, first 2 shown]
	v_lshrrev_b32_e32 v17, 1, v11
	v_lshrrev_b32_e32 v18, 4, v11
	v_lshlrev_b32_e32 v122, 6, v11
	v_lshlrev_b32_e32 v123, 3, v11
	v_lshrrev_b32_e32 v127, 3, v11
	v_add_co_u32_e32 v13, vcc, s2, v43
	v_and_b32_e32 v43, 0xfc, v0
	v_add_u32_e32 v133, v6, v8
	v_and_b32_e32 v8, 0x1fc, v48
	v_mov_b32_e32 v11, v10
	v_lshlrev_b32_e32 v101, 1, v0
	v_lshrrev_b32_e32 v49, 1, v48
	v_lshrrev_b32_e32 v165, 4, v48
	v_mov_b32_e32 v14, s3
	v_add_u32_e32 v129, v6, v43
	v_add_u32_e32 v135, v6, v8
	;; [unrolled: 1-line block ×22, first 2 shown]
	v_lshlrev_b32_e32 v160, 2, v15
	v_lshlrev_b32_e32 v161, 2, v16
	;; [unrolled: 1-line block ×4, first 2 shown]
	v_mov_b32_e32 v32, v11
	v_mov_b32_e32 v24, v11
	;; [unrolled: 1-line block ×15, first 2 shown]
	s_movk_i32 s5, 0x6e
	v_mul_i32_i24_e32 v53, s4, v1
	v_add_u32_e32 v56, 0x420, v54
	v_add_u32_e32 v58, 0x840, v54
	;; [unrolled: 1-line block ×15, first 2 shown]
	v_and_b32_e32 v102, 4, v101
	v_mul_u32_u24_e32 v118, 0x84, v0
	v_lshlrev_b32_e32 v119, 6, v0
	v_lshlrev_b32_e32 v124, 6, v48
	;; [unrolled: 1-line block ×3, first 2 shown]
	v_lshrrev_b32_e32 v128, 3, v48
	v_addc_co_u32_e32 v14, vcc, 0, v14, vcc
	v_add_u32_e32 v130, 0x8300, v129
	v_add_u32_e32 v132, 0x8700, v131
	;; [unrolled: 1-line block ×6, first 2 shown]
	s_mov_b32 s9, 0x30303030
	s_movk_i32 s14, 0x3f00
	s_movk_i32 s15, 0xe000
	v_mov_b32_e32 v159, 8
	v_lshlrev_b32_e32 v164, 2, v49
	v_lshlrev_b32_e32 v165, 2, v165
	v_mov_b32_e32 v31, v10
	v_mov_b32_e32 v23, v10
	;; [unrolled: 1-line block ×15, first 2 shown]
	s_branch .LBB149_6
.LBB149_5:                              ;   in Loop: Header=BB149_6 Depth=1
	s_add_i32 s7, s7, 2
	s_cmp_ge_i32 s7, s4
	s_cbranch_scc1 .LBB149_16
.LBB149_6:                              ; =>This Loop Header: Depth=1
                                        ;     Child Loop BB149_7 Depth 2
                                        ;     Child Loop BB149_9 Depth 2
	;; [unrolled: 1-line block ×4, first 2 shown]
	s_mul_i32 s16, s7, 0x6e
	s_mul_hi_u32 s17, s7, 0x6e
	s_add_u32 s16, s0, s16
	s_addc_u32 s17, s1, s17
	v_mov_b32_e32 v2, s16
	v_mov_b32_e32 v3, s17
	v_mad_u64_u32 v[4:5], s[16:17], v51, s5, v[2:3]
	s_mov_b32 s20, -2
	v_mad_u64_u32 v[6:7], s[16:17], v53, s5, v[4:5]
	v_mad_u64_u32 v[8:9], s[16:17], v55, s5, v[4:5]
	v_add_co_u32_e32 v6, vcc, v6, v52
	v_mad_u64_u32 v[45:46], s[16:17], v57, s5, v[4:5]
	v_addc_co_u32_e32 v7, vcc, 0, v7, vcc
	v_add_co_u32_e32 v8, vcc, v8, v52
	v_mad_u64_u32 v[47:48], s[16:17], v59, s5, v[4:5]
	v_addc_co_u32_e32 v9, vcc, 0, v9, vcc
	;; [unrolled: 3-line block ×6, first 2 shown]
	v_add_co_u32_e32 v170, vcc, v170, v52
	v_addc_co_u32_e32 v171, vcc, 0, v171, vcc
	v_mad_u64_u32 v[174:175], s[16:17], v69, s5, v[4:5]
	v_add_co_u32_e32 v172, vcc, v172, v52
	v_addc_co_u32_e32 v173, vcc, 0, v173, vcc
	global_load_dword v49, v[6:7], off offset:32
	global_load_dword v176, v[8:9], off offset:32
	;; [unrolled: 1-line block ×8, first 2 shown]
	v_mad_u64_u32 v[8:9], s[16:17], v71, s5, v[4:5]
	v_add_co_u32_e32 v6, vcc, v174, v52
	v_mad_u64_u32 v[45:46], s[16:17], v73, s5, v[4:5]
	v_addc_co_u32_e32 v7, vcc, 0, v175, vcc
	v_add_co_u32_e32 v8, vcc, v8, v52
	v_mad_u64_u32 v[47:48], s[16:17], v75, s5, v[4:5]
	v_addc_co_u32_e32 v9, vcc, 0, v9, vcc
	;; [unrolled: 3-line block ×6, first 2 shown]
	v_mad_u64_u32 v[172:173], s[16:17], v87, s5, v[2:3]
	v_add_co_u32_e32 v170, vcc, v170, v52
	v_mad_u64_u32 v[174:175], s[16:17], v89, s5, v[2:3]
	v_addc_co_u32_e32 v171, vcc, 0, v171, vcc
	v_add_co_u32_e32 v4, vcc, v4, v52
	v_addc_co_u32_e32 v5, vcc, 0, v5, vcc
	v_mad_u64_u32 v[172:173], s[16:17], v85, s5, v[172:173]
	global_load_dword v183, v[6:7], off offset:32
	global_load_dword v184, v[8:9], off offset:32
	;; [unrolled: 1-line block ×6, first 2 shown]
	s_nop 0
	global_load_dword v170, v[170:171], off offset:32
	s_nop 0
	global_load_dword v171, v[4:5], off offset:32
	s_nop 0
	global_load_ushort v172, v[172:173], off offset:108
	v_add_co_u32_e32 v4, vcc, v174, v90
	v_addc_co_u32_e32 v5, vcc, 0, v175, vcc
	v_mad_u64_u32 v[6:7], s[16:17], v91, s5, v[4:5]
	v_mad_u64_u32 v[8:9], s[16:17], v92, s5, v[4:5]
	;; [unrolled: 1-line block ×4, first 2 shown]
	global_load_dword v173, v[6:7], off
	global_load_dword v174, v[8:9], off
	;; [unrolled: 1-line block ×4, first 2 shown]
	v_mad_u64_u32 v[6:7], s[16:17], v95, s5, v[4:5]
	v_mad_u64_u32 v[8:9], s[16:17], v96, s5, v[4:5]
	;; [unrolled: 1-line block ×3, first 2 shown]
	global_load_dword v190, v[6:7], off
	global_load_dword v191, v[8:9], off
	;; [unrolled: 1-line block ×3, first 2 shown]
	v_mad_u64_u32 v[2:3], s[16:17], v100, s5, v[2:3]
	v_mad_u64_u32 v[4:5], s[16:17], v98, s5, v[4:5]
	;; [unrolled: 1-line block ×4, first 2 shown]
	v_add_co_u32_e32 v8, vcc, v6, v103
	v_mad_u64_u32 v[47:48], s[16:17], v107, s5, v[2:3]
	v_addc_co_u32_e32 v9, vcc, 0, v7, vcc
	v_add_co_u32_e32 v166, vcc, v45, v103
	v_addc_co_u32_e32 v167, vcc, 0, v46, vcc
	v_add_co_u32_e32 v168, vcc, v47, v103
	v_addc_co_u32_e32 v169, vcc, 0, v48, vcc
	v_mad_u64_u32 v[2:3], s[16:17], v108, s5, v[2:3]
	global_load_dword v193, v[4:5], off
	global_load_dword v194, v[8:9], off offset:96
	s_nop 0
	global_load_dword v166, v[166:167], off offset:96
	s_nop 0
	;; [unrolled: 2-line block ×5, first 2 shown]
	global_load_dword v48, v[45:46], off offset:104
	global_load_dword v195, v[6:7], off offset:104
	s_waitcnt vmcnt(31)
	ds_write_b32 v54, v49
	s_waitcnt vmcnt(30)
	ds_write_b32 v56, v176
	;; [unrolled: 2-line block ×13, first 2 shown]
	v_add_co_u32_e32 v2, vcc, v2, v103
	v_addc_co_u32_e32 v3, vcc, 0, v3, vcc
	s_waitcnt vmcnt(15)
	v_cvt_f32_f16_e32 v4, v172
	ds_write_b32 v80, v188
	ds_write_b32 v82, v170
	;; [unrolled: 1-line block ×4, first 2 shown]
	global_load_dword v170, v[2:3], off offset:96
	s_lshl_b32 s16, s7, 3
	v_add_u32_e32 v171, s16, v99
	v_add_u32_e32 v2, v171, v110
	v_mad_i64_i32 v[2:3], s[18:19], v2, 36, v[13:14]
	v_add_u32_e32 v6, v171, v112
	s_waitcnt vmcnt(15)
	v_not_b32_e32 v4, v173
	ds_write_b32 v139, v4
	s_waitcnt vmcnt(14)
	v_not_b32_e32 v4, v174
	ds_write_b32 v140, v4
	s_waitcnt vmcnt(13)
	v_not_b32_e32 v4, v175
	ds_write_b32 v141, v4
	s_waitcnt vmcnt(12)
	v_not_b32_e32 v4, v189
	ds_write_b32 v142, v4
	s_waitcnt vmcnt(11)
	v_not_b32_e32 v4, v190
	ds_write_b32 v143, v4
	s_waitcnt vmcnt(10)
	v_not_b32_e32 v4, v191
	ds_write_b32 v144, v4
	v_add_u32_e32 v4, v171, v111
	v_mad_i64_i32 v[4:5], s[18:19], v4, 36, v[13:14]
	v_mad_i64_i32 v[6:7], s[18:19], v6, 36, v[13:14]
	v_add_u32_e32 v8, v171, v113
	v_add_u32_e32 v45, v171, v114
	;; [unrolled: 1-line block ×3, first 2 shown]
	v_mad_i64_i32 v[8:9], s[18:19], v8, 36, v[13:14]
	v_mad_i64_i32 v[45:46], s[18:19], v45, 36, v[13:14]
	global_load_dword v172, v[2:3], off offset:4
	global_load_dword v173, v[4:5], off offset:4
	;; [unrolled: 1-line block ×4, first 2 shown]
	s_nop 0
	global_load_dword v45, v[45:46], off offset:4
	v_add_u32_e32 v2, v171, v115
	v_mad_u64_u32 v[6:7], s[18:19], v169, 36, s[2:3]
	v_mad_i64_i32 v[2:3], s[18:19], v2, 36, v[13:14]
	v_add_u32_e32 v4, v171, v116
	v_mad_i64_i32 v[4:5], s[18:19], v4, 36, v[13:14]
	v_add_u32_e32 v8, v171, v117
	v_mad_i64_i32 v[8:9], s[18:19], v8, 36, v[13:14]
	global_load_dword v6, v[6:7], off
	s_nop 0
	global_load_dword v2, v[2:3], off offset:4
	s_nop 0
	global_load_dword v3, v[4:5], off offset:4
	;; [unrolled: 2-line block ×3, first 2 shown]
	s_waitcnt vmcnt(18)
	v_not_b32_e32 v49, v192
	s_waitcnt vmcnt(17)
	v_not_b32_e32 v5, v193
	ds_write_b32 v145, v49
	ds_write_b32 v146, v5
	s_waitcnt vmcnt(16)
	v_ashrrev_i32_e32 v5, v102, v194
	s_waitcnt vmcnt(10)
	v_ashrrev_i32_e32 v7, v104, v195
	v_and_b32_e32 v5, 0xf0f0f0f, v5
	v_lshlrev_b32_e32 v7, 4, v7
	v_and_or_b32 v5, v7, s9, v5
	v_lshlrev_b16_e32 v8, 8, v5
	v_and_b32_e32 v7, 0x3f00, v5
	v_add_u16_e32 v8, 0xe000, v8
	v_or_b32_sdwa v7, v7, v8 dst_sel:DWORD dst_unused:UNUSED_PAD src0_sel:DWORD src1_sel:BYTE_1
	v_and_b32_sdwa v8, v5, s14 dst_sel:DWORD dst_unused:UNUSED_PAD src0_sel:WORD_1 src1_sel:DWORD
	v_lshlrev_b16_sdwa v5, v159, v5 dst_sel:DWORD dst_unused:UNUSED_PAD src0_sel:DWORD src1_sel:WORD_1
	v_add_u16_e32 v5, 0xe000, v5
	v_or_b32_sdwa v5, v8, v5 dst_sel:DWORD dst_unused:UNUSED_PAD src0_sel:DWORD src1_sel:BYTE_1
	v_add_u16_e32 v7, 0xe000, v7
	v_add_u16_sdwa v5, v5, s15 dst_sel:WORD_1 dst_unused:UNUSED_PAD src0_sel:DWORD src1_sel:DWORD
	v_or_b32_e32 v5, v7, v5
	ds_write_b32 v147, v5
	v_ashrrev_i32_e32 v5, v102, v166
	v_ashrrev_i32_e32 v7, v104, v48
	v_and_b32_e32 v5, 0xf0f0f0f, v5
	v_lshlrev_b32_e32 v7, 4, v7
	v_and_or_b32 v5, v7, s9, v5
	v_lshlrev_b16_e32 v8, 8, v5
	v_and_b32_e32 v7, 0x3f00, v5
	v_add_u16_e32 v8, 0xe000, v8
	v_or_b32_sdwa v7, v7, v8 dst_sel:DWORD dst_unused:UNUSED_PAD src0_sel:DWORD src1_sel:BYTE_1
	v_and_b32_sdwa v8, v5, s14 dst_sel:DWORD dst_unused:UNUSED_PAD src0_sel:WORD_1 src1_sel:DWORD
	v_lshlrev_b16_sdwa v5, v159, v5 dst_sel:DWORD dst_unused:UNUSED_PAD src0_sel:DWORD src1_sel:WORD_1
	v_add_u16_e32 v5, 0xe000, v5
	v_or_b32_sdwa v5, v8, v5 dst_sel:DWORD dst_unused:UNUSED_PAD src0_sel:DWORD src1_sel:BYTE_1
	v_add_u16_e32 v7, 0xe000, v7
	v_add_u16_sdwa v5, v5, s15 dst_sel:WORD_1 dst_unused:UNUSED_PAD src0_sel:DWORD src1_sel:DWORD
	v_or_b32_e32 v5, v7, v5
	ds_write_b32 v148, v5
	v_ashrrev_i32_e32 v5, v102, v167
	v_ashrrev_i32_e32 v7, v104, v47
	v_and_b32_e32 v5, 0xf0f0f0f, v5
	v_lshlrev_b32_e32 v7, 4, v7
	v_and_or_b32 v5, v7, s9, v5
	v_lshlrev_b16_e32 v8, 8, v5
	v_and_b32_e32 v7, 0x3f00, v5
	v_add_u16_e32 v8, 0xe000, v8
	v_or_b32_sdwa v7, v7, v8 dst_sel:DWORD dst_unused:UNUSED_PAD src0_sel:DWORD src1_sel:BYTE_1
	v_and_b32_sdwa v8, v5, s14 dst_sel:DWORD dst_unused:UNUSED_PAD src0_sel:WORD_1 src1_sel:DWORD
	v_lshlrev_b16_sdwa v5, v159, v5 dst_sel:DWORD dst_unused:UNUSED_PAD src0_sel:DWORD src1_sel:WORD_1
	v_add_u16_e32 v5, 0xe000, v5
	v_or_b32_sdwa v5, v8, v5 dst_sel:DWORD dst_unused:UNUSED_PAD src0_sel:DWORD src1_sel:BYTE_1
	v_add_u16_e32 v7, 0xe000, v7
	v_add_u16_sdwa v5, v5, s15 dst_sel:WORD_1 dst_unused:UNUSED_PAD src0_sel:DWORD src1_sel:DWORD
	v_or_b32_e32 v5, v7, v5
	ds_write_b32 v149, v5
	s_waitcnt vmcnt(9)
	v_ashrrev_i32_e32 v5, v102, v170
	v_ashrrev_i32_e32 v7, v104, v168
	v_and_b32_e32 v5, 0xf0f0f0f, v5
	v_lshlrev_b32_e32 v7, 4, v7
	v_and_or_b32 v5, v7, s9, v5
	v_lshlrev_b16_e32 v8, 8, v5
	v_and_b32_e32 v7, 0x3f00, v5
	v_add_u16_e32 v8, 0xe000, v8
	v_or_b32_sdwa v7, v7, v8 dst_sel:DWORD dst_unused:UNUSED_PAD src0_sel:DWORD src1_sel:BYTE_1
	v_and_b32_sdwa v8, v5, s14 dst_sel:DWORD dst_unused:UNUSED_PAD src0_sel:WORD_1 src1_sel:DWORD
	v_lshlrev_b16_sdwa v5, v159, v5 dst_sel:DWORD dst_unused:UNUSED_PAD src0_sel:DWORD src1_sel:WORD_1
	v_add_u16_e32 v5, 0xe000, v5
	v_or_b32_sdwa v5, v8, v5 dst_sel:DWORD dst_unused:UNUSED_PAD src0_sel:DWORD src1_sel:BYTE_1
	v_add_u16_e32 v7, 0xe000, v7
	v_add_u16_sdwa v5, v5, s15 dst_sel:WORD_1 dst_unused:UNUSED_PAD src0_sel:DWORD src1_sel:DWORD
	v_or_b32_e32 v5, v7, v5
	ds_write_b32 v150, v5
	s_waitcnt vmcnt(8)
	ds_write_b32 v151, v172
	s_waitcnt vmcnt(7)
	;; [unrolled: 2-line block ×5, first 2 shown]
	ds_write_b32 v155, v45
	v_mov_b32_e32 v170, v138
	v_mov_b32_e32 v171, v137
	s_mov_b32 s17, 0
	s_mov_b32 s18, 0
	s_waitcnt vmcnt(3)
	v_cvt_f32_f16_e32 v5, v6
	s_waitcnt vmcnt(2)
	ds_write_b32 v156, v2
	s_waitcnt vmcnt(1)
	ds_write_b32 v157, v3
	;; [unrolled: 2-line block ×3, first 2 shown]
	ds_write_b32 v109, v5
	s_waitcnt lgkmcnt(0)
	s_barrier
.LBB149_7:                              ;   Parent Loop BB149_6 Depth=1
                                        ; =>  This Inner Loop Header: Depth=2
	s_add_i32 s19, s20, 2
	s_lshr_b32 s23, s19, 4
	s_and_b32 s21, s19, 0x3ffffff8
	v_lshl_add_u32 v195, s21, 2, v118
	s_lshl_b32 s21, s23, 5
	s_addk_i32 s21, 0x4200
	v_lshlrev_b32_e32 v166, 2, v86
	v_add3_u32 v174, s21, v166, v119
	ds_read2_b32 v[45:46], v171 offset1:32
	ds_read_b128 v[6:9], v170
	ds_read_b128 v[2:5], v170 offset:16
	ds_read2_b32 v[47:48], v195 offset1:1
	ds_read2_b32 v[167:168], v174 offset1:1
	s_and_b32 s22, s18, -16
	s_add_i32 s20, s20, s22
	s_lshl_b32 s22, s23, 2
	s_waitcnt lgkmcnt(1)
	v_ashrrev_i32_e32 v47, s19, v47
	s_waitcnt lgkmcnt(0)
	v_ashrrev_i32_e32 v167, s17, v167
	v_lshlrev_b32_e32 v167, 2, v167
	v_and_b32_e32 v49, 0x3030303, v47
	v_bfe_u32 v47, v47, 24, 2
	v_and_b32_e32 v167, 0x4040404, v167
	v_sub_u16_e32 v172, v49, v167
	v_sub_u16_sdwa v173, v49, v167 dst_sel:BYTE_1 dst_unused:UNUSED_PAD src0_sel:BYTE_1 src1_sel:BYTE_1
	v_sub_u16_sdwa v47, v47, v167 dst_sel:BYTE_1 dst_unused:UNUSED_PAD src0_sel:DWORD src1_sel:BYTE_3
	v_sub_u16_sdwa v49, v49, v167 dst_sel:DWORD dst_unused:UNUSED_PAD src0_sel:WORD_1 src1_sel:WORD_1
	v_ashrrev_i32_e32 v167, s17, v168
	v_ashrrev_i32_e32 v48, s19, v48
	v_lshlrev_b32_e32 v167, 2, v167
	v_or_b32_sdwa v172, v172, v173 dst_sel:DWORD dst_unused:UNUSED_PAD src0_sel:BYTE_0 src1_sel:DWORD
	v_or_b32_sdwa v47, v49, v47 dst_sel:WORD_1 dst_unused:UNUSED_PAD src0_sel:BYTE_0 src1_sel:DWORD
	v_and_b32_e32 v49, 0x3030303, v48
	v_bfe_u32 v48, v48, 24, 2
	v_and_b32_e32 v167, 0x4040404, v167
	v_or_b32_sdwa v47, v172, v47 dst_sel:DWORD dst_unused:UNUSED_PAD src0_sel:WORD_0 src1_sel:DWORD
	v_sub_u16_e32 v168, v49, v167
	v_sub_u16_sdwa v172, v49, v167 dst_sel:BYTE_1 dst_unused:UNUSED_PAD src0_sel:BYTE_1 src1_sel:BYTE_1
	v_sub_u16_sdwa v48, v48, v167 dst_sel:BYTE_1 dst_unused:UNUSED_PAD src0_sel:DWORD src1_sel:BYTE_3
	v_sub_u16_sdwa v49, v49, v167 dst_sel:DWORD dst_unused:UNUSED_PAD src0_sel:WORD_1 src1_sel:WORD_1
	v_or_b32_sdwa v168, v168, v172 dst_sel:DWORD dst_unused:UNUSED_PAD src0_sel:BYTE_0 src1_sel:DWORD
	v_or_b32_sdwa v48, v49, v48 dst_sel:WORD_1 dst_unused:UNUSED_PAD src0_sel:BYTE_0 src1_sel:DWORD
	v_or_b32_sdwa v48, v168, v48 dst_sel:DWORD dst_unused:UNUSED_PAD src0_sel:WORD_0 src1_sel:DWORD
	ds_read2_b32 v[167:168], v195 offset0:2 offset1:3
	ds_read2_b32 v[172:173], v174 offset0:2 offset1:3
	s_add_i32 s22, s22, 0x9380
	v_add3_u32 v182, s21, v160, v120
	v_add3_u32 v191, s21, v162, v122
	s_waitcnt lgkmcnt(1)
	v_ashrrev_i32_e32 v49, s19, v167
	s_waitcnt lgkmcnt(0)
	v_ashrrev_i32_e32 v172, s17, v172
	v_lshlrev_b32_e32 v172, 2, v172
	v_and_b32_e32 v167, 0x3030303, v49
	v_bfe_u32 v49, v49, 24, 2
	v_and_b32_e32 v172, 0x4040404, v172
	v_sub_u16_e32 v175, v167, v172
	v_sub_u16_sdwa v176, v167, v172 dst_sel:BYTE_1 dst_unused:UNUSED_PAD src0_sel:BYTE_1 src1_sel:BYTE_1
	v_sub_u16_sdwa v49, v49, v172 dst_sel:BYTE_1 dst_unused:UNUSED_PAD src0_sel:DWORD src1_sel:BYTE_3
	v_sub_u16_sdwa v167, v167, v172 dst_sel:DWORD dst_unused:UNUSED_PAD src0_sel:WORD_1 src1_sel:WORD_1
	v_ashrrev_i32_e32 v172, s17, v173
	v_or_b32_sdwa v49, v167, v49 dst_sel:WORD_1 dst_unused:UNUSED_PAD src0_sel:BYTE_0 src1_sel:DWORD
	v_ashrrev_i32_e32 v167, s19, v168
	v_lshlrev_b32_e32 v172, 2, v172
	v_or_b32_sdwa v175, v175, v176 dst_sel:DWORD dst_unused:UNUSED_PAD src0_sel:BYTE_0 src1_sel:DWORD
	v_and_b32_e32 v168, 0x3030303, v167
	v_bfe_u32 v167, v167, 24, 2
	v_and_b32_e32 v172, 0x4040404, v172
	v_or_b32_sdwa v49, v175, v49 dst_sel:DWORD dst_unused:UNUSED_PAD src0_sel:WORD_0 src1_sel:DWORD
	v_sub_u16_e32 v173, v168, v172
	v_sub_u16_sdwa v175, v168, v172 dst_sel:BYTE_1 dst_unused:UNUSED_PAD src0_sel:BYTE_1 src1_sel:BYTE_1
	v_sub_u16_sdwa v167, v167, v172 dst_sel:BYTE_1 dst_unused:UNUSED_PAD src0_sel:DWORD src1_sel:BYTE_3
	v_sub_u16_sdwa v168, v168, v172 dst_sel:DWORD dst_unused:UNUSED_PAD src0_sel:WORD_1 src1_sel:WORD_1
	v_or_b32_sdwa v173, v173, v175 dst_sel:DWORD dst_unused:UNUSED_PAD src0_sel:BYTE_0 src1_sel:DWORD
	v_or_b32_sdwa v167, v168, v167 dst_sel:WORD_1 dst_unused:UNUSED_PAD src0_sel:BYTE_0 src1_sel:DWORD
	v_or_b32_sdwa v200, v173, v167 dst_sel:DWORD dst_unused:UNUSED_PAD src0_sel:WORD_0 src1_sel:DWORD
	ds_read2_b32 v[167:168], v195 offset0:4 offset1:5
	ds_read2_b32 v[172:173], v174 offset0:4 offset1:5
	v_add3_u32 v212, s21, v164, v124
	v_add_u32_e32 v205, s20, v130
	v_add_u32_e32 v209, s20, v132
	s_waitcnt lgkmcnt(1)
	v_ashrrev_i32_e32 v167, s19, v167
	s_waitcnt lgkmcnt(0)
	v_ashrrev_i32_e32 v172, s17, v172
	v_lshlrev_b32_e32 v172, 2, v172
	v_and_b32_e32 v175, 0x3030303, v167
	v_bfe_u32 v167, v167, 24, 2
	v_and_b32_e32 v172, 0x4040404, v172
	v_sub_u16_e32 v176, v175, v172
	v_sub_u16_sdwa v177, v175, v172 dst_sel:BYTE_1 dst_unused:UNUSED_PAD src0_sel:BYTE_1 src1_sel:BYTE_1
	v_sub_u16_sdwa v167, v167, v172 dst_sel:BYTE_1 dst_unused:UNUSED_PAD src0_sel:DWORD src1_sel:BYTE_3
	v_sub_u16_sdwa v172, v175, v172 dst_sel:DWORD dst_unused:UNUSED_PAD src0_sel:WORD_1 src1_sel:WORD_1
	v_or_b32_sdwa v176, v176, v177 dst_sel:DWORD dst_unused:UNUSED_PAD src0_sel:BYTE_0 src1_sel:DWORD
	v_or_b32_sdwa v167, v172, v167 dst_sel:WORD_1 dst_unused:UNUSED_PAD src0_sel:BYTE_0 src1_sel:DWORD
	v_ashrrev_i32_e32 v172, s17, v173
	v_or_b32_sdwa v201, v176, v167 dst_sel:DWORD dst_unused:UNUSED_PAD src0_sel:WORD_0 src1_sel:DWORD
	v_ashrrev_i32_e32 v167, s19, v168
	v_lshlrev_b32_e32 v172, 2, v172
	v_and_b32_e32 v168, 0x3030303, v167
	v_bfe_u32 v167, v167, 24, 2
	v_and_b32_e32 v172, 0x4040404, v172
	v_sub_u16_e32 v173, v168, v172
	v_sub_u16_sdwa v175, v168, v172 dst_sel:BYTE_1 dst_unused:UNUSED_PAD src0_sel:BYTE_1 src1_sel:BYTE_1
	v_sub_u16_sdwa v167, v167, v172 dst_sel:BYTE_1 dst_unused:UNUSED_PAD src0_sel:DWORD src1_sel:BYTE_3
	v_sub_u16_sdwa v168, v168, v172 dst_sel:DWORD dst_unused:UNUSED_PAD src0_sel:WORD_1 src1_sel:WORD_1
	v_or_b32_sdwa v173, v173, v175 dst_sel:DWORD dst_unused:UNUSED_PAD src0_sel:BYTE_0 src1_sel:DWORD
	v_or_b32_sdwa v167, v168, v167 dst_sel:WORD_1 dst_unused:UNUSED_PAD src0_sel:BYTE_0 src1_sel:DWORD
	v_or_b32_sdwa v202, v173, v167 dst_sel:DWORD dst_unused:UNUSED_PAD src0_sel:WORD_0 src1_sel:DWORD
	ds_read2_b32 v[167:168], v195 offset0:6 offset1:7
	ds_read2_b32 v[172:173], v174 offset0:6 offset1:7
	v_add_u32_e32 v214, s20, v134
	s_add_i32 s18, s18, 2
	s_waitcnt lgkmcnt(1)
	v_ashrrev_i32_e32 v167, s19, v167
	s_waitcnt lgkmcnt(0)
	v_ashrrev_i32_e32 v172, s17, v172
	v_lshlrev_b32_e32 v172, 2, v172
	v_and_b32_e32 v175, 0x3030303, v167
	v_bfe_u32 v167, v167, 24, 2
	v_and_b32_e32 v172, 0x4040404, v172
	v_sub_u16_e32 v174, v175, v172
	v_sub_u16_sdwa v176, v175, v172 dst_sel:BYTE_1 dst_unused:UNUSED_PAD src0_sel:BYTE_1 src1_sel:BYTE_1
	v_sub_u16_sdwa v167, v167, v172 dst_sel:BYTE_1 dst_unused:UNUSED_PAD src0_sel:DWORD src1_sel:BYTE_3
	v_sub_u16_sdwa v172, v175, v172 dst_sel:DWORD dst_unused:UNUSED_PAD src0_sel:WORD_1 src1_sel:WORD_1
	v_or_b32_sdwa v174, v174, v176 dst_sel:DWORD dst_unused:UNUSED_PAD src0_sel:BYTE_0 src1_sel:DWORD
	v_or_b32_sdwa v167, v172, v167 dst_sel:WORD_1 dst_unused:UNUSED_PAD src0_sel:BYTE_0 src1_sel:DWORD
	v_ashrrev_i32_e32 v172, s17, v173
	v_or_b32_sdwa v203, v174, v167 dst_sel:DWORD dst_unused:UNUSED_PAD src0_sel:WORD_0 src1_sel:DWORD
	v_ashrrev_i32_e32 v167, s19, v168
	v_lshlrev_b32_e32 v172, 2, v172
	v_and_b32_e32 v168, 0x3030303, v167
	v_bfe_u32 v167, v167, 24, 2
	v_and_b32_e32 v172, 0x4040404, v172
	v_sub_u16_e32 v173, v168, v172
	v_sub_u16_sdwa v174, v168, v172 dst_sel:BYTE_1 dst_unused:UNUSED_PAD src0_sel:BYTE_1 src1_sel:BYTE_1
	v_sub_u16_sdwa v167, v167, v172 dst_sel:BYTE_1 dst_unused:UNUSED_PAD src0_sel:DWORD src1_sel:BYTE_3
	v_sub_u16_sdwa v168, v168, v172 dst_sel:DWORD dst_unused:UNUSED_PAD src0_sel:WORD_1 src1_sel:WORD_1
	v_or_b32_sdwa v173, v173, v174 dst_sel:DWORD dst_unused:UNUSED_PAD src0_sel:BYTE_0 src1_sel:DWORD
	v_or_b32_sdwa v167, v168, v167 dst_sel:WORD_1 dst_unused:UNUSED_PAD src0_sel:BYTE_0 src1_sel:DWORD
	v_or_b32_sdwa v204, v173, v167 dst_sel:DWORD dst_unused:UNUSED_PAD src0_sel:WORD_0 src1_sel:DWORD
	v_dot4_i32_i8 v173, v47, v6, 0
	v_dot4_i32_i8 v173, v48, v7, v173
	;; [unrolled: 1-line block ×6, first 2 shown]
	v_lshlrev_b32_e32 v167, 2, v51
	v_lshlrev_b32_e32 v168, 2, v101
	v_dot4_i32_i8 v173, v203, v4, v173
	v_add3_u32 v172, s22, v167, v168
	v_dot4_i32_i8 v207, v204, v5, v173
	v_add_u32_e32 v173, 0x1080, v195
	ds_read_b32 v172, v172
	ds_read2_b32 v[173:174], v173 offset1:1
	ds_read2_b32 v[175:176], v182 offset1:1
	s_waitcnt lgkmcnt(1)
	v_ashrrev_i32_e32 v173, s19, v173
	s_waitcnt lgkmcnt(0)
	v_ashrrev_i32_e32 v175, s17, v175
	v_lshlrev_b32_e32 v175, 2, v175
	v_and_b32_e32 v177, 0x3030303, v173
	v_bfe_u32 v173, v173, 24, 2
	v_and_b32_e32 v175, 0x4040404, v175
	v_ashrrev_i32_e32 v176, s17, v176
	v_sub_u16_e32 v178, v177, v175
	v_sub_u16_sdwa v179, v177, v175 dst_sel:BYTE_1 dst_unused:UNUSED_PAD src0_sel:BYTE_1 src1_sel:BYTE_1
	v_sub_u16_sdwa v173, v173, v175 dst_sel:BYTE_1 dst_unused:UNUSED_PAD src0_sel:DWORD src1_sel:BYTE_3
	v_sub_u16_sdwa v175, v177, v175 dst_sel:DWORD dst_unused:UNUSED_PAD src0_sel:WORD_1 src1_sel:WORD_1
	v_ashrrev_i32_e32 v174, s19, v174
	v_lshlrev_b32_e32 v176, 2, v176
	v_or_b32_sdwa v178, v178, v179 dst_sel:DWORD dst_unused:UNUSED_PAD src0_sel:BYTE_0 src1_sel:DWORD
	v_or_b32_sdwa v173, v175, v173 dst_sel:WORD_1 dst_unused:UNUSED_PAD src0_sel:BYTE_0 src1_sel:DWORD
	v_and_b32_e32 v175, 0x3030303, v174
	v_bfe_u32 v174, v174, 24, 2
	v_and_b32_e32 v176, 0x4040404, v176
	v_or_b32_sdwa v173, v178, v173 dst_sel:DWORD dst_unused:UNUSED_PAD src0_sel:WORD_0 src1_sel:DWORD
	v_sub_u16_e32 v177, v175, v176
	v_sub_u16_sdwa v178, v175, v176 dst_sel:BYTE_1 dst_unused:UNUSED_PAD src0_sel:BYTE_1 src1_sel:BYTE_1
	v_sub_u16_sdwa v174, v174, v176 dst_sel:BYTE_1 dst_unused:UNUSED_PAD src0_sel:DWORD src1_sel:BYTE_3
	v_sub_u16_sdwa v175, v175, v176 dst_sel:DWORD dst_unused:UNUSED_PAD src0_sel:WORD_1 src1_sel:WORD_1
	v_or_b32_sdwa v177, v177, v178 dst_sel:DWORD dst_unused:UNUSED_PAD src0_sel:BYTE_0 src1_sel:DWORD
	v_or_b32_sdwa v174, v175, v174 dst_sel:WORD_1 dst_unused:UNUSED_PAD src0_sel:BYTE_0 src1_sel:DWORD
	v_add_u32_e32 v175, 0x1088, v195
	v_or_b32_sdwa v174, v177, v174 dst_sel:DWORD dst_unused:UNUSED_PAD src0_sel:WORD_0 src1_sel:DWORD
	ds_read2_b32 v[175:176], v175 offset1:1
	ds_read2_b32 v[177:178], v182 offset0:2 offset1:3
	s_waitcnt lgkmcnt(1)
	v_ashrrev_i32_e32 v175, s19, v175
	s_waitcnt lgkmcnt(0)
	v_ashrrev_i32_e32 v177, s17, v177
	v_lshlrev_b32_e32 v177, 2, v177
	v_and_b32_e32 v179, 0x3030303, v175
	v_bfe_u32 v175, v175, 24, 2
	v_and_b32_e32 v177, 0x4040404, v177
	v_ashrrev_i32_e32 v178, s17, v178
	v_sub_u16_e32 v180, v179, v177
	v_sub_u16_sdwa v181, v179, v177 dst_sel:BYTE_1 dst_unused:UNUSED_PAD src0_sel:BYTE_1 src1_sel:BYTE_1
	v_sub_u16_sdwa v175, v175, v177 dst_sel:BYTE_1 dst_unused:UNUSED_PAD src0_sel:DWORD src1_sel:BYTE_3
	v_sub_u16_sdwa v177, v179, v177 dst_sel:DWORD dst_unused:UNUSED_PAD src0_sel:WORD_1 src1_sel:WORD_1
	v_ashrrev_i32_e32 v176, s19, v176
	v_lshlrev_b32_e32 v178, 2, v178
	v_or_b32_sdwa v180, v180, v181 dst_sel:DWORD dst_unused:UNUSED_PAD src0_sel:BYTE_0 src1_sel:DWORD
	v_or_b32_sdwa v175, v177, v175 dst_sel:WORD_1 dst_unused:UNUSED_PAD src0_sel:BYTE_0 src1_sel:DWORD
	v_and_b32_e32 v177, 0x3030303, v176
	v_bfe_u32 v176, v176, 24, 2
	v_and_b32_e32 v178, 0x4040404, v178
	v_or_b32_sdwa v175, v180, v175 dst_sel:DWORD dst_unused:UNUSED_PAD src0_sel:WORD_0 src1_sel:DWORD
	v_sub_u16_e32 v179, v177, v178
	v_sub_u16_sdwa v180, v177, v178 dst_sel:BYTE_1 dst_unused:UNUSED_PAD src0_sel:BYTE_1 src1_sel:BYTE_1
	v_sub_u16_sdwa v176, v176, v178 dst_sel:BYTE_1 dst_unused:UNUSED_PAD src0_sel:DWORD src1_sel:BYTE_3
	v_sub_u16_sdwa v177, v177, v178 dst_sel:DWORD dst_unused:UNUSED_PAD src0_sel:WORD_1 src1_sel:WORD_1
	v_or_b32_sdwa v179, v179, v180 dst_sel:DWORD dst_unused:UNUSED_PAD src0_sel:BYTE_0 src1_sel:DWORD
	v_or_b32_sdwa v176, v177, v176 dst_sel:WORD_1 dst_unused:UNUSED_PAD src0_sel:BYTE_0 src1_sel:DWORD
	v_add_u32_e32 v177, 0x1090, v195
	v_or_b32_sdwa v176, v179, v176 dst_sel:DWORD dst_unused:UNUSED_PAD src0_sel:WORD_0 src1_sel:DWORD
	ds_read2_b32 v[178:179], v177 offset1:1
	ds_read2_b32 v[180:181], v182 offset0:4 offset1:5
	s_waitcnt lgkmcnt(1)
	v_ashrrev_i32_e32 v177, s19, v178
	s_waitcnt lgkmcnt(0)
	v_ashrrev_i32_e32 v180, s17, v180
	v_lshlrev_b32_e32 v180, 2, v180
	v_and_b32_e32 v178, 0x3030303, v177
	v_bfe_u32 v177, v177, 24, 2
	v_and_b32_e32 v180, 0x4040404, v180
	v_sub_u16_e32 v183, v178, v180
	v_sub_u16_sdwa v184, v178, v180 dst_sel:BYTE_1 dst_unused:UNUSED_PAD src0_sel:BYTE_1 src1_sel:BYTE_1
	v_sub_u16_sdwa v177, v177, v180 dst_sel:BYTE_1 dst_unused:UNUSED_PAD src0_sel:DWORD src1_sel:BYTE_3
	v_sub_u16_sdwa v178, v178, v180 dst_sel:DWORD dst_unused:UNUSED_PAD src0_sel:WORD_1 src1_sel:WORD_1
	v_or_b32_sdwa v183, v183, v184 dst_sel:DWORD dst_unused:UNUSED_PAD src0_sel:BYTE_0 src1_sel:DWORD
	v_or_b32_sdwa v177, v178, v177 dst_sel:WORD_1 dst_unused:UNUSED_PAD src0_sel:BYTE_0 src1_sel:DWORD
	v_ashrrev_i32_e32 v180, s17, v181
	v_or_b32_sdwa v178, v183, v177 dst_sel:DWORD dst_unused:UNUSED_PAD src0_sel:WORD_0 src1_sel:DWORD
	v_ashrrev_i32_e32 v177, s19, v179
	v_lshlrev_b32_e32 v180, 2, v180
	v_and_b32_e32 v179, 0x3030303, v177
	v_bfe_u32 v177, v177, 24, 2
	v_and_b32_e32 v180, 0x4040404, v180
	v_sub_u16_e32 v181, v179, v180
	v_sub_u16_sdwa v183, v179, v180 dst_sel:BYTE_1 dst_unused:UNUSED_PAD src0_sel:BYTE_1 src1_sel:BYTE_1
	v_sub_u16_sdwa v177, v177, v180 dst_sel:BYTE_1 dst_unused:UNUSED_PAD src0_sel:DWORD src1_sel:BYTE_3
	v_sub_u16_sdwa v179, v179, v180 dst_sel:DWORD dst_unused:UNUSED_PAD src0_sel:WORD_1 src1_sel:WORD_1
	v_or_b32_sdwa v181, v181, v183 dst_sel:DWORD dst_unused:UNUSED_PAD src0_sel:BYTE_0 src1_sel:DWORD
	v_or_b32_sdwa v177, v179, v177 dst_sel:WORD_1 dst_unused:UNUSED_PAD src0_sel:BYTE_0 src1_sel:DWORD
	v_or_b32_sdwa v179, v181, v177 dst_sel:DWORD dst_unused:UNUSED_PAD src0_sel:WORD_0 src1_sel:DWORD
	v_add_u32_e32 v177, 0x1098, v195
	ds_read2_b32 v[180:181], v177 offset1:1
	ds_read2_b32 v[182:183], v182 offset0:6 offset1:7
	s_waitcnt lgkmcnt(1)
	v_ashrrev_i32_e32 v177, s19, v180
	s_waitcnt lgkmcnt(0)
	v_ashrrev_i32_e32 v182, s17, v182
	v_lshlrev_b32_e32 v182, 2, v182
	v_and_b32_e32 v180, 0x3030303, v177
	v_bfe_u32 v177, v177, 24, 2
	v_and_b32_e32 v182, 0x4040404, v182
	v_sub_u16_e32 v184, v180, v182
	v_sub_u16_sdwa v185, v180, v182 dst_sel:BYTE_1 dst_unused:UNUSED_PAD src0_sel:BYTE_1 src1_sel:BYTE_1
	v_sub_u16_sdwa v177, v177, v182 dst_sel:BYTE_1 dst_unused:UNUSED_PAD src0_sel:DWORD src1_sel:BYTE_3
	v_sub_u16_sdwa v180, v180, v182 dst_sel:DWORD dst_unused:UNUSED_PAD src0_sel:WORD_1 src1_sel:WORD_1
	v_or_b32_sdwa v184, v184, v185 dst_sel:DWORD dst_unused:UNUSED_PAD src0_sel:BYTE_0 src1_sel:DWORD
	v_or_b32_sdwa v177, v180, v177 dst_sel:WORD_1 dst_unused:UNUSED_PAD src0_sel:BYTE_0 src1_sel:DWORD
	v_or_b32_sdwa v182, v184, v177 dst_sel:DWORD dst_unused:UNUSED_PAD src0_sel:WORD_0 src1_sel:DWORD
	v_ashrrev_i32_e32 v177, s19, v181
	v_ashrrev_i32_e32 v181, s17, v183
	v_lshlrev_b32_e32 v181, 2, v181
	v_and_b32_e32 v180, 0x3030303, v177
	v_bfe_u32 v177, v177, 24, 2
	v_and_b32_e32 v181, 0x4040404, v181
	v_sub_u16_e32 v183, v180, v181
	v_sub_u16_sdwa v184, v180, v181 dst_sel:BYTE_1 dst_unused:UNUSED_PAD src0_sel:BYTE_1 src1_sel:BYTE_1
	v_sub_u16_sdwa v177, v177, v181 dst_sel:BYTE_1 dst_unused:UNUSED_PAD src0_sel:DWORD src1_sel:BYTE_3
	v_sub_u16_sdwa v180, v180, v181 dst_sel:DWORD dst_unused:UNUSED_PAD src0_sel:WORD_1 src1_sel:WORD_1
	v_or_b32_sdwa v177, v180, v177 dst_sel:WORD_1 dst_unused:UNUSED_PAD src0_sel:BYTE_0 src1_sel:DWORD
	v_dot4_i32_i8 v180, v173, v6, 0
	v_dot4_i32_i8 v180, v174, v7, v180
	v_dot4_i32_i8 v180, v175, v8, v180
	v_dot4_i32_i8 v208, v176, v9, v180
	v_dot4_i32_i8 v180, v178, v2, 0
	v_or_b32_sdwa v183, v183, v184 dst_sel:DWORD dst_unused:UNUSED_PAD src0_sel:BYTE_0 src1_sel:DWORD
	v_dot4_i32_i8 v180, v179, v3, v180
	v_or_b32_sdwa v183, v183, v177 dst_sel:DWORD dst_unused:UNUSED_PAD src0_sel:WORD_0 src1_sel:DWORD
	v_dot4_i32_i8 v180, v182, v4, v180
	v_add3_u32 v177, s22, v161, v121
	v_dot4_i32_i8 v211, v183, v5, v180
	v_add_u32_e32 v180, 0x2100, v195
	ds_read_b32 v177, v177
	ds_read2_b32 v[180:181], v180 offset1:1
	ds_read2_b32 v[184:185], v191 offset1:1
	s_waitcnt lgkmcnt(1)
	v_ashrrev_i32_e32 v180, s19, v180
	s_waitcnt lgkmcnt(0)
	v_ashrrev_i32_e32 v184, s17, v184
	v_lshlrev_b32_e32 v184, 2, v184
	v_and_b32_e32 v186, 0x3030303, v180
	v_bfe_u32 v180, v180, 24, 2
	v_and_b32_e32 v184, 0x4040404, v184
	v_ashrrev_i32_e32 v185, s17, v185
	v_sub_u16_e32 v187, v186, v184
	v_sub_u16_sdwa v188, v186, v184 dst_sel:BYTE_1 dst_unused:UNUSED_PAD src0_sel:BYTE_1 src1_sel:BYTE_1
	v_sub_u16_sdwa v180, v180, v184 dst_sel:BYTE_1 dst_unused:UNUSED_PAD src0_sel:DWORD src1_sel:BYTE_3
	v_sub_u16_sdwa v184, v186, v184 dst_sel:DWORD dst_unused:UNUSED_PAD src0_sel:WORD_1 src1_sel:WORD_1
	v_ashrrev_i32_e32 v181, s19, v181
	v_lshlrev_b32_e32 v185, 2, v185
	v_or_b32_sdwa v187, v187, v188 dst_sel:DWORD dst_unused:UNUSED_PAD src0_sel:BYTE_0 src1_sel:DWORD
	v_or_b32_sdwa v180, v184, v180 dst_sel:WORD_1 dst_unused:UNUSED_PAD src0_sel:BYTE_0 src1_sel:DWORD
	v_and_b32_e32 v184, 0x3030303, v181
	v_bfe_u32 v181, v181, 24, 2
	v_and_b32_e32 v185, 0x4040404, v185
	v_or_b32_sdwa v180, v187, v180 dst_sel:DWORD dst_unused:UNUSED_PAD src0_sel:WORD_0 src1_sel:DWORD
	v_sub_u16_e32 v186, v184, v185
	v_sub_u16_sdwa v187, v184, v185 dst_sel:BYTE_1 dst_unused:UNUSED_PAD src0_sel:BYTE_1 src1_sel:BYTE_1
	v_sub_u16_sdwa v181, v181, v185 dst_sel:BYTE_1 dst_unused:UNUSED_PAD src0_sel:DWORD src1_sel:BYTE_3
	v_sub_u16_sdwa v184, v184, v185 dst_sel:DWORD dst_unused:UNUSED_PAD src0_sel:WORD_1 src1_sel:WORD_1
	v_or_b32_sdwa v186, v186, v187 dst_sel:DWORD dst_unused:UNUSED_PAD src0_sel:BYTE_0 src1_sel:DWORD
	v_or_b32_sdwa v181, v184, v181 dst_sel:WORD_1 dst_unused:UNUSED_PAD src0_sel:BYTE_0 src1_sel:DWORD
	v_add_u32_e32 v184, 0x2108, v195
	v_or_b32_sdwa v181, v186, v181 dst_sel:DWORD dst_unused:UNUSED_PAD src0_sel:WORD_0 src1_sel:DWORD
	ds_read2_b32 v[184:185], v184 offset1:1
	ds_read2_b32 v[186:187], v191 offset0:2 offset1:3
	s_waitcnt lgkmcnt(1)
	v_ashrrev_i32_e32 v184, s19, v184
	s_waitcnt lgkmcnt(0)
	v_ashrrev_i32_e32 v186, s17, v186
	v_lshlrev_b32_e32 v186, 2, v186
	v_and_b32_e32 v188, 0x3030303, v184
	v_bfe_u32 v184, v184, 24, 2
	v_and_b32_e32 v186, 0x4040404, v186
	v_ashrrev_i32_e32 v187, s17, v187
	v_sub_u16_e32 v189, v188, v186
	v_sub_u16_sdwa v190, v188, v186 dst_sel:BYTE_1 dst_unused:UNUSED_PAD src0_sel:BYTE_1 src1_sel:BYTE_1
	v_sub_u16_sdwa v184, v184, v186 dst_sel:BYTE_1 dst_unused:UNUSED_PAD src0_sel:DWORD src1_sel:BYTE_3
	v_sub_u16_sdwa v186, v188, v186 dst_sel:DWORD dst_unused:UNUSED_PAD src0_sel:WORD_1 src1_sel:WORD_1
	v_ashrrev_i32_e32 v185, s19, v185
	v_lshlrev_b32_e32 v187, 2, v187
	v_or_b32_sdwa v189, v189, v190 dst_sel:DWORD dst_unused:UNUSED_PAD src0_sel:BYTE_0 src1_sel:DWORD
	v_or_b32_sdwa v184, v186, v184 dst_sel:WORD_1 dst_unused:UNUSED_PAD src0_sel:BYTE_0 src1_sel:DWORD
	v_and_b32_e32 v186, 0x3030303, v185
	v_bfe_u32 v185, v185, 24, 2
	v_and_b32_e32 v187, 0x4040404, v187
	v_or_b32_sdwa v184, v189, v184 dst_sel:DWORD dst_unused:UNUSED_PAD src0_sel:WORD_0 src1_sel:DWORD
	v_sub_u16_e32 v188, v186, v187
	v_sub_u16_sdwa v189, v186, v187 dst_sel:BYTE_1 dst_unused:UNUSED_PAD src0_sel:BYTE_1 src1_sel:BYTE_1
	v_sub_u16_sdwa v185, v185, v187 dst_sel:BYTE_1 dst_unused:UNUSED_PAD src0_sel:DWORD src1_sel:BYTE_3
	v_sub_u16_sdwa v186, v186, v187 dst_sel:DWORD dst_unused:UNUSED_PAD src0_sel:WORD_1 src1_sel:WORD_1
	v_or_b32_sdwa v188, v188, v189 dst_sel:DWORD dst_unused:UNUSED_PAD src0_sel:BYTE_0 src1_sel:DWORD
	v_or_b32_sdwa v185, v186, v185 dst_sel:WORD_1 dst_unused:UNUSED_PAD src0_sel:BYTE_0 src1_sel:DWORD
	v_add_u32_e32 v186, 0x2110, v195
	v_or_b32_sdwa v185, v188, v185 dst_sel:DWORD dst_unused:UNUSED_PAD src0_sel:WORD_0 src1_sel:DWORD
	ds_read2_b32 v[187:188], v186 offset1:1
	ds_read2_b32 v[189:190], v191 offset0:4 offset1:5
	s_waitcnt lgkmcnt(1)
	v_ashrrev_i32_e32 v186, s19, v187
	s_waitcnt lgkmcnt(0)
	v_ashrrev_i32_e32 v189, s17, v189
	v_lshlrev_b32_e32 v189, 2, v189
	v_and_b32_e32 v187, 0x3030303, v186
	v_bfe_u32 v186, v186, 24, 2
	v_and_b32_e32 v189, 0x4040404, v189
	v_sub_u16_e32 v192, v187, v189
	v_sub_u16_sdwa v193, v187, v189 dst_sel:BYTE_1 dst_unused:UNUSED_PAD src0_sel:BYTE_1 src1_sel:BYTE_1
	v_sub_u16_sdwa v186, v186, v189 dst_sel:BYTE_1 dst_unused:UNUSED_PAD src0_sel:DWORD src1_sel:BYTE_3
	v_sub_u16_sdwa v187, v187, v189 dst_sel:DWORD dst_unused:UNUSED_PAD src0_sel:WORD_1 src1_sel:WORD_1
	v_or_b32_sdwa v192, v192, v193 dst_sel:DWORD dst_unused:UNUSED_PAD src0_sel:BYTE_0 src1_sel:DWORD
	v_or_b32_sdwa v186, v187, v186 dst_sel:WORD_1 dst_unused:UNUSED_PAD src0_sel:BYTE_0 src1_sel:DWORD
	v_ashrrev_i32_e32 v189, s17, v190
	v_or_b32_sdwa v187, v192, v186 dst_sel:DWORD dst_unused:UNUSED_PAD src0_sel:WORD_0 src1_sel:DWORD
	v_ashrrev_i32_e32 v186, s19, v188
	v_lshlrev_b32_e32 v189, 2, v189
	v_and_b32_e32 v188, 0x3030303, v186
	v_bfe_u32 v186, v186, 24, 2
	v_and_b32_e32 v189, 0x4040404, v189
	v_sub_u16_e32 v190, v188, v189
	v_sub_u16_sdwa v192, v188, v189 dst_sel:BYTE_1 dst_unused:UNUSED_PAD src0_sel:BYTE_1 src1_sel:BYTE_1
	v_sub_u16_sdwa v186, v186, v189 dst_sel:BYTE_1 dst_unused:UNUSED_PAD src0_sel:DWORD src1_sel:BYTE_3
	v_sub_u16_sdwa v188, v188, v189 dst_sel:DWORD dst_unused:UNUSED_PAD src0_sel:WORD_1 src1_sel:WORD_1
	v_or_b32_sdwa v190, v190, v192 dst_sel:DWORD dst_unused:UNUSED_PAD src0_sel:BYTE_0 src1_sel:DWORD
	v_or_b32_sdwa v186, v188, v186 dst_sel:WORD_1 dst_unused:UNUSED_PAD src0_sel:BYTE_0 src1_sel:DWORD
	v_or_b32_sdwa v188, v190, v186 dst_sel:DWORD dst_unused:UNUSED_PAD src0_sel:WORD_0 src1_sel:DWORD
	v_add_u32_e32 v186, 0x2118, v195
	ds_read2_b32 v[189:190], v186 offset1:1
	ds_read2_b32 v[191:192], v191 offset0:6 offset1:7
	s_waitcnt lgkmcnt(1)
	v_ashrrev_i32_e32 v186, s19, v189
	s_waitcnt lgkmcnt(0)
	v_ashrrev_i32_e32 v191, s17, v191
	v_lshlrev_b32_e32 v191, 2, v191
	v_and_b32_e32 v189, 0x3030303, v186
	v_bfe_u32 v186, v186, 24, 2
	v_and_b32_e32 v191, 0x4040404, v191
	v_sub_u16_e32 v193, v189, v191
	v_sub_u16_sdwa v194, v189, v191 dst_sel:BYTE_1 dst_unused:UNUSED_PAD src0_sel:BYTE_1 src1_sel:BYTE_1
	v_sub_u16_sdwa v186, v186, v191 dst_sel:BYTE_1 dst_unused:UNUSED_PAD src0_sel:DWORD src1_sel:BYTE_3
	v_sub_u16_sdwa v189, v189, v191 dst_sel:DWORD dst_unused:UNUSED_PAD src0_sel:WORD_1 src1_sel:WORD_1
	v_or_b32_sdwa v193, v193, v194 dst_sel:DWORD dst_unused:UNUSED_PAD src0_sel:BYTE_0 src1_sel:DWORD
	v_or_b32_sdwa v186, v189, v186 dst_sel:WORD_1 dst_unused:UNUSED_PAD src0_sel:BYTE_0 src1_sel:DWORD
	v_or_b32_sdwa v191, v193, v186 dst_sel:DWORD dst_unused:UNUSED_PAD src0_sel:WORD_0 src1_sel:DWORD
	v_ashrrev_i32_e32 v186, s19, v190
	v_ashrrev_i32_e32 v190, s17, v192
	v_lshlrev_b32_e32 v190, 2, v190
	v_and_b32_e32 v189, 0x3030303, v186
	v_bfe_u32 v186, v186, 24, 2
	v_and_b32_e32 v190, 0x4040404, v190
	v_sub_u16_e32 v192, v189, v190
	v_sub_u16_sdwa v193, v189, v190 dst_sel:BYTE_1 dst_unused:UNUSED_PAD src0_sel:BYTE_1 src1_sel:BYTE_1
	v_sub_u16_sdwa v186, v186, v190 dst_sel:BYTE_1 dst_unused:UNUSED_PAD src0_sel:DWORD src1_sel:BYTE_3
	v_sub_u16_sdwa v189, v189, v190 dst_sel:DWORD dst_unused:UNUSED_PAD src0_sel:WORD_1 src1_sel:WORD_1
	v_or_b32_sdwa v186, v189, v186 dst_sel:WORD_1 dst_unused:UNUSED_PAD src0_sel:BYTE_0 src1_sel:DWORD
	v_dot4_i32_i8 v189, v180, v6, 0
	v_dot4_i32_i8 v189, v181, v7, v189
	;; [unrolled: 1-line block ×5, first 2 shown]
	v_or_b32_sdwa v192, v192, v193 dst_sel:DWORD dst_unused:UNUSED_PAD src0_sel:BYTE_0 src1_sel:DWORD
	v_dot4_i32_i8 v189, v188, v3, v189
	v_or_b32_sdwa v192, v192, v186 dst_sel:DWORD dst_unused:UNUSED_PAD src0_sel:WORD_0 src1_sel:DWORD
	v_dot4_i32_i8 v189, v191, v4, v189
	v_add3_u32 v186, s22, v163, v123
	v_dot4_i32_i8 v215, v192, v5, v189
	v_add_u32_e32 v189, 0x3180, v195
	ds_read_b32 v186, v186
	ds_read2_b32 v[189:190], v189 offset1:1
	ds_read2_b32 v[193:194], v212 offset1:1
	s_waitcnt lgkmcnt(1)
	v_ashrrev_i32_e32 v189, s19, v189
	s_waitcnt lgkmcnt(0)
	v_ashrrev_i32_e32 v193, s17, v193
	v_lshlrev_b32_e32 v193, 2, v193
	v_and_b32_e32 v196, 0x3030303, v189
	v_bfe_u32 v189, v189, 24, 2
	v_and_b32_e32 v193, 0x4040404, v193
	v_ashrrev_i32_e32 v194, s17, v194
	v_sub_u16_e32 v197, v196, v193
	v_sub_u16_sdwa v198, v196, v193 dst_sel:BYTE_1 dst_unused:UNUSED_PAD src0_sel:BYTE_1 src1_sel:BYTE_1
	v_sub_u16_sdwa v189, v189, v193 dst_sel:BYTE_1 dst_unused:UNUSED_PAD src0_sel:DWORD src1_sel:BYTE_3
	v_sub_u16_sdwa v193, v196, v193 dst_sel:DWORD dst_unused:UNUSED_PAD src0_sel:WORD_1 src1_sel:WORD_1
	v_ashrrev_i32_e32 v190, s19, v190
	v_lshlrev_b32_e32 v194, 2, v194
	v_or_b32_sdwa v197, v197, v198 dst_sel:DWORD dst_unused:UNUSED_PAD src0_sel:BYTE_0 src1_sel:DWORD
	v_or_b32_sdwa v189, v193, v189 dst_sel:WORD_1 dst_unused:UNUSED_PAD src0_sel:BYTE_0 src1_sel:DWORD
	v_and_b32_e32 v193, 0x3030303, v190
	v_bfe_u32 v190, v190, 24, 2
	v_and_b32_e32 v194, 0x4040404, v194
	v_or_b32_sdwa v189, v197, v189 dst_sel:DWORD dst_unused:UNUSED_PAD src0_sel:WORD_0 src1_sel:DWORD
	v_sub_u16_e32 v196, v193, v194
	v_sub_u16_sdwa v197, v193, v194 dst_sel:BYTE_1 dst_unused:UNUSED_PAD src0_sel:BYTE_1 src1_sel:BYTE_1
	v_sub_u16_sdwa v190, v190, v194 dst_sel:BYTE_1 dst_unused:UNUSED_PAD src0_sel:DWORD src1_sel:BYTE_3
	v_sub_u16_sdwa v193, v193, v194 dst_sel:DWORD dst_unused:UNUSED_PAD src0_sel:WORD_1 src1_sel:WORD_1
	v_or_b32_sdwa v196, v196, v197 dst_sel:DWORD dst_unused:UNUSED_PAD src0_sel:BYTE_0 src1_sel:DWORD
	v_or_b32_sdwa v190, v193, v190 dst_sel:WORD_1 dst_unused:UNUSED_PAD src0_sel:BYTE_0 src1_sel:DWORD
	v_add_u32_e32 v193, 0x3188, v195
	v_or_b32_sdwa v190, v196, v190 dst_sel:DWORD dst_unused:UNUSED_PAD src0_sel:WORD_0 src1_sel:DWORD
	ds_read2_b32 v[193:194], v193 offset1:1
	ds_read2_b32 v[196:197], v212 offset0:2 offset1:3
	v_dot4_i32_i8 v6, v189, v6, 0
	v_dot4_i32_i8 v6, v190, v7, v6
	s_waitcnt lgkmcnt(1)
	v_ashrrev_i32_e32 v193, s19, v193
	s_waitcnt lgkmcnt(0)
	v_ashrrev_i32_e32 v196, s17, v196
	v_lshlrev_b32_e32 v196, 2, v196
	v_and_b32_e32 v198, 0x3030303, v193
	v_bfe_u32 v193, v193, 24, 2
	v_and_b32_e32 v196, 0x4040404, v196
	v_ashrrev_i32_e32 v197, s17, v197
	v_sub_u16_e32 v199, v198, v196
	v_sub_u16_sdwa v213, v198, v196 dst_sel:BYTE_1 dst_unused:UNUSED_PAD src0_sel:BYTE_1 src1_sel:BYTE_1
	v_sub_u16_sdwa v193, v193, v196 dst_sel:BYTE_1 dst_unused:UNUSED_PAD src0_sel:DWORD src1_sel:BYTE_3
	v_sub_u16_sdwa v196, v198, v196 dst_sel:DWORD dst_unused:UNUSED_PAD src0_sel:WORD_1 src1_sel:WORD_1
	v_ashrrev_i32_e32 v194, s19, v194
	v_lshlrev_b32_e32 v197, 2, v197
	v_or_b32_sdwa v199, v199, v213 dst_sel:DWORD dst_unused:UNUSED_PAD src0_sel:BYTE_0 src1_sel:DWORD
	v_or_b32_sdwa v193, v196, v193 dst_sel:WORD_1 dst_unused:UNUSED_PAD src0_sel:BYTE_0 src1_sel:DWORD
	v_and_b32_e32 v196, 0x3030303, v194
	v_bfe_u32 v194, v194, 24, 2
	v_and_b32_e32 v197, 0x4040404, v197
	v_or_b32_sdwa v193, v199, v193 dst_sel:DWORD dst_unused:UNUSED_PAD src0_sel:WORD_0 src1_sel:DWORD
	v_sub_u16_e32 v198, v196, v197
	v_sub_u16_sdwa v199, v196, v197 dst_sel:BYTE_1 dst_unused:UNUSED_PAD src0_sel:BYTE_1 src1_sel:BYTE_1
	v_sub_u16_sdwa v194, v194, v197 dst_sel:BYTE_1 dst_unused:UNUSED_PAD src0_sel:DWORD src1_sel:BYTE_3
	v_sub_u16_sdwa v196, v196, v197 dst_sel:DWORD dst_unused:UNUSED_PAD src0_sel:WORD_1 src1_sel:WORD_1
	v_or_b32_sdwa v198, v198, v199 dst_sel:DWORD dst_unused:UNUSED_PAD src0_sel:BYTE_0 src1_sel:DWORD
	v_or_b32_sdwa v194, v196, v194 dst_sel:WORD_1 dst_unused:UNUSED_PAD src0_sel:BYTE_0 src1_sel:DWORD
	v_add_u32_e32 v196, 0x3190, v195
	v_or_b32_sdwa v194, v198, v194 dst_sel:DWORD dst_unused:UNUSED_PAD src0_sel:WORD_0 src1_sel:DWORD
	ds_read2_b32 v[196:197], v196 offset1:1
	ds_read2_b32 v[198:199], v212 offset0:4 offset1:5
	v_add_u32_e32 v195, 0x3198, v195
	v_dot4_i32_i8 v6, v193, v8, v6
	v_dot4_i32_i8 v6, v194, v9, v6
	s_waitcnt lgkmcnt(1)
	v_ashrrev_i32_e32 v196, s19, v196
	s_waitcnt lgkmcnt(0)
	v_ashrrev_i32_e32 v198, s17, v198
	v_lshlrev_b32_e32 v198, 2, v198
	v_and_b32_e32 v213, 0x3030303, v196
	v_bfe_u32 v196, v196, 24, 2
	v_and_b32_e32 v198, 0x4040404, v198
	v_ashrrev_i32_e32 v199, s17, v199
	v_sub_u16_e32 v216, v213, v198
	v_sub_u16_sdwa v217, v213, v198 dst_sel:BYTE_1 dst_unused:UNUSED_PAD src0_sel:BYTE_1 src1_sel:BYTE_1
	v_sub_u16_sdwa v196, v196, v198 dst_sel:BYTE_1 dst_unused:UNUSED_PAD src0_sel:DWORD src1_sel:BYTE_3
	v_sub_u16_sdwa v198, v213, v198 dst_sel:DWORD dst_unused:UNUSED_PAD src0_sel:WORD_1 src1_sel:WORD_1
	v_ashrrev_i32_e32 v197, s19, v197
	v_lshlrev_b32_e32 v199, 2, v199
	v_or_b32_sdwa v216, v216, v217 dst_sel:DWORD dst_unused:UNUSED_PAD src0_sel:BYTE_0 src1_sel:DWORD
	v_or_b32_sdwa v196, v198, v196 dst_sel:WORD_1 dst_unused:UNUSED_PAD src0_sel:BYTE_0 src1_sel:DWORD
	v_and_b32_e32 v198, 0x3030303, v197
	v_bfe_u32 v197, v197, 24, 2
	v_and_b32_e32 v199, 0x4040404, v199
	v_or_b32_sdwa v196, v216, v196 dst_sel:DWORD dst_unused:UNUSED_PAD src0_sel:WORD_0 src1_sel:DWORD
	v_sub_u16_e32 v213, v198, v199
	v_sub_u16_sdwa v216, v198, v199 dst_sel:BYTE_1 dst_unused:UNUSED_PAD src0_sel:BYTE_1 src1_sel:BYTE_1
	v_sub_u16_sdwa v197, v197, v199 dst_sel:BYTE_1 dst_unused:UNUSED_PAD src0_sel:DWORD src1_sel:BYTE_3
	v_sub_u16_sdwa v198, v198, v199 dst_sel:DWORD dst_unused:UNUSED_PAD src0_sel:WORD_1 src1_sel:WORD_1
	v_or_b32_sdwa v213, v213, v216 dst_sel:DWORD dst_unused:UNUSED_PAD src0_sel:BYTE_0 src1_sel:DWORD
	v_or_b32_sdwa v197, v198, v197 dst_sel:WORD_1 dst_unused:UNUSED_PAD src0_sel:BYTE_0 src1_sel:DWORD
	v_or_b32_sdwa v197, v213, v197 dst_sel:DWORD dst_unused:UNUSED_PAD src0_sel:WORD_0 src1_sel:DWORD
	ds_read2_b32 v[198:199], v195 offset1:1
	ds_read2_b32 v[212:213], v212 offset0:6 offset1:7
	v_dot4_i32_i8 v2, v196, v2, 0
	v_dot4_i32_i8 v2, v197, v3, v2
	s_waitcnt lgkmcnt(1)
	v_ashrrev_i32_e32 v195, s19, v198
	s_waitcnt lgkmcnt(0)
	v_ashrrev_i32_e32 v212, s17, v212
	v_lshlrev_b32_e32 v212, 2, v212
	v_and_b32_e32 v198, 0x3030303, v195
	v_bfe_u32 v195, v195, 24, 2
	v_and_b32_e32 v212, 0x4040404, v212
	v_sub_u16_e32 v216, v198, v212
	v_sub_u16_sdwa v217, v198, v212 dst_sel:BYTE_1 dst_unused:UNUSED_PAD src0_sel:BYTE_1 src1_sel:BYTE_1
	v_sub_u16_sdwa v195, v195, v212 dst_sel:BYTE_1 dst_unused:UNUSED_PAD src0_sel:DWORD src1_sel:BYTE_3
	v_sub_u16_sdwa v198, v198, v212 dst_sel:DWORD dst_unused:UNUSED_PAD src0_sel:WORD_1 src1_sel:WORD_1
	v_or_b32_sdwa v216, v216, v217 dst_sel:DWORD dst_unused:UNUSED_PAD src0_sel:BYTE_0 src1_sel:DWORD
	v_or_b32_sdwa v195, v198, v195 dst_sel:WORD_1 dst_unused:UNUSED_PAD src0_sel:BYTE_0 src1_sel:DWORD
	v_ashrrev_i32_e32 v212, s17, v213
	v_or_b32_sdwa v198, v216, v195 dst_sel:DWORD dst_unused:UNUSED_PAD src0_sel:WORD_0 src1_sel:DWORD
	v_ashrrev_i32_e32 v195, s19, v199
	v_lshlrev_b32_e32 v212, 2, v212
	v_and_b32_e32 v199, 0x3030303, v195
	v_bfe_u32 v195, v195, 24, 2
	v_and_b32_e32 v212, 0x4040404, v212
	v_sub_u16_e32 v213, v199, v212
	v_sub_u16_sdwa v216, v199, v212 dst_sel:BYTE_1 dst_unused:UNUSED_PAD src0_sel:BYTE_1 src1_sel:BYTE_1
	v_sub_u16_sdwa v195, v195, v212 dst_sel:BYTE_1 dst_unused:UNUSED_PAD src0_sel:DWORD src1_sel:BYTE_3
	v_sub_u16_sdwa v199, v199, v212 dst_sel:DWORD dst_unused:UNUSED_PAD src0_sel:WORD_1 src1_sel:WORD_1
	v_or_b32_sdwa v213, v213, v216 dst_sel:DWORD dst_unused:UNUSED_PAD src0_sel:BYTE_0 src1_sel:DWORD
	v_or_b32_sdwa v195, v199, v195 dst_sel:WORD_1 dst_unused:UNUSED_PAD src0_sel:BYTE_0 src1_sel:DWORD
	v_or_b32_sdwa v199, v213, v195 dst_sel:DWORD dst_unused:UNUSED_PAD src0_sel:WORD_0 src1_sel:DWORD
	v_add3_u32 v195, s22, v165, v125
	ds_read_b32 v195, v195
	ds_read_b128 v[217:220], v170 offset:1024
	ds_read_b128 v[221:224], v170 offset:1040
	v_dot4_i32_i8 v2, v198, v4, v2
	v_dot4_i32_i8 v2, v199, v5, v2
	v_add_u32_e32 v216, s20, v136
	s_waitcnt lgkmcnt(1)
	v_dot4_i32_i8 v3, v47, v217, 0
	v_dot4_i32_i8 v3, v48, v218, v3
	;; [unrolled: 1-line block ×4, first 2 shown]
	s_waitcnt lgkmcnt(0)
	v_dot4_i32_i8 v3, v201, v221, 0
	v_dot4_i32_i8 v3, v202, v222, v3
	;; [unrolled: 1-line block ×4, first 2 shown]
	ds_read_u16 v3, v205 offset:2
	s_add_i32 s17, s17, 1
	s_cmp_lt_u32 s19, 6
	s_waitcnt lgkmcnt(0)
	v_bfe_i32 v212, v3, 0, 8
	v_mul_lo_u32 v4, v4, v212
	v_lshrrev_b16_e32 v7, 8, v3
	v_bfe_i32 v213, v7, 0, 8
	v_mul_lo_u32 v3, v207, v213
	v_mad_u64_u32 v[4:5], s[20:21], v5, v213, v[4:5]
	v_mul_f32_e32 v5, v172, v46
	v_mad_u64_u32 v[7:8], s[20:21], v206, v212, v[3:4]
	v_mul_f32_e32 v3, v172, v45
	v_cvt_f32_i32_e32 v4, v4
	v_cvt_f32_i32_e32 v7, v7
	v_fma_f32 v11, v5, v4, v11
	v_fmac_f32_e32 v10, v3, v7
	v_dot4_i32_i8 v3, v173, v217, 0
	v_dot4_i32_i8 v3, v174, v218, v3
	v_dot4_i32_i8 v3, v175, v219, v3
	v_dot4_i32_i8 v4, v176, v220, v3
	v_dot4_i32_i8 v3, v178, v221, 0
	v_dot4_i32_i8 v3, v179, v222, v3
	v_dot4_i32_i8 v3, v182, v223, v3
	v_dot4_i32_i8 v5, v183, v224, v3
	ds_read_u16 v3, v209 offset:2
	s_waitcnt lgkmcnt(0)
	v_bfe_i32 v205, v3, 0, 8
	v_mul_lo_u32 v4, v4, v205
	v_lshrrev_b16_e32 v7, 8, v3
	v_bfe_i32 v206, v7, 0, 8
	v_mul_lo_u32 v3, v211, v206
	v_mad_u64_u32 v[4:5], s[20:21], v5, v206, v[4:5]
	v_mul_f32_e32 v5, v177, v46
	v_mad_u64_u32 v[7:8], s[20:21], v208, v205, v[3:4]
	v_mul_f32_e32 v3, v177, v45
	v_cvt_f32_i32_e32 v4, v4
	v_cvt_f32_i32_e32 v7, v7
	v_fma_f32 v40, v5, v4, v40
	v_fmac_f32_e32 v39, v3, v7
	v_dot4_i32_i8 v3, v180, v217, 0
	v_dot4_i32_i8 v3, v181, v218, v3
	;; [unrolled: 1-line block ×8, first 2 shown]
	ds_read_u16 v3, v214 offset:2
	s_waitcnt lgkmcnt(0)
	v_bfe_i32 v207, v3, 0, 8
	v_mul_lo_u32 v4, v4, v207
	v_lshrrev_b16_e32 v7, 8, v3
	v_bfe_i32 v208, v7, 0, 8
	v_mul_lo_u32 v3, v215, v208
	v_mad_u64_u32 v[4:5], s[20:21], v5, v208, v[4:5]
	v_mul_f32_e32 v5, v186, v46
	v_mad_u64_u32 v[7:8], s[20:21], v210, v207, v[3:4]
	v_cvt_f32_i32_e32 v4, v4
	v_mul_f32_e32 v3, v186, v45
	v_cvt_f32_i32_e32 v7, v7
	v_fma_f32 v42, v5, v4, v42
	ds_read_u16 v5, v216 offset:2
	v_fmac_f32_e32 v41, v3, v7
	v_dot4_i32_i8 v3, v189, v217, 0
	v_dot4_i32_i8 v3, v190, v218, v3
	;; [unrolled: 1-line block ×4, first 2 shown]
	s_waitcnt lgkmcnt(0)
	v_bfe_i32 v209, v5, 0, 8
	v_dot4_i32_i8 v4, v196, v221, 0
	v_mul_lo_u32 v3, v3, v209
	v_dot4_i32_i8 v4, v197, v222, v4
	v_dot4_i32_i8 v4, v198, v223, v4
	v_lshrrev_b16_e32 v7, 8, v5
	v_dot4_i32_i8 v4, v199, v224, v4
	v_bfe_i32 v210, v7, 0, 8
	v_mul_lo_u32 v2, v2, v210
	v_mad_u64_u32 v[3:4], s[20:21], v4, v210, v[3:4]
	v_mad_u64_u32 v[4:5], s[20:21], v6, v209, v[2:3]
	v_cvt_f32_i32_e32 v3, v3
	v_mul_f32_e32 v2, v195, v45
	v_cvt_f32_i32_e32 v4, v4
	v_mul_f32_e32 v5, v195, v46
	v_fma_f32 v44, v5, v3, v44
	v_fmac_f32_e32 v43, v2, v4
	ds_read2_b32 v[45:46], v171 offset0:64 offset1:96
	ds_read_b128 v[2:5], v170 offset:2048
	ds_read_b128 v[6:9], v170 offset:2064
	s_waitcnt lgkmcnt(1)
	v_dot4_i32_i8 v214, v173, v2, 0
	v_dot4_i32_i8 v214, v174, v3, v214
	;; [unrolled: 1-line block ×4, first 2 shown]
	s_waitcnt lgkmcnt(0)
	v_dot4_i32_i8 v214, v178, v6, 0
	v_dot4_i32_i8 v214, v179, v7, v214
	;; [unrolled: 1-line block ×28, first 2 shown]
	ds_read_b128 v[2:5], v170 offset:3072
	ds_read_b128 v[6:9], v170 offset:3088
	v_mul_lo_u32 v211, v211, v213
	s_waitcnt lgkmcnt(1)
	v_dot4_i32_i8 v214, v47, v2, 0
	v_dot4_i32_i8 v214, v48, v3, v214
	;; [unrolled: 1-line block ×4, first 2 shown]
	s_waitcnt lgkmcnt(0)
	v_dot4_i32_i8 v215, v201, v6, 0
	v_mul_lo_u32 v214, v214, v212
	v_dot4_i32_i8 v215, v202, v7, v215
	v_dot4_i32_i8 v215, v203, v8, v215
	;; [unrolled: 1-line block ×3, first 2 shown]
	v_mad_u64_u32 v[214:215], s[20:21], v215, v213, v[214:215]
	v_mad_u64_u32 v[215:216], s[20:21], v216, v212, v[211:212]
	v_mul_f32_e32 v211, v172, v45
	v_cvt_f32_i32_e32 v214, v214
	v_cvt_f32_i32_e32 v215, v215
	v_mul_f32_e32 v216, v172, v46
	v_fma_f32 v32, v216, v214, v32
	v_fmac_f32_e32 v31, v211, v215
	v_dot4_i32_i8 v211, v173, v2, 0
	v_dot4_i32_i8 v211, v174, v3, v211
	;; [unrolled: 1-line block ×7, first 2 shown]
	v_mul_lo_u32 v214, v214, v205
	v_dot4_i32_i8 v215, v183, v9, v211
	v_mul_lo_u32 v211, v218, v206
	v_mad_u64_u32 v[214:215], s[20:21], v215, v206, v[214:215]
	v_mad_u64_u32 v[215:216], s[20:21], v217, v205, v[211:212]
	v_mul_f32_e32 v211, v177, v45
	v_cvt_f32_i32_e32 v214, v214
	v_cvt_f32_i32_e32 v215, v215
	v_mul_f32_e32 v216, v177, v46
	v_fma_f32 v34, v216, v214, v34
	v_fmac_f32_e32 v33, v211, v215
	v_dot4_i32_i8 v211, v180, v2, 0
	v_dot4_i32_i8 v2, v189, v2, 0
	;; [unrolled: 1-line block ×7, first 2 shown]
	v_mul_lo_u32 v3, v3, v209
	v_dot4_i32_i8 v2, v197, v7, v2
	v_dot4_i32_i8 v2, v198, v8, v2
	;; [unrolled: 1-line block ×4, first 2 shown]
	v_mul_lo_u32 v2, v222, v210
	v_mad_u64_u32 v[3:4], s[20:21], v4, v210, v[3:4]
	v_dot4_i32_i8 v214, v185, v5, v211
	v_dot4_i32_i8 v211, v187, v6, 0
	v_mul_lo_u32 v214, v214, v207
	v_mad_u64_u32 v[4:5], s[20:21], v221, v209, v[2:3]
	v_dot4_i32_i8 v211, v188, v7, v211
	v_dot4_i32_i8 v211, v191, v8, v211
	;; [unrolled: 1-line block ×3, first 2 shown]
	v_mul_lo_u32 v211, v220, v208
	v_mad_u64_u32 v[214:215], s[20:21], v215, v208, v[214:215]
	v_cvt_f32_i32_e32 v4, v4
	v_cvt_f32_i32_e32 v3, v3
	v_mad_u64_u32 v[215:216], s[20:21], v219, v207, v[211:212]
	v_mul_f32_e32 v2, v195, v45
	v_mul_f32_e32 v5, v195, v46
	;; [unrolled: 1-line block ×4, first 2 shown]
	v_cvt_f32_i32_e32 v214, v214
	v_fma_f32 v38, v5, v3, v38
	v_fmac_f32_e32 v37, v2, v4
	ds_read2_b32 v[45:46], v171 offset0:128 offset1:160
	ds_read_b128 v[2:5], v170 offset:4096
	ds_read_b128 v[6:9], v170 offset:4112
	v_fma_f32 v36, v216, v214, v36
	v_cvt_f32_i32_e32 v215, v215
	s_waitcnt lgkmcnt(1)
	v_dot4_i32_i8 v214, v173, v2, 0
	v_dot4_i32_i8 v214, v174, v3, v214
	;; [unrolled: 1-line block ×4, first 2 shown]
	s_waitcnt lgkmcnt(0)
	v_dot4_i32_i8 v214, v178, v6, 0
	v_dot4_i32_i8 v214, v179, v7, v214
	;; [unrolled: 1-line block ×3, first 2 shown]
	v_fmac_f32_e32 v35, v211, v215
	v_dot4_i32_i8 v211, v47, v2, 0
	v_dot4_i32_i8 v218, v183, v9, v214
	;; [unrolled: 1-line block ×25, first 2 shown]
	ds_read_b128 v[2:5], v170 offset:5120
	ds_read_b128 v[6:9], v170 offset:5136
	v_mul_lo_u32 v211, v211, v213
	s_waitcnt lgkmcnt(1)
	v_dot4_i32_i8 v214, v47, v2, 0
	v_dot4_i32_i8 v214, v48, v3, v214
	;; [unrolled: 1-line block ×4, first 2 shown]
	s_waitcnt lgkmcnt(0)
	v_dot4_i32_i8 v215, v201, v6, 0
	v_mul_lo_u32 v214, v214, v212
	v_dot4_i32_i8 v215, v202, v7, v215
	v_dot4_i32_i8 v215, v203, v8, v215
	;; [unrolled: 1-line block ×3, first 2 shown]
	v_mad_u64_u32 v[214:215], s[20:21], v215, v213, v[214:215]
	v_mad_u64_u32 v[215:216], s[20:21], v216, v212, v[211:212]
	v_mul_f32_e32 v211, v172, v45
	v_cvt_f32_i32_e32 v214, v214
	v_cvt_f32_i32_e32 v215, v215
	v_mul_f32_e32 v216, v172, v46
	v_fma_f32 v24, v216, v214, v24
	v_fmac_f32_e32 v23, v211, v215
	v_dot4_i32_i8 v211, v173, v2, 0
	v_dot4_i32_i8 v211, v174, v3, v211
	;; [unrolled: 1-line block ×7, first 2 shown]
	v_mul_lo_u32 v214, v214, v205
	v_dot4_i32_i8 v215, v183, v9, v211
	v_mul_lo_u32 v211, v218, v206
	v_mad_u64_u32 v[214:215], s[20:21], v215, v206, v[214:215]
	v_mad_u64_u32 v[215:216], s[20:21], v217, v205, v[211:212]
	v_mul_f32_e32 v211, v177, v45
	v_cvt_f32_i32_e32 v214, v214
	v_cvt_f32_i32_e32 v215, v215
	v_mul_f32_e32 v216, v177, v46
	v_fma_f32 v26, v216, v214, v26
	v_fmac_f32_e32 v25, v211, v215
	v_dot4_i32_i8 v211, v180, v2, 0
	v_dot4_i32_i8 v2, v189, v2, 0
	;; [unrolled: 1-line block ×7, first 2 shown]
	v_mul_lo_u32 v3, v3, v209
	v_dot4_i32_i8 v2, v197, v7, v2
	v_dot4_i32_i8 v2, v198, v8, v2
	;; [unrolled: 1-line block ×4, first 2 shown]
	v_mul_lo_u32 v2, v222, v210
	v_mad_u64_u32 v[3:4], s[20:21], v4, v210, v[3:4]
	v_dot4_i32_i8 v214, v185, v5, v211
	v_dot4_i32_i8 v211, v187, v6, 0
	;; [unrolled: 1-line block ×4, first 2 shown]
	v_mul_lo_u32 v214, v214, v207
	v_dot4_i32_i8 v215, v192, v9, v211
	v_mul_lo_u32 v211, v220, v208
	v_mad_u64_u32 v[4:5], s[20:21], v221, v209, v[2:3]
	v_mad_u64_u32 v[214:215], s[20:21], v215, v208, v[214:215]
	;; [unrolled: 1-line block ×3, first 2 shown]
	v_cvt_f32_i32_e32 v4, v4
	v_cvt_f32_i32_e32 v3, v3
	v_mul_f32_e32 v2, v195, v45
	v_mul_f32_e32 v5, v195, v46
	;; [unrolled: 1-line block ×4, first 2 shown]
	v_cvt_f32_i32_e32 v215, v215
	v_fma_f32 v30, v5, v3, v30
	v_fmac_f32_e32 v29, v2, v4
	ds_read2_b32 v[45:46], v171 offset0:192 offset1:224
	ds_read_b128 v[2:5], v170 offset:6144
	ds_read_b128 v[6:9], v170 offset:6160
	v_fmac_f32_e32 v27, v211, v215
	v_cvt_f32_i32_e32 v214, v214
	v_add_u32_e32 v171, 4, v171
	s_waitcnt lgkmcnt(1)
	v_dot4_i32_i8 v211, v47, v2, 0
	v_dot4_i32_i8 v211, v48, v3, v211
	;; [unrolled: 1-line block ×4, first 2 shown]
	s_waitcnt lgkmcnt(0)
	v_dot4_i32_i8 v211, v201, v6, 0
	v_dot4_i32_i8 v211, v202, v7, v211
	;; [unrolled: 1-line block ×22, first 2 shown]
	v_fma_f32 v28, v216, v214, v28
	v_dot4_i32_i8 v216, v192, v9, v211
	v_dot4_i32_i8 v211, v194, v5, v2
	;; [unrolled: 1-line block ×6, first 2 shown]
	ds_read_b128 v[6:9], v170 offset:7168
	ds_read_b128 v[2:5], v170 offset:7184
	v_add_u32_e32 v170, 32, v170
	s_waitcnt lgkmcnt(1)
	v_dot4_i32_i8 v47, v47, v6, 0
	v_dot4_i32_i8 v47, v48, v7, v47
	;; [unrolled: 1-line block ×4, first 2 shown]
	s_waitcnt lgkmcnt(0)
	v_dot4_i32_i8 v48, v201, v2, 0
	v_mul_lo_u32 v47, v47, v212
	v_dot4_i32_i8 v48, v202, v3, v48
	v_dot4_i32_i8 v48, v203, v4, v48
	;; [unrolled: 1-line block ×3, first 2 shown]
	v_mul_lo_u32 v49, v220, v213
	v_mad_u64_u32 v[47:48], s[20:21], v48, v213, v[47:48]
	v_mad_u64_u32 v[48:49], s[20:21], v219, v212, v[49:50]
	v_cvt_f32_i32_e32 v47, v47
	v_mul_f32_e32 v49, v172, v45
	v_mul_f32_e32 v172, v172, v46
	v_cvt_f32_i32_e32 v48, v48
	v_fma_f32 v16, v172, v47, v16
	v_dot4_i32_i8 v47, v173, v6, 0
	v_dot4_i32_i8 v47, v174, v7, v47
	;; [unrolled: 1-line block ×3, first 2 shown]
	v_fmac_f32_e32 v15, v49, v48
	v_dot4_i32_i8 v48, v176, v9, v47
	v_dot4_i32_i8 v47, v178, v2, 0
	v_mul_lo_u32 v48, v48, v205
	v_dot4_i32_i8 v47, v179, v3, v47
	v_dot4_i32_i8 v47, v182, v4, v47
	;; [unrolled: 1-line block ×3, first 2 shown]
	v_mul_lo_u32 v47, v218, v206
	v_mad_u64_u32 v[48:49], s[20:21], v49, v206, v[48:49]
	v_mul_f32_e32 v49, v177, v46
	v_mad_u64_u32 v[172:173], s[20:21], v217, v205, v[47:48]
	v_mul_f32_e32 v47, v177, v45
	v_cvt_f32_i32_e32 v48, v48
	v_cvt_f32_i32_e32 v172, v172
	v_fma_f32 v18, v49, v48, v18
	v_fmac_f32_e32 v17, v47, v172
	v_dot4_i32_i8 v47, v180, v6, 0
	v_dot4_i32_i8 v6, v189, v6, 0
	;; [unrolled: 1-line block ×11, first 2 shown]
	v_mul_lo_u32 v48, v48, v207
	v_dot4_i32_i8 v2, v197, v3, v2
	v_mul_lo_u32 v3, v6, v209
	v_dot4_i32_i8 v47, v191, v4, v47
	v_dot4_i32_i8 v2, v198, v4, v2
	;; [unrolled: 1-line block ×4, first 2 shown]
	v_mul_lo_u32 v47, v216, v208
	v_mad_u64_u32 v[48:49], s[20:21], v49, v208, v[48:49]
	v_mul_lo_u32 v2, v214, v210
	v_mad_u64_u32 v[3:4], s[20:21], v4, v210, v[3:4]
	v_mad_u64_u32 v[172:173], s[20:21], v215, v207, v[47:48]
	;; [unrolled: 1-line block ×3, first 2 shown]
	v_cvt_f32_i32_e32 v172, v172
	v_cvt_f32_i32_e32 v48, v48
	;; [unrolled: 1-line block ×4, first 2 shown]
	v_mul_f32_e32 v47, v186, v45
	v_mul_f32_e32 v49, v186, v46
	;; [unrolled: 1-line block ×4, first 2 shown]
	v_fma_f32 v20, v49, v48, v20
	v_fmac_f32_e32 v19, v47, v172
	v_fma_f32 v22, v5, v3, v22
	v_fmac_f32_e32 v21, v2, v4
	s_mov_b32 s20, s19
	s_cbranch_scc1 .LBB149_7
; %bb.8:                                ;   in Loop: Header=BB149_6 Depth=1
	v_add_u32_e32 v49, s16, v126
	v_add_u32_e32 v172, 4, v169
	;; [unrolled: 1-line block ×3, first 2 shown]
	v_mad_u64_u32 v[172:173], s[18:19], v172, 36, s[2:3]
	v_mad_i64_i32 v[2:3], s[18:19], v2, 36, v[13:14]
	v_add_u32_e32 v4, v49, v111
	v_mad_i64_i32 v[4:5], s[18:19], v4, 36, v[13:14]
	v_add_u32_e32 v6, v49, v112
	v_add_u32_e32 v8, v49, v113
	v_mad_i64_i32 v[6:7], s[18:19], v6, 36, v[13:14]
	v_mad_i64_i32 v[8:9], s[18:19], v8, 36, v[13:14]
	v_add_u32_e32 v45, v49, v114
	v_add_u32_e32 v47, v49, v115
	;; [unrolled: 1-line block ×4, first 2 shown]
	s_barrier
	v_mad_i64_i32 v[45:46], s[18:19], v45, 36, v[13:14]
	v_mad_i64_i32 v[47:48], s[18:19], v47, 36, v[13:14]
	;; [unrolled: 1-line block ×4, first 2 shown]
	global_load_dword v49, v[172:173], off
	s_nop 0
	global_load_dword v2, v[2:3], off offset:4
	s_nop 0
	global_load_dword v3, v[4:5], off offset:4
	;; [unrolled: 2-line block ×3, first 2 shown]
	global_load_dword v5, v[8:9], off offset:4
	s_nop 0
	global_load_dword v6, v[45:46], off offset:4
	global_load_dword v7, v[47:48], off offset:4
	;; [unrolled: 1-line block ×4, first 2 shown]
	s_mov_b32 s17, 4
	s_mov_b32 s18, 8
	;; [unrolled: 1-line block ×3, first 2 shown]
	v_mov_b32_e32 v170, v138
	v_mov_b32_e32 v171, v137
	s_waitcnt vmcnt(8)
	v_cvt_f32_f16_e32 v45, v49
	s_waitcnt vmcnt(7)
	ds_write_b32 v151, v2
	s_waitcnt vmcnt(6)
	ds_write_b32 v152, v3
	s_waitcnt vmcnt(5)
	ds_write_b32 v153, v4
	s_waitcnt vmcnt(4)
	ds_write_b32 v154, v5
	s_waitcnt vmcnt(3)
	ds_write_b32 v155, v6
	s_waitcnt vmcnt(2)
	ds_write_b32 v156, v7
	s_waitcnt vmcnt(1)
	ds_write_b32 v157, v8
	s_waitcnt vmcnt(0)
	ds_write_b32 v158, v9
	ds_write_b32 v109, v45
	s_waitcnt lgkmcnt(0)
	s_barrier
.LBB149_9:                              ;   Parent Loop BB149_6 Depth=1
                                        ; =>  This Inner Loop Header: Depth=2
	s_add_i32 s19, s20, 2
	s_lshr_b32 s24, s19, 4
	s_and_b32 s22, s19, 0x3ffffff8
	v_lshl_add_u32 v214, s22, 2, v118
	s_lshl_b32 s22, s24, 5
	s_addk_i32 s22, 0x4200
	v_add3_u32 v176, s22, v166, v119
	ds_read2_b32 v[45:46], v171 offset1:32
	ds_read_b128 v[6:9], v170
	ds_read_b128 v[2:5], v170 offset:16
	ds_read2_b32 v[47:48], v214 offset1:1
	ds_read2_b32 v[172:173], v176 offset1:1
	s_add_i32 s21, s20, -6
	s_and_b32 s23, s18, -16
	s_add_i32 s20, s20, s23
	s_waitcnt lgkmcnt(1)
	v_ashrrev_i32_e32 v47, s21, v47
	s_waitcnt lgkmcnt(0)
	v_ashrrev_i32_e32 v172, s17, v172
	v_lshlrev_b32_e32 v172, 2, v172
	v_and_b32_e32 v49, 0x3030303, v47
	v_bfe_u32 v47, v47, 24, 2
	v_and_b32_e32 v172, 0x4040404, v172
	v_sub_u16_e32 v174, v49, v172
	v_sub_u16_sdwa v175, v49, v172 dst_sel:BYTE_1 dst_unused:UNUSED_PAD src0_sel:BYTE_1 src1_sel:BYTE_1
	v_sub_u16_sdwa v47, v47, v172 dst_sel:BYTE_1 dst_unused:UNUSED_PAD src0_sel:DWORD src1_sel:BYTE_3
	v_sub_u16_sdwa v49, v49, v172 dst_sel:DWORD dst_unused:UNUSED_PAD src0_sel:WORD_1 src1_sel:WORD_1
	v_ashrrev_i32_e32 v172, s17, v173
	v_ashrrev_i32_e32 v48, s21, v48
	v_lshlrev_b32_e32 v172, 2, v172
	v_or_b32_sdwa v174, v174, v175 dst_sel:DWORD dst_unused:UNUSED_PAD src0_sel:BYTE_0 src1_sel:DWORD
	v_or_b32_sdwa v47, v49, v47 dst_sel:WORD_1 dst_unused:UNUSED_PAD src0_sel:BYTE_0 src1_sel:DWORD
	v_and_b32_e32 v49, 0x3030303, v48
	v_bfe_u32 v48, v48, 24, 2
	v_and_b32_e32 v172, 0x4040404, v172
	v_or_b32_sdwa v47, v174, v47 dst_sel:DWORD dst_unused:UNUSED_PAD src0_sel:WORD_0 src1_sel:DWORD
	v_sub_u16_e32 v173, v49, v172
	v_sub_u16_sdwa v174, v49, v172 dst_sel:BYTE_1 dst_unused:UNUSED_PAD src0_sel:BYTE_1 src1_sel:BYTE_1
	v_sub_u16_sdwa v48, v48, v172 dst_sel:BYTE_1 dst_unused:UNUSED_PAD src0_sel:DWORD src1_sel:BYTE_3
	v_sub_u16_sdwa v49, v49, v172 dst_sel:DWORD dst_unused:UNUSED_PAD src0_sel:WORD_1 src1_sel:WORD_1
	v_or_b32_sdwa v173, v173, v174 dst_sel:DWORD dst_unused:UNUSED_PAD src0_sel:BYTE_0 src1_sel:DWORD
	v_or_b32_sdwa v48, v49, v48 dst_sel:WORD_1 dst_unused:UNUSED_PAD src0_sel:BYTE_0 src1_sel:DWORD
	v_or_b32_sdwa v48, v173, v48 dst_sel:DWORD dst_unused:UNUSED_PAD src0_sel:WORD_0 src1_sel:DWORD
	ds_read2_b32 v[172:173], v214 offset0:2 offset1:3
	ds_read2_b32 v[174:175], v176 offset0:2 offset1:3
	s_lshl_b32 s23, s24, 2
	s_add_i32 s23, s23, 0x9380
	v_add3_u32 v182, s22, v160, v120
	s_waitcnt lgkmcnt(1)
	v_ashrrev_i32_e32 v49, s21, v172
	s_waitcnt lgkmcnt(0)
	v_ashrrev_i32_e32 v174, s17, v174
	v_lshlrev_b32_e32 v174, 2, v174
	v_and_b32_e32 v172, 0x3030303, v49
	v_bfe_u32 v49, v49, 24, 2
	v_and_b32_e32 v174, 0x4040404, v174
	v_sub_u16_e32 v177, v172, v174
	v_sub_u16_sdwa v178, v172, v174 dst_sel:BYTE_1 dst_unused:UNUSED_PAD src0_sel:BYTE_1 src1_sel:BYTE_1
	v_sub_u16_sdwa v49, v49, v174 dst_sel:BYTE_1 dst_unused:UNUSED_PAD src0_sel:DWORD src1_sel:BYTE_3
	v_sub_u16_sdwa v172, v172, v174 dst_sel:DWORD dst_unused:UNUSED_PAD src0_sel:WORD_1 src1_sel:WORD_1
	v_ashrrev_i32_e32 v174, s17, v175
	v_or_b32_sdwa v49, v172, v49 dst_sel:WORD_1 dst_unused:UNUSED_PAD src0_sel:BYTE_0 src1_sel:DWORD
	v_ashrrev_i32_e32 v172, s21, v173
	v_lshlrev_b32_e32 v174, 2, v174
	v_or_b32_sdwa v177, v177, v178 dst_sel:DWORD dst_unused:UNUSED_PAD src0_sel:BYTE_0 src1_sel:DWORD
	v_and_b32_e32 v173, 0x3030303, v172
	v_bfe_u32 v172, v172, 24, 2
	v_and_b32_e32 v174, 0x4040404, v174
	v_or_b32_sdwa v49, v177, v49 dst_sel:DWORD dst_unused:UNUSED_PAD src0_sel:WORD_0 src1_sel:DWORD
	v_sub_u16_e32 v175, v173, v174
	v_sub_u16_sdwa v177, v173, v174 dst_sel:BYTE_1 dst_unused:UNUSED_PAD src0_sel:BYTE_1 src1_sel:BYTE_1
	v_sub_u16_sdwa v172, v172, v174 dst_sel:BYTE_1 dst_unused:UNUSED_PAD src0_sel:DWORD src1_sel:BYTE_3
	v_sub_u16_sdwa v173, v173, v174 dst_sel:DWORD dst_unused:UNUSED_PAD src0_sel:WORD_1 src1_sel:WORD_1
	v_or_b32_sdwa v175, v175, v177 dst_sel:DWORD dst_unused:UNUSED_PAD src0_sel:BYTE_0 src1_sel:DWORD
	v_or_b32_sdwa v172, v173, v172 dst_sel:WORD_1 dst_unused:UNUSED_PAD src0_sel:BYTE_0 src1_sel:DWORD
	v_or_b32_sdwa v200, v175, v172 dst_sel:DWORD dst_unused:UNUSED_PAD src0_sel:WORD_0 src1_sel:DWORD
	ds_read2_b32 v[172:173], v214 offset0:4 offset1:5
	ds_read2_b32 v[174:175], v176 offset0:4 offset1:5
	v_add3_u32 v191, s22, v162, v122
	v_add3_u32 v215, s22, v164, v124
	v_add_u32_e32 v206, s20, v129
	s_waitcnt lgkmcnt(1)
	v_ashrrev_i32_e32 v172, s21, v172
	s_waitcnt lgkmcnt(0)
	v_ashrrev_i32_e32 v174, s17, v174
	v_lshlrev_b32_e32 v174, 2, v174
	v_and_b32_e32 v177, 0x3030303, v172
	v_bfe_u32 v172, v172, 24, 2
	v_and_b32_e32 v174, 0x4040404, v174
	v_sub_u16_e32 v178, v177, v174
	v_sub_u16_sdwa v179, v177, v174 dst_sel:BYTE_1 dst_unused:UNUSED_PAD src0_sel:BYTE_1 src1_sel:BYTE_1
	v_sub_u16_sdwa v172, v172, v174 dst_sel:BYTE_1 dst_unused:UNUSED_PAD src0_sel:DWORD src1_sel:BYTE_3
	v_sub_u16_sdwa v174, v177, v174 dst_sel:DWORD dst_unused:UNUSED_PAD src0_sel:WORD_1 src1_sel:WORD_1
	v_or_b32_sdwa v178, v178, v179 dst_sel:DWORD dst_unused:UNUSED_PAD src0_sel:BYTE_0 src1_sel:DWORD
	v_or_b32_sdwa v172, v174, v172 dst_sel:WORD_1 dst_unused:UNUSED_PAD src0_sel:BYTE_0 src1_sel:DWORD
	v_ashrrev_i32_e32 v174, s17, v175
	v_or_b32_sdwa v201, v178, v172 dst_sel:DWORD dst_unused:UNUSED_PAD src0_sel:WORD_0 src1_sel:DWORD
	v_ashrrev_i32_e32 v172, s21, v173
	v_lshlrev_b32_e32 v174, 2, v174
	v_and_b32_e32 v173, 0x3030303, v172
	v_bfe_u32 v172, v172, 24, 2
	v_and_b32_e32 v174, 0x4040404, v174
	v_sub_u16_e32 v175, v173, v174
	v_sub_u16_sdwa v177, v173, v174 dst_sel:BYTE_1 dst_unused:UNUSED_PAD src0_sel:BYTE_1 src1_sel:BYTE_1
	v_sub_u16_sdwa v172, v172, v174 dst_sel:BYTE_1 dst_unused:UNUSED_PAD src0_sel:DWORD src1_sel:BYTE_3
	v_sub_u16_sdwa v173, v173, v174 dst_sel:DWORD dst_unused:UNUSED_PAD src0_sel:WORD_1 src1_sel:WORD_1
	v_or_b32_sdwa v175, v175, v177 dst_sel:DWORD dst_unused:UNUSED_PAD src0_sel:BYTE_0 src1_sel:DWORD
	v_or_b32_sdwa v172, v173, v172 dst_sel:WORD_1 dst_unused:UNUSED_PAD src0_sel:BYTE_0 src1_sel:DWORD
	v_or_b32_sdwa v202, v175, v172 dst_sel:DWORD dst_unused:UNUSED_PAD src0_sel:WORD_0 src1_sel:DWORD
	ds_read2_b32 v[172:173], v214 offset0:6 offset1:7
	ds_read2_b32 v[174:175], v176 offset0:6 offset1:7
	v_add_u32_e32 v209, s20, v131
	v_add_u32_e32 v212, s20, v133
	s_add_i32 s18, s18, 2
	s_waitcnt lgkmcnt(1)
	v_ashrrev_i32_e32 v172, s21, v172
	s_waitcnt lgkmcnt(0)
	v_ashrrev_i32_e32 v174, s17, v174
	v_lshlrev_b32_e32 v174, 2, v174
	v_and_b32_e32 v177, 0x3030303, v172
	v_bfe_u32 v172, v172, 24, 2
	v_and_b32_e32 v174, 0x4040404, v174
	v_sub_u16_e32 v176, v177, v174
	v_sub_u16_sdwa v178, v177, v174 dst_sel:BYTE_1 dst_unused:UNUSED_PAD src0_sel:BYTE_1 src1_sel:BYTE_1
	v_sub_u16_sdwa v172, v172, v174 dst_sel:BYTE_1 dst_unused:UNUSED_PAD src0_sel:DWORD src1_sel:BYTE_3
	v_sub_u16_sdwa v174, v177, v174 dst_sel:DWORD dst_unused:UNUSED_PAD src0_sel:WORD_1 src1_sel:WORD_1
	v_or_b32_sdwa v176, v176, v178 dst_sel:DWORD dst_unused:UNUSED_PAD src0_sel:BYTE_0 src1_sel:DWORD
	v_or_b32_sdwa v172, v174, v172 dst_sel:WORD_1 dst_unused:UNUSED_PAD src0_sel:BYTE_0 src1_sel:DWORD
	v_ashrrev_i32_e32 v174, s17, v175
	v_or_b32_sdwa v203, v176, v172 dst_sel:DWORD dst_unused:UNUSED_PAD src0_sel:WORD_0 src1_sel:DWORD
	v_ashrrev_i32_e32 v172, s21, v173
	v_lshlrev_b32_e32 v174, 2, v174
	v_and_b32_e32 v173, 0x3030303, v172
	v_bfe_u32 v172, v172, 24, 2
	v_and_b32_e32 v174, 0x4040404, v174
	v_sub_u16_e32 v175, v173, v174
	v_sub_u16_sdwa v176, v173, v174 dst_sel:BYTE_1 dst_unused:UNUSED_PAD src0_sel:BYTE_1 src1_sel:BYTE_1
	v_sub_u16_sdwa v172, v172, v174 dst_sel:BYTE_1 dst_unused:UNUSED_PAD src0_sel:DWORD src1_sel:BYTE_3
	v_sub_u16_sdwa v173, v173, v174 dst_sel:DWORD dst_unused:UNUSED_PAD src0_sel:WORD_1 src1_sel:WORD_1
	v_or_b32_sdwa v172, v173, v172 dst_sel:WORD_1 dst_unused:UNUSED_PAD src0_sel:BYTE_0 src1_sel:DWORD
	v_dot4_i32_i8 v173, v47, v6, 0
	v_dot4_i32_i8 v173, v48, v7, v173
	;; [unrolled: 1-line block ×5, first 2 shown]
	v_or_b32_sdwa v175, v175, v176 dst_sel:DWORD dst_unused:UNUSED_PAD src0_sel:BYTE_0 src1_sel:DWORD
	v_dot4_i32_i8 v173, v202, v3, v173
	v_or_b32_sdwa v204, v175, v172 dst_sel:DWORD dst_unused:UNUSED_PAD src0_sel:WORD_0 src1_sel:DWORD
	v_dot4_i32_i8 v173, v203, v4, v173
	v_add3_u32 v172, s23, v167, v168
	v_dot4_i32_i8 v207, v204, v5, v173
	v_add_u32_e32 v173, 0x1080, v214
	ds_read_b32 v172, v172
	ds_read2_b32 v[173:174], v173 offset1:1
	ds_read2_b32 v[175:176], v182 offset1:1
	s_waitcnt lgkmcnt(1)
	v_ashrrev_i32_e32 v173, s21, v173
	s_waitcnt lgkmcnt(0)
	v_ashrrev_i32_e32 v175, s17, v175
	v_lshlrev_b32_e32 v175, 2, v175
	v_and_b32_e32 v177, 0x3030303, v173
	v_bfe_u32 v173, v173, 24, 2
	v_and_b32_e32 v175, 0x4040404, v175
	v_ashrrev_i32_e32 v176, s17, v176
	v_sub_u16_e32 v178, v177, v175
	v_sub_u16_sdwa v179, v177, v175 dst_sel:BYTE_1 dst_unused:UNUSED_PAD src0_sel:BYTE_1 src1_sel:BYTE_1
	v_sub_u16_sdwa v173, v173, v175 dst_sel:BYTE_1 dst_unused:UNUSED_PAD src0_sel:DWORD src1_sel:BYTE_3
	v_sub_u16_sdwa v175, v177, v175 dst_sel:DWORD dst_unused:UNUSED_PAD src0_sel:WORD_1 src1_sel:WORD_1
	v_ashrrev_i32_e32 v174, s21, v174
	v_lshlrev_b32_e32 v176, 2, v176
	v_or_b32_sdwa v178, v178, v179 dst_sel:DWORD dst_unused:UNUSED_PAD src0_sel:BYTE_0 src1_sel:DWORD
	v_or_b32_sdwa v173, v175, v173 dst_sel:WORD_1 dst_unused:UNUSED_PAD src0_sel:BYTE_0 src1_sel:DWORD
	v_and_b32_e32 v175, 0x3030303, v174
	v_bfe_u32 v174, v174, 24, 2
	v_and_b32_e32 v176, 0x4040404, v176
	v_or_b32_sdwa v173, v178, v173 dst_sel:DWORD dst_unused:UNUSED_PAD src0_sel:WORD_0 src1_sel:DWORD
	v_sub_u16_e32 v177, v175, v176
	v_sub_u16_sdwa v178, v175, v176 dst_sel:BYTE_1 dst_unused:UNUSED_PAD src0_sel:BYTE_1 src1_sel:BYTE_1
	v_sub_u16_sdwa v174, v174, v176 dst_sel:BYTE_1 dst_unused:UNUSED_PAD src0_sel:DWORD src1_sel:BYTE_3
	v_sub_u16_sdwa v175, v175, v176 dst_sel:DWORD dst_unused:UNUSED_PAD src0_sel:WORD_1 src1_sel:WORD_1
	v_or_b32_sdwa v177, v177, v178 dst_sel:DWORD dst_unused:UNUSED_PAD src0_sel:BYTE_0 src1_sel:DWORD
	v_or_b32_sdwa v174, v175, v174 dst_sel:WORD_1 dst_unused:UNUSED_PAD src0_sel:BYTE_0 src1_sel:DWORD
	v_add_u32_e32 v175, 0x1088, v214
	v_or_b32_sdwa v174, v177, v174 dst_sel:DWORD dst_unused:UNUSED_PAD src0_sel:WORD_0 src1_sel:DWORD
	ds_read2_b32 v[175:176], v175 offset1:1
	ds_read2_b32 v[177:178], v182 offset0:2 offset1:3
	s_waitcnt lgkmcnt(1)
	v_ashrrev_i32_e32 v175, s21, v175
	s_waitcnt lgkmcnt(0)
	v_ashrrev_i32_e32 v177, s17, v177
	v_lshlrev_b32_e32 v177, 2, v177
	v_and_b32_e32 v179, 0x3030303, v175
	v_bfe_u32 v175, v175, 24, 2
	v_and_b32_e32 v177, 0x4040404, v177
	v_ashrrev_i32_e32 v178, s17, v178
	v_sub_u16_e32 v180, v179, v177
	v_sub_u16_sdwa v181, v179, v177 dst_sel:BYTE_1 dst_unused:UNUSED_PAD src0_sel:BYTE_1 src1_sel:BYTE_1
	v_sub_u16_sdwa v175, v175, v177 dst_sel:BYTE_1 dst_unused:UNUSED_PAD src0_sel:DWORD src1_sel:BYTE_3
	v_sub_u16_sdwa v177, v179, v177 dst_sel:DWORD dst_unused:UNUSED_PAD src0_sel:WORD_1 src1_sel:WORD_1
	v_ashrrev_i32_e32 v176, s21, v176
	v_lshlrev_b32_e32 v178, 2, v178
	v_or_b32_sdwa v180, v180, v181 dst_sel:DWORD dst_unused:UNUSED_PAD src0_sel:BYTE_0 src1_sel:DWORD
	v_or_b32_sdwa v175, v177, v175 dst_sel:WORD_1 dst_unused:UNUSED_PAD src0_sel:BYTE_0 src1_sel:DWORD
	v_and_b32_e32 v177, 0x3030303, v176
	v_bfe_u32 v176, v176, 24, 2
	v_and_b32_e32 v178, 0x4040404, v178
	v_or_b32_sdwa v175, v180, v175 dst_sel:DWORD dst_unused:UNUSED_PAD src0_sel:WORD_0 src1_sel:DWORD
	v_sub_u16_e32 v179, v177, v178
	v_sub_u16_sdwa v180, v177, v178 dst_sel:BYTE_1 dst_unused:UNUSED_PAD src0_sel:BYTE_1 src1_sel:BYTE_1
	v_sub_u16_sdwa v176, v176, v178 dst_sel:BYTE_1 dst_unused:UNUSED_PAD src0_sel:DWORD src1_sel:BYTE_3
	v_sub_u16_sdwa v177, v177, v178 dst_sel:DWORD dst_unused:UNUSED_PAD src0_sel:WORD_1 src1_sel:WORD_1
	v_or_b32_sdwa v179, v179, v180 dst_sel:DWORD dst_unused:UNUSED_PAD src0_sel:BYTE_0 src1_sel:DWORD
	v_or_b32_sdwa v176, v177, v176 dst_sel:WORD_1 dst_unused:UNUSED_PAD src0_sel:BYTE_0 src1_sel:DWORD
	v_add_u32_e32 v177, 0x1090, v214
	v_or_b32_sdwa v176, v179, v176 dst_sel:DWORD dst_unused:UNUSED_PAD src0_sel:WORD_0 src1_sel:DWORD
	ds_read2_b32 v[178:179], v177 offset1:1
	ds_read2_b32 v[180:181], v182 offset0:4 offset1:5
	s_waitcnt lgkmcnt(1)
	v_ashrrev_i32_e32 v177, s21, v178
	s_waitcnt lgkmcnt(0)
	v_ashrrev_i32_e32 v180, s17, v180
	v_lshlrev_b32_e32 v180, 2, v180
	v_and_b32_e32 v178, 0x3030303, v177
	v_bfe_u32 v177, v177, 24, 2
	v_and_b32_e32 v180, 0x4040404, v180
	v_sub_u16_e32 v183, v178, v180
	v_sub_u16_sdwa v184, v178, v180 dst_sel:BYTE_1 dst_unused:UNUSED_PAD src0_sel:BYTE_1 src1_sel:BYTE_1
	v_sub_u16_sdwa v177, v177, v180 dst_sel:BYTE_1 dst_unused:UNUSED_PAD src0_sel:DWORD src1_sel:BYTE_3
	v_sub_u16_sdwa v178, v178, v180 dst_sel:DWORD dst_unused:UNUSED_PAD src0_sel:WORD_1 src1_sel:WORD_1
	v_or_b32_sdwa v183, v183, v184 dst_sel:DWORD dst_unused:UNUSED_PAD src0_sel:BYTE_0 src1_sel:DWORD
	v_or_b32_sdwa v177, v178, v177 dst_sel:WORD_1 dst_unused:UNUSED_PAD src0_sel:BYTE_0 src1_sel:DWORD
	v_ashrrev_i32_e32 v180, s17, v181
	v_or_b32_sdwa v178, v183, v177 dst_sel:DWORD dst_unused:UNUSED_PAD src0_sel:WORD_0 src1_sel:DWORD
	v_ashrrev_i32_e32 v177, s21, v179
	v_lshlrev_b32_e32 v180, 2, v180
	v_and_b32_e32 v179, 0x3030303, v177
	v_bfe_u32 v177, v177, 24, 2
	v_and_b32_e32 v180, 0x4040404, v180
	v_sub_u16_e32 v181, v179, v180
	v_sub_u16_sdwa v183, v179, v180 dst_sel:BYTE_1 dst_unused:UNUSED_PAD src0_sel:BYTE_1 src1_sel:BYTE_1
	v_sub_u16_sdwa v177, v177, v180 dst_sel:BYTE_1 dst_unused:UNUSED_PAD src0_sel:DWORD src1_sel:BYTE_3
	v_sub_u16_sdwa v179, v179, v180 dst_sel:DWORD dst_unused:UNUSED_PAD src0_sel:WORD_1 src1_sel:WORD_1
	v_or_b32_sdwa v181, v181, v183 dst_sel:DWORD dst_unused:UNUSED_PAD src0_sel:BYTE_0 src1_sel:DWORD
	v_or_b32_sdwa v177, v179, v177 dst_sel:WORD_1 dst_unused:UNUSED_PAD src0_sel:BYTE_0 src1_sel:DWORD
	v_or_b32_sdwa v179, v181, v177 dst_sel:DWORD dst_unused:UNUSED_PAD src0_sel:WORD_0 src1_sel:DWORD
	v_add_u32_e32 v177, 0x1098, v214
	ds_read2_b32 v[180:181], v177 offset1:1
	ds_read2_b32 v[182:183], v182 offset0:6 offset1:7
	s_waitcnt lgkmcnt(1)
	v_ashrrev_i32_e32 v177, s21, v180
	s_waitcnt lgkmcnt(0)
	v_ashrrev_i32_e32 v182, s17, v182
	v_lshlrev_b32_e32 v182, 2, v182
	v_and_b32_e32 v180, 0x3030303, v177
	v_bfe_u32 v177, v177, 24, 2
	v_and_b32_e32 v182, 0x4040404, v182
	v_sub_u16_e32 v184, v180, v182
	v_sub_u16_sdwa v185, v180, v182 dst_sel:BYTE_1 dst_unused:UNUSED_PAD src0_sel:BYTE_1 src1_sel:BYTE_1
	v_sub_u16_sdwa v177, v177, v182 dst_sel:BYTE_1 dst_unused:UNUSED_PAD src0_sel:DWORD src1_sel:BYTE_3
	v_sub_u16_sdwa v180, v180, v182 dst_sel:DWORD dst_unused:UNUSED_PAD src0_sel:WORD_1 src1_sel:WORD_1
	v_or_b32_sdwa v184, v184, v185 dst_sel:DWORD dst_unused:UNUSED_PAD src0_sel:BYTE_0 src1_sel:DWORD
	v_or_b32_sdwa v177, v180, v177 dst_sel:WORD_1 dst_unused:UNUSED_PAD src0_sel:BYTE_0 src1_sel:DWORD
	v_or_b32_sdwa v182, v184, v177 dst_sel:DWORD dst_unused:UNUSED_PAD src0_sel:WORD_0 src1_sel:DWORD
	v_ashrrev_i32_e32 v177, s21, v181
	v_ashrrev_i32_e32 v181, s17, v183
	v_lshlrev_b32_e32 v181, 2, v181
	v_and_b32_e32 v180, 0x3030303, v177
	v_bfe_u32 v177, v177, 24, 2
	v_and_b32_e32 v181, 0x4040404, v181
	v_sub_u16_e32 v183, v180, v181
	v_sub_u16_sdwa v184, v180, v181 dst_sel:BYTE_1 dst_unused:UNUSED_PAD src0_sel:BYTE_1 src1_sel:BYTE_1
	v_sub_u16_sdwa v177, v177, v181 dst_sel:BYTE_1 dst_unused:UNUSED_PAD src0_sel:DWORD src1_sel:BYTE_3
	v_sub_u16_sdwa v180, v180, v181 dst_sel:DWORD dst_unused:UNUSED_PAD src0_sel:WORD_1 src1_sel:WORD_1
	v_or_b32_sdwa v177, v180, v177 dst_sel:WORD_1 dst_unused:UNUSED_PAD src0_sel:BYTE_0 src1_sel:DWORD
	v_dot4_i32_i8 v180, v173, v6, 0
	v_dot4_i32_i8 v180, v174, v7, v180
	;; [unrolled: 1-line block ×5, first 2 shown]
	v_or_b32_sdwa v183, v183, v184 dst_sel:DWORD dst_unused:UNUSED_PAD src0_sel:BYTE_0 src1_sel:DWORD
	v_dot4_i32_i8 v180, v179, v3, v180
	v_or_b32_sdwa v183, v183, v177 dst_sel:DWORD dst_unused:UNUSED_PAD src0_sel:WORD_0 src1_sel:DWORD
	v_dot4_i32_i8 v180, v182, v4, v180
	v_add3_u32 v177, s23, v161, v121
	v_dot4_i32_i8 v211, v183, v5, v180
	v_add_u32_e32 v180, 0x2100, v214
	ds_read_b32 v177, v177
	ds_read2_b32 v[180:181], v180 offset1:1
	ds_read2_b32 v[184:185], v191 offset1:1
	s_waitcnt lgkmcnt(1)
	v_ashrrev_i32_e32 v180, s21, v180
	s_waitcnt lgkmcnt(0)
	v_ashrrev_i32_e32 v184, s17, v184
	v_lshlrev_b32_e32 v184, 2, v184
	v_and_b32_e32 v186, 0x3030303, v180
	v_bfe_u32 v180, v180, 24, 2
	v_and_b32_e32 v184, 0x4040404, v184
	v_ashrrev_i32_e32 v185, s17, v185
	v_sub_u16_e32 v187, v186, v184
	v_sub_u16_sdwa v188, v186, v184 dst_sel:BYTE_1 dst_unused:UNUSED_PAD src0_sel:BYTE_1 src1_sel:BYTE_1
	v_sub_u16_sdwa v180, v180, v184 dst_sel:BYTE_1 dst_unused:UNUSED_PAD src0_sel:DWORD src1_sel:BYTE_3
	v_sub_u16_sdwa v184, v186, v184 dst_sel:DWORD dst_unused:UNUSED_PAD src0_sel:WORD_1 src1_sel:WORD_1
	v_ashrrev_i32_e32 v181, s21, v181
	v_lshlrev_b32_e32 v185, 2, v185
	v_or_b32_sdwa v187, v187, v188 dst_sel:DWORD dst_unused:UNUSED_PAD src0_sel:BYTE_0 src1_sel:DWORD
	v_or_b32_sdwa v180, v184, v180 dst_sel:WORD_1 dst_unused:UNUSED_PAD src0_sel:BYTE_0 src1_sel:DWORD
	v_and_b32_e32 v184, 0x3030303, v181
	v_bfe_u32 v181, v181, 24, 2
	v_and_b32_e32 v185, 0x4040404, v185
	v_or_b32_sdwa v180, v187, v180 dst_sel:DWORD dst_unused:UNUSED_PAD src0_sel:WORD_0 src1_sel:DWORD
	v_sub_u16_e32 v186, v184, v185
	v_sub_u16_sdwa v187, v184, v185 dst_sel:BYTE_1 dst_unused:UNUSED_PAD src0_sel:BYTE_1 src1_sel:BYTE_1
	v_sub_u16_sdwa v181, v181, v185 dst_sel:BYTE_1 dst_unused:UNUSED_PAD src0_sel:DWORD src1_sel:BYTE_3
	v_sub_u16_sdwa v184, v184, v185 dst_sel:DWORD dst_unused:UNUSED_PAD src0_sel:WORD_1 src1_sel:WORD_1
	v_or_b32_sdwa v186, v186, v187 dst_sel:DWORD dst_unused:UNUSED_PAD src0_sel:BYTE_0 src1_sel:DWORD
	v_or_b32_sdwa v181, v184, v181 dst_sel:WORD_1 dst_unused:UNUSED_PAD src0_sel:BYTE_0 src1_sel:DWORD
	v_add_u32_e32 v184, 0x2108, v214
	v_or_b32_sdwa v181, v186, v181 dst_sel:DWORD dst_unused:UNUSED_PAD src0_sel:WORD_0 src1_sel:DWORD
	ds_read2_b32 v[184:185], v184 offset1:1
	ds_read2_b32 v[186:187], v191 offset0:2 offset1:3
	s_waitcnt lgkmcnt(1)
	v_ashrrev_i32_e32 v184, s21, v184
	s_waitcnt lgkmcnt(0)
	v_ashrrev_i32_e32 v186, s17, v186
	v_lshlrev_b32_e32 v186, 2, v186
	v_and_b32_e32 v188, 0x3030303, v184
	v_bfe_u32 v184, v184, 24, 2
	v_and_b32_e32 v186, 0x4040404, v186
	v_ashrrev_i32_e32 v187, s17, v187
	v_sub_u16_e32 v189, v188, v186
	v_sub_u16_sdwa v190, v188, v186 dst_sel:BYTE_1 dst_unused:UNUSED_PAD src0_sel:BYTE_1 src1_sel:BYTE_1
	v_sub_u16_sdwa v184, v184, v186 dst_sel:BYTE_1 dst_unused:UNUSED_PAD src0_sel:DWORD src1_sel:BYTE_3
	v_sub_u16_sdwa v186, v188, v186 dst_sel:DWORD dst_unused:UNUSED_PAD src0_sel:WORD_1 src1_sel:WORD_1
	v_ashrrev_i32_e32 v185, s21, v185
	v_lshlrev_b32_e32 v187, 2, v187
	v_or_b32_sdwa v189, v189, v190 dst_sel:DWORD dst_unused:UNUSED_PAD src0_sel:BYTE_0 src1_sel:DWORD
	v_or_b32_sdwa v184, v186, v184 dst_sel:WORD_1 dst_unused:UNUSED_PAD src0_sel:BYTE_0 src1_sel:DWORD
	v_and_b32_e32 v186, 0x3030303, v185
	v_bfe_u32 v185, v185, 24, 2
	v_and_b32_e32 v187, 0x4040404, v187
	v_or_b32_sdwa v184, v189, v184 dst_sel:DWORD dst_unused:UNUSED_PAD src0_sel:WORD_0 src1_sel:DWORD
	v_sub_u16_e32 v188, v186, v187
	v_sub_u16_sdwa v189, v186, v187 dst_sel:BYTE_1 dst_unused:UNUSED_PAD src0_sel:BYTE_1 src1_sel:BYTE_1
	v_sub_u16_sdwa v185, v185, v187 dst_sel:BYTE_1 dst_unused:UNUSED_PAD src0_sel:DWORD src1_sel:BYTE_3
	v_sub_u16_sdwa v186, v186, v187 dst_sel:DWORD dst_unused:UNUSED_PAD src0_sel:WORD_1 src1_sel:WORD_1
	v_or_b32_sdwa v188, v188, v189 dst_sel:DWORD dst_unused:UNUSED_PAD src0_sel:BYTE_0 src1_sel:DWORD
	v_or_b32_sdwa v185, v186, v185 dst_sel:WORD_1 dst_unused:UNUSED_PAD src0_sel:BYTE_0 src1_sel:DWORD
	v_add_u32_e32 v186, 0x2110, v214
	v_or_b32_sdwa v185, v188, v185 dst_sel:DWORD dst_unused:UNUSED_PAD src0_sel:WORD_0 src1_sel:DWORD
	ds_read2_b32 v[187:188], v186 offset1:1
	ds_read2_b32 v[189:190], v191 offset0:4 offset1:5
	s_waitcnt lgkmcnt(1)
	v_ashrrev_i32_e32 v186, s21, v187
	s_waitcnt lgkmcnt(0)
	v_ashrrev_i32_e32 v189, s17, v189
	v_lshlrev_b32_e32 v189, 2, v189
	v_and_b32_e32 v187, 0x3030303, v186
	v_bfe_u32 v186, v186, 24, 2
	v_and_b32_e32 v189, 0x4040404, v189
	v_sub_u16_e32 v192, v187, v189
	v_sub_u16_sdwa v193, v187, v189 dst_sel:BYTE_1 dst_unused:UNUSED_PAD src0_sel:BYTE_1 src1_sel:BYTE_1
	v_sub_u16_sdwa v186, v186, v189 dst_sel:BYTE_1 dst_unused:UNUSED_PAD src0_sel:DWORD src1_sel:BYTE_3
	v_sub_u16_sdwa v187, v187, v189 dst_sel:DWORD dst_unused:UNUSED_PAD src0_sel:WORD_1 src1_sel:WORD_1
	v_or_b32_sdwa v192, v192, v193 dst_sel:DWORD dst_unused:UNUSED_PAD src0_sel:BYTE_0 src1_sel:DWORD
	v_or_b32_sdwa v186, v187, v186 dst_sel:WORD_1 dst_unused:UNUSED_PAD src0_sel:BYTE_0 src1_sel:DWORD
	v_ashrrev_i32_e32 v189, s17, v190
	v_or_b32_sdwa v187, v192, v186 dst_sel:DWORD dst_unused:UNUSED_PAD src0_sel:WORD_0 src1_sel:DWORD
	v_ashrrev_i32_e32 v186, s21, v188
	v_lshlrev_b32_e32 v189, 2, v189
	v_and_b32_e32 v188, 0x3030303, v186
	v_bfe_u32 v186, v186, 24, 2
	v_and_b32_e32 v189, 0x4040404, v189
	v_sub_u16_e32 v190, v188, v189
	v_sub_u16_sdwa v192, v188, v189 dst_sel:BYTE_1 dst_unused:UNUSED_PAD src0_sel:BYTE_1 src1_sel:BYTE_1
	v_sub_u16_sdwa v186, v186, v189 dst_sel:BYTE_1 dst_unused:UNUSED_PAD src0_sel:DWORD src1_sel:BYTE_3
	v_sub_u16_sdwa v188, v188, v189 dst_sel:DWORD dst_unused:UNUSED_PAD src0_sel:WORD_1 src1_sel:WORD_1
	v_or_b32_sdwa v190, v190, v192 dst_sel:DWORD dst_unused:UNUSED_PAD src0_sel:BYTE_0 src1_sel:DWORD
	v_or_b32_sdwa v186, v188, v186 dst_sel:WORD_1 dst_unused:UNUSED_PAD src0_sel:BYTE_0 src1_sel:DWORD
	v_or_b32_sdwa v188, v190, v186 dst_sel:DWORD dst_unused:UNUSED_PAD src0_sel:WORD_0 src1_sel:DWORD
	v_add_u32_e32 v186, 0x2118, v214
	ds_read2_b32 v[189:190], v186 offset1:1
	ds_read2_b32 v[191:192], v191 offset0:6 offset1:7
	s_waitcnt lgkmcnt(1)
	v_ashrrev_i32_e32 v186, s21, v189
	s_waitcnt lgkmcnt(0)
	v_ashrrev_i32_e32 v191, s17, v191
	v_lshlrev_b32_e32 v191, 2, v191
	v_and_b32_e32 v189, 0x3030303, v186
	v_bfe_u32 v186, v186, 24, 2
	v_and_b32_e32 v191, 0x4040404, v191
	v_sub_u16_e32 v193, v189, v191
	v_sub_u16_sdwa v194, v189, v191 dst_sel:BYTE_1 dst_unused:UNUSED_PAD src0_sel:BYTE_1 src1_sel:BYTE_1
	v_sub_u16_sdwa v186, v186, v191 dst_sel:BYTE_1 dst_unused:UNUSED_PAD src0_sel:DWORD src1_sel:BYTE_3
	v_sub_u16_sdwa v189, v189, v191 dst_sel:DWORD dst_unused:UNUSED_PAD src0_sel:WORD_1 src1_sel:WORD_1
	v_or_b32_sdwa v193, v193, v194 dst_sel:DWORD dst_unused:UNUSED_PAD src0_sel:BYTE_0 src1_sel:DWORD
	v_or_b32_sdwa v186, v189, v186 dst_sel:WORD_1 dst_unused:UNUSED_PAD src0_sel:BYTE_0 src1_sel:DWORD
	v_or_b32_sdwa v191, v193, v186 dst_sel:DWORD dst_unused:UNUSED_PAD src0_sel:WORD_0 src1_sel:DWORD
	v_ashrrev_i32_e32 v186, s21, v190
	v_ashrrev_i32_e32 v190, s17, v192
	v_lshlrev_b32_e32 v190, 2, v190
	v_and_b32_e32 v189, 0x3030303, v186
	v_bfe_u32 v186, v186, 24, 2
	v_and_b32_e32 v190, 0x4040404, v190
	v_sub_u16_e32 v192, v189, v190
	v_sub_u16_sdwa v193, v189, v190 dst_sel:BYTE_1 dst_unused:UNUSED_PAD src0_sel:BYTE_1 src1_sel:BYTE_1
	v_sub_u16_sdwa v186, v186, v190 dst_sel:BYTE_1 dst_unused:UNUSED_PAD src0_sel:DWORD src1_sel:BYTE_3
	v_sub_u16_sdwa v189, v189, v190 dst_sel:DWORD dst_unused:UNUSED_PAD src0_sel:WORD_1 src1_sel:WORD_1
	v_or_b32_sdwa v186, v189, v186 dst_sel:WORD_1 dst_unused:UNUSED_PAD src0_sel:BYTE_0 src1_sel:DWORD
	v_dot4_i32_i8 v189, v180, v6, 0
	v_dot4_i32_i8 v189, v181, v7, v189
	;; [unrolled: 1-line block ×5, first 2 shown]
	v_or_b32_sdwa v192, v192, v193 dst_sel:DWORD dst_unused:UNUSED_PAD src0_sel:BYTE_0 src1_sel:DWORD
	v_dot4_i32_i8 v189, v188, v3, v189
	v_or_b32_sdwa v192, v192, v186 dst_sel:DWORD dst_unused:UNUSED_PAD src0_sel:WORD_0 src1_sel:DWORD
	v_dot4_i32_i8 v189, v191, v4, v189
	v_add3_u32 v186, s23, v163, v123
	v_dot4_i32_i8 v213, v192, v5, v189
	v_add_u32_e32 v189, 0x3180, v214
	ds_read_b32 v186, v186
	ds_read2_b32 v[189:190], v189 offset1:1
	ds_read2_b32 v[193:194], v215 offset1:1
	s_waitcnt lgkmcnt(1)
	v_ashrrev_i32_e32 v189, s21, v189
	s_waitcnt lgkmcnt(0)
	v_ashrrev_i32_e32 v193, s17, v193
	v_lshlrev_b32_e32 v193, 2, v193
	v_and_b32_e32 v195, 0x3030303, v189
	v_bfe_u32 v189, v189, 24, 2
	v_and_b32_e32 v193, 0x4040404, v193
	v_ashrrev_i32_e32 v194, s17, v194
	v_sub_u16_e32 v196, v195, v193
	v_sub_u16_sdwa v197, v195, v193 dst_sel:BYTE_1 dst_unused:UNUSED_PAD src0_sel:BYTE_1 src1_sel:BYTE_1
	v_sub_u16_sdwa v189, v189, v193 dst_sel:BYTE_1 dst_unused:UNUSED_PAD src0_sel:DWORD src1_sel:BYTE_3
	v_sub_u16_sdwa v193, v195, v193 dst_sel:DWORD dst_unused:UNUSED_PAD src0_sel:WORD_1 src1_sel:WORD_1
	v_ashrrev_i32_e32 v190, s21, v190
	v_lshlrev_b32_e32 v194, 2, v194
	v_or_b32_sdwa v196, v196, v197 dst_sel:DWORD dst_unused:UNUSED_PAD src0_sel:BYTE_0 src1_sel:DWORD
	v_or_b32_sdwa v189, v193, v189 dst_sel:WORD_1 dst_unused:UNUSED_PAD src0_sel:BYTE_0 src1_sel:DWORD
	v_and_b32_e32 v193, 0x3030303, v190
	v_bfe_u32 v190, v190, 24, 2
	v_and_b32_e32 v194, 0x4040404, v194
	v_or_b32_sdwa v189, v196, v189 dst_sel:DWORD dst_unused:UNUSED_PAD src0_sel:WORD_0 src1_sel:DWORD
	v_sub_u16_e32 v195, v193, v194
	v_sub_u16_sdwa v196, v193, v194 dst_sel:BYTE_1 dst_unused:UNUSED_PAD src0_sel:BYTE_1 src1_sel:BYTE_1
	v_sub_u16_sdwa v190, v190, v194 dst_sel:BYTE_1 dst_unused:UNUSED_PAD src0_sel:DWORD src1_sel:BYTE_3
	v_sub_u16_sdwa v193, v193, v194 dst_sel:DWORD dst_unused:UNUSED_PAD src0_sel:WORD_1 src1_sel:WORD_1
	v_or_b32_sdwa v195, v195, v196 dst_sel:DWORD dst_unused:UNUSED_PAD src0_sel:BYTE_0 src1_sel:DWORD
	v_or_b32_sdwa v190, v193, v190 dst_sel:WORD_1 dst_unused:UNUSED_PAD src0_sel:BYTE_0 src1_sel:DWORD
	v_add_u32_e32 v193, 0x3188, v214
	v_or_b32_sdwa v190, v195, v190 dst_sel:DWORD dst_unused:UNUSED_PAD src0_sel:WORD_0 src1_sel:DWORD
	ds_read2_b32 v[193:194], v193 offset1:1
	ds_read2_b32 v[195:196], v215 offset0:2 offset1:3
	v_dot4_i32_i8 v6, v189, v6, 0
	v_dot4_i32_i8 v6, v190, v7, v6
	s_waitcnt lgkmcnt(1)
	v_ashrrev_i32_e32 v193, s21, v193
	s_waitcnt lgkmcnt(0)
	v_ashrrev_i32_e32 v195, s17, v195
	v_lshlrev_b32_e32 v195, 2, v195
	v_and_b32_e32 v197, 0x3030303, v193
	v_bfe_u32 v193, v193, 24, 2
	v_and_b32_e32 v195, 0x4040404, v195
	v_ashrrev_i32_e32 v196, s17, v196
	v_sub_u16_e32 v198, v197, v195
	v_sub_u16_sdwa v199, v197, v195 dst_sel:BYTE_1 dst_unused:UNUSED_PAD src0_sel:BYTE_1 src1_sel:BYTE_1
	v_sub_u16_sdwa v193, v193, v195 dst_sel:BYTE_1 dst_unused:UNUSED_PAD src0_sel:DWORD src1_sel:BYTE_3
	v_sub_u16_sdwa v195, v197, v195 dst_sel:DWORD dst_unused:UNUSED_PAD src0_sel:WORD_1 src1_sel:WORD_1
	v_ashrrev_i32_e32 v194, s21, v194
	v_lshlrev_b32_e32 v196, 2, v196
	v_or_b32_sdwa v198, v198, v199 dst_sel:DWORD dst_unused:UNUSED_PAD src0_sel:BYTE_0 src1_sel:DWORD
	v_or_b32_sdwa v193, v195, v193 dst_sel:WORD_1 dst_unused:UNUSED_PAD src0_sel:BYTE_0 src1_sel:DWORD
	v_and_b32_e32 v195, 0x3030303, v194
	v_bfe_u32 v194, v194, 24, 2
	v_and_b32_e32 v196, 0x4040404, v196
	v_or_b32_sdwa v193, v198, v193 dst_sel:DWORD dst_unused:UNUSED_PAD src0_sel:WORD_0 src1_sel:DWORD
	v_sub_u16_e32 v197, v195, v196
	v_sub_u16_sdwa v198, v195, v196 dst_sel:BYTE_1 dst_unused:UNUSED_PAD src0_sel:BYTE_1 src1_sel:BYTE_1
	v_sub_u16_sdwa v194, v194, v196 dst_sel:BYTE_1 dst_unused:UNUSED_PAD src0_sel:DWORD src1_sel:BYTE_3
	v_sub_u16_sdwa v195, v195, v196 dst_sel:DWORD dst_unused:UNUSED_PAD src0_sel:WORD_1 src1_sel:WORD_1
	v_or_b32_sdwa v197, v197, v198 dst_sel:DWORD dst_unused:UNUSED_PAD src0_sel:BYTE_0 src1_sel:DWORD
	v_or_b32_sdwa v194, v195, v194 dst_sel:WORD_1 dst_unused:UNUSED_PAD src0_sel:BYTE_0 src1_sel:DWORD
	v_add_u32_e32 v195, 0x3190, v214
	v_or_b32_sdwa v194, v197, v194 dst_sel:DWORD dst_unused:UNUSED_PAD src0_sel:WORD_0 src1_sel:DWORD
	ds_read2_b32 v[196:197], v195 offset1:1
	ds_read2_b32 v[198:199], v215 offset0:4 offset1:5
	v_dot4_i32_i8 v6, v193, v8, v6
	v_dot4_i32_i8 v6, v194, v9, v6
	s_waitcnt lgkmcnt(1)
	v_ashrrev_i32_e32 v195, s21, v196
	s_waitcnt lgkmcnt(0)
	v_ashrrev_i32_e32 v198, s17, v198
	v_lshlrev_b32_e32 v198, 2, v198
	v_and_b32_e32 v196, 0x3030303, v195
	v_bfe_u32 v195, v195, 24, 2
	v_and_b32_e32 v198, 0x4040404, v198
	v_sub_u16_e32 v216, v196, v198
	v_sub_u16_sdwa v217, v196, v198 dst_sel:BYTE_1 dst_unused:UNUSED_PAD src0_sel:BYTE_1 src1_sel:BYTE_1
	v_sub_u16_sdwa v195, v195, v198 dst_sel:BYTE_1 dst_unused:UNUSED_PAD src0_sel:DWORD src1_sel:BYTE_3
	v_sub_u16_sdwa v196, v196, v198 dst_sel:DWORD dst_unused:UNUSED_PAD src0_sel:WORD_1 src1_sel:WORD_1
	v_or_b32_sdwa v216, v216, v217 dst_sel:DWORD dst_unused:UNUSED_PAD src0_sel:BYTE_0 src1_sel:DWORD
	v_or_b32_sdwa v195, v196, v195 dst_sel:WORD_1 dst_unused:UNUSED_PAD src0_sel:BYTE_0 src1_sel:DWORD
	v_ashrrev_i32_e32 v198, s17, v199
	v_or_b32_sdwa v196, v216, v195 dst_sel:DWORD dst_unused:UNUSED_PAD src0_sel:WORD_0 src1_sel:DWORD
	v_ashrrev_i32_e32 v195, s21, v197
	v_lshlrev_b32_e32 v198, 2, v198
	v_and_b32_e32 v197, 0x3030303, v195
	v_bfe_u32 v195, v195, 24, 2
	v_and_b32_e32 v198, 0x4040404, v198
	v_sub_u16_e32 v199, v197, v198
	v_sub_u16_sdwa v216, v197, v198 dst_sel:BYTE_1 dst_unused:UNUSED_PAD src0_sel:BYTE_1 src1_sel:BYTE_1
	v_sub_u16_sdwa v195, v195, v198 dst_sel:BYTE_1 dst_unused:UNUSED_PAD src0_sel:DWORD src1_sel:BYTE_3
	v_sub_u16_sdwa v197, v197, v198 dst_sel:DWORD dst_unused:UNUSED_PAD src0_sel:WORD_1 src1_sel:WORD_1
	v_or_b32_sdwa v199, v199, v216 dst_sel:DWORD dst_unused:UNUSED_PAD src0_sel:BYTE_0 src1_sel:DWORD
	v_or_b32_sdwa v195, v197, v195 dst_sel:WORD_1 dst_unused:UNUSED_PAD src0_sel:BYTE_0 src1_sel:DWORD
	v_or_b32_sdwa v197, v199, v195 dst_sel:DWORD dst_unused:UNUSED_PAD src0_sel:WORD_0 src1_sel:DWORD
	v_add_u32_e32 v195, 0x3198, v214
	ds_read2_b32 v[198:199], v195 offset1:1
	ds_read2_b32 v[214:215], v215 offset0:6 offset1:7
	v_dot4_i32_i8 v2, v196, v2, 0
	v_dot4_i32_i8 v2, v197, v3, v2
	s_waitcnt lgkmcnt(1)
	v_ashrrev_i32_e32 v195, s21, v198
	s_waitcnt lgkmcnt(0)
	v_ashrrev_i32_e32 v214, s17, v214
	v_lshlrev_b32_e32 v214, 2, v214
	v_and_b32_e32 v198, 0x3030303, v195
	v_bfe_u32 v195, v195, 24, 2
	v_and_b32_e32 v214, 0x4040404, v214
	v_sub_u16_e32 v216, v198, v214
	v_sub_u16_sdwa v217, v198, v214 dst_sel:BYTE_1 dst_unused:UNUSED_PAD src0_sel:BYTE_1 src1_sel:BYTE_1
	v_sub_u16_sdwa v195, v195, v214 dst_sel:BYTE_1 dst_unused:UNUSED_PAD src0_sel:DWORD src1_sel:BYTE_3
	v_sub_u16_sdwa v198, v198, v214 dst_sel:DWORD dst_unused:UNUSED_PAD src0_sel:WORD_1 src1_sel:WORD_1
	v_or_b32_sdwa v216, v216, v217 dst_sel:DWORD dst_unused:UNUSED_PAD src0_sel:BYTE_0 src1_sel:DWORD
	v_or_b32_sdwa v195, v198, v195 dst_sel:WORD_1 dst_unused:UNUSED_PAD src0_sel:BYTE_0 src1_sel:DWORD
	v_ashrrev_i32_e32 v214, s17, v215
	v_or_b32_sdwa v198, v216, v195 dst_sel:DWORD dst_unused:UNUSED_PAD src0_sel:WORD_0 src1_sel:DWORD
	v_ashrrev_i32_e32 v195, s21, v199
	v_lshlrev_b32_e32 v214, 2, v214
	v_and_b32_e32 v199, 0x3030303, v195
	v_bfe_u32 v195, v195, 24, 2
	v_and_b32_e32 v214, 0x4040404, v214
	v_sub_u16_e32 v215, v199, v214
	v_sub_u16_sdwa v216, v199, v214 dst_sel:BYTE_1 dst_unused:UNUSED_PAD src0_sel:BYTE_1 src1_sel:BYTE_1
	v_sub_u16_sdwa v195, v195, v214 dst_sel:BYTE_1 dst_unused:UNUSED_PAD src0_sel:DWORD src1_sel:BYTE_3
	v_sub_u16_sdwa v199, v199, v214 dst_sel:DWORD dst_unused:UNUSED_PAD src0_sel:WORD_1 src1_sel:WORD_1
	v_or_b32_sdwa v215, v215, v216 dst_sel:DWORD dst_unused:UNUSED_PAD src0_sel:BYTE_0 src1_sel:DWORD
	v_or_b32_sdwa v195, v199, v195 dst_sel:WORD_1 dst_unused:UNUSED_PAD src0_sel:BYTE_0 src1_sel:DWORD
	v_or_b32_sdwa v199, v215, v195 dst_sel:DWORD dst_unused:UNUSED_PAD src0_sel:WORD_0 src1_sel:DWORD
	v_add3_u32 v195, s23, v165, v125
	ds_read_b32 v195, v195
	ds_read_b128 v[217:220], v170 offset:1024
	ds_read_b128 v[221:224], v170 offset:1040
	v_dot4_i32_i8 v2, v198, v4, v2
	v_dot4_i32_i8 v2, v199, v5, v2
	v_add_u32_e32 v214, s20, v135
	s_waitcnt lgkmcnt(1)
	v_dot4_i32_i8 v3, v47, v217, 0
	v_dot4_i32_i8 v3, v48, v218, v3
	v_dot4_i32_i8 v3, v49, v219, v3
	v_dot4_i32_i8 v4, v200, v220, v3
	s_waitcnt lgkmcnt(0)
	v_dot4_i32_i8 v3, v201, v221, 0
	v_dot4_i32_i8 v3, v202, v222, v3
	;; [unrolled: 1-line block ×4, first 2 shown]
	ds_read_u16 v3, v206 offset:33538
	s_add_i32 s17, s17, 1
	s_cmp_lt_u32 s19, 14
	s_waitcnt lgkmcnt(0)
	v_bfe_i32 v215, v3, 0, 8
	v_mul_lo_u32 v4, v4, v215
	v_lshrrev_b16_e32 v7, 8, v3
	v_bfe_i32 v216, v7, 0, 8
	v_mul_lo_u32 v3, v207, v216
	v_mad_u64_u32 v[4:5], s[20:21], v5, v216, v[4:5]
	v_mul_f32_e32 v5, v172, v46
	v_mad_u64_u32 v[7:8], s[20:21], v205, v215, v[3:4]
	v_mul_f32_e32 v3, v172, v45
	v_cvt_f32_i32_e32 v4, v4
	v_cvt_f32_i32_e32 v7, v7
	v_fma_f32 v11, v5, v4, v11
	v_fmac_f32_e32 v10, v3, v7
	v_dot4_i32_i8 v3, v173, v217, 0
	v_dot4_i32_i8 v3, v174, v218, v3
	;; [unrolled: 1-line block ×8, first 2 shown]
	ds_read_u16 v3, v209 offset:34562
	s_waitcnt lgkmcnt(0)
	v_bfe_i32 v205, v3, 0, 8
	v_mul_lo_u32 v4, v4, v205
	v_lshrrev_b16_e32 v7, 8, v3
	v_bfe_i32 v206, v7, 0, 8
	v_mul_lo_u32 v3, v211, v206
	v_mad_u64_u32 v[4:5], s[20:21], v5, v206, v[4:5]
	v_mul_f32_e32 v5, v177, v46
	v_mad_u64_u32 v[7:8], s[20:21], v208, v205, v[3:4]
	v_mul_f32_e32 v3, v177, v45
	v_cvt_f32_i32_e32 v4, v4
	v_cvt_f32_i32_e32 v7, v7
	v_fma_f32 v40, v5, v4, v40
	v_fmac_f32_e32 v39, v3, v7
	v_dot4_i32_i8 v3, v180, v217, 0
	v_dot4_i32_i8 v3, v181, v218, v3
	;; [unrolled: 1-line block ×8, first 2 shown]
	ds_read_u16 v3, v212 offset:35586
	s_waitcnt lgkmcnt(0)
	v_bfe_i32 v207, v3, 0, 8
	v_mul_lo_u32 v4, v4, v207
	v_lshrrev_b16_e32 v7, 8, v3
	v_bfe_i32 v208, v7, 0, 8
	v_mul_lo_u32 v3, v213, v208
	v_mad_u64_u32 v[4:5], s[20:21], v5, v208, v[4:5]
	v_mul_f32_e32 v5, v186, v46
	v_mad_u64_u32 v[7:8], s[20:21], v210, v207, v[3:4]
	v_cvt_f32_i32_e32 v4, v4
	v_mul_f32_e32 v3, v186, v45
	v_cvt_f32_i32_e32 v7, v7
	v_fma_f32 v42, v5, v4, v42
	ds_read_u16 v5, v214 offset:36610
	v_fmac_f32_e32 v41, v3, v7
	v_dot4_i32_i8 v3, v189, v217, 0
	v_dot4_i32_i8 v3, v190, v218, v3
	;; [unrolled: 1-line block ×4, first 2 shown]
	s_waitcnt lgkmcnt(0)
	v_bfe_i32 v209, v5, 0, 8
	v_dot4_i32_i8 v4, v196, v221, 0
	v_mul_lo_u32 v3, v3, v209
	v_dot4_i32_i8 v4, v197, v222, v4
	v_dot4_i32_i8 v4, v198, v223, v4
	v_lshrrev_b16_e32 v7, 8, v5
	v_dot4_i32_i8 v4, v199, v224, v4
	v_bfe_i32 v210, v7, 0, 8
	v_mul_lo_u32 v2, v2, v210
	v_mad_u64_u32 v[3:4], s[20:21], v4, v210, v[3:4]
	v_mad_u64_u32 v[4:5], s[20:21], v6, v209, v[2:3]
	v_cvt_f32_i32_e32 v3, v3
	v_mul_f32_e32 v2, v195, v45
	v_cvt_f32_i32_e32 v4, v4
	v_mul_f32_e32 v5, v195, v46
	v_fma_f32 v44, v5, v3, v44
	v_fmac_f32_e32 v43, v2, v4
	ds_read2_b32 v[45:46], v171 offset0:64 offset1:96
	ds_read_b128 v[2:5], v170 offset:2048
	ds_read_b128 v[6:9], v170 offset:2064
	s_waitcnt lgkmcnt(1)
	v_dot4_i32_i8 v212, v173, v2, 0
	v_dot4_i32_i8 v212, v174, v3, v212
	;; [unrolled: 1-line block ×4, first 2 shown]
	s_waitcnt lgkmcnt(0)
	v_dot4_i32_i8 v212, v178, v6, 0
	v_dot4_i32_i8 v212, v179, v7, v212
	;; [unrolled: 1-line block ×28, first 2 shown]
	ds_read_b128 v[2:5], v170 offset:3072
	ds_read_b128 v[6:9], v170 offset:3088
	v_mul_lo_u32 v211, v211, v216
	s_waitcnt lgkmcnt(1)
	v_dot4_i32_i8 v212, v47, v2, 0
	v_dot4_i32_i8 v212, v48, v3, v212
	;; [unrolled: 1-line block ×4, first 2 shown]
	s_waitcnt lgkmcnt(0)
	v_dot4_i32_i8 v213, v201, v6, 0
	v_mul_lo_u32 v212, v212, v215
	v_dot4_i32_i8 v213, v202, v7, v213
	v_dot4_i32_i8 v213, v203, v8, v213
	;; [unrolled: 1-line block ×3, first 2 shown]
	v_mad_u64_u32 v[212:213], s[20:21], v213, v216, v[212:213]
	v_mad_u64_u32 v[213:214], s[20:21], v214, v215, v[211:212]
	v_mul_f32_e32 v211, v172, v45
	v_cvt_f32_i32_e32 v212, v212
	v_cvt_f32_i32_e32 v213, v213
	v_mul_f32_e32 v214, v172, v46
	v_fma_f32 v32, v214, v212, v32
	v_fmac_f32_e32 v31, v211, v213
	v_dot4_i32_i8 v211, v173, v2, 0
	v_dot4_i32_i8 v211, v174, v3, v211
	;; [unrolled: 1-line block ×5, first 2 shown]
	v_mul_lo_u32 v212, v212, v205
	v_dot4_i32_i8 v211, v179, v7, v211
	v_dot4_i32_i8 v211, v182, v8, v211
	;; [unrolled: 1-line block ×3, first 2 shown]
	v_mul_lo_u32 v211, v218, v206
	v_mad_u64_u32 v[212:213], s[20:21], v213, v206, v[212:213]
	v_mad_u64_u32 v[213:214], s[20:21], v217, v205, v[211:212]
	v_mul_f32_e32 v211, v177, v45
	v_cvt_f32_i32_e32 v212, v212
	v_cvt_f32_i32_e32 v213, v213
	v_mul_f32_e32 v214, v177, v46
	v_fma_f32 v34, v214, v212, v34
	v_fmac_f32_e32 v33, v211, v213
	v_dot4_i32_i8 v211, v180, v2, 0
	v_dot4_i32_i8 v2, v189, v2, 0
	;; [unrolled: 1-line block ×7, first 2 shown]
	v_mul_lo_u32 v3, v3, v209
	v_dot4_i32_i8 v2, v197, v7, v2
	v_dot4_i32_i8 v2, v198, v8, v2
	;; [unrolled: 1-line block ×4, first 2 shown]
	v_mul_lo_u32 v2, v222, v210
	v_mad_u64_u32 v[3:4], s[20:21], v4, v210, v[3:4]
	v_dot4_i32_i8 v212, v185, v5, v211
	v_dot4_i32_i8 v211, v187, v6, 0
	v_mul_lo_u32 v212, v212, v207
	v_dot4_i32_i8 v211, v188, v7, v211
	v_mad_u64_u32 v[4:5], s[20:21], v221, v209, v[2:3]
	v_dot4_i32_i8 v211, v191, v8, v211
	v_dot4_i32_i8 v213, v192, v9, v211
	v_mul_lo_u32 v211, v220, v208
	v_mad_u64_u32 v[212:213], s[20:21], v213, v208, v[212:213]
	v_cvt_f32_i32_e32 v4, v4
	v_cvt_f32_i32_e32 v3, v3
	v_mad_u64_u32 v[213:214], s[20:21], v219, v207, v[211:212]
	v_mul_f32_e32 v2, v195, v45
	v_mul_f32_e32 v5, v195, v46
	;; [unrolled: 1-line block ×4, first 2 shown]
	v_cvt_f32_i32_e32 v212, v212
	v_fma_f32 v38, v5, v3, v38
	v_fmac_f32_e32 v37, v2, v4
	ds_read2_b32 v[45:46], v171 offset0:128 offset1:160
	ds_read_b128 v[2:5], v170 offset:4096
	ds_read_b128 v[6:9], v170 offset:4112
	v_fma_f32 v36, v214, v212, v36
	v_cvt_f32_i32_e32 v213, v213
	s_waitcnt lgkmcnt(1)
	v_dot4_i32_i8 v212, v173, v2, 0
	v_dot4_i32_i8 v212, v174, v3, v212
	;; [unrolled: 1-line block ×4, first 2 shown]
	s_waitcnt lgkmcnt(0)
	v_dot4_i32_i8 v212, v178, v6, 0
	v_dot4_i32_i8 v212, v179, v7, v212
	;; [unrolled: 1-line block ×3, first 2 shown]
	v_fmac_f32_e32 v35, v211, v213
	v_dot4_i32_i8 v211, v47, v2, 0
	v_dot4_i32_i8 v218, v183, v9, v212
	;; [unrolled: 1-line block ×25, first 2 shown]
	ds_read_b128 v[2:5], v170 offset:5120
	ds_read_b128 v[6:9], v170 offset:5136
	v_mul_lo_u32 v211, v211, v216
	s_waitcnt lgkmcnt(1)
	v_dot4_i32_i8 v212, v47, v2, 0
	v_dot4_i32_i8 v212, v48, v3, v212
	;; [unrolled: 1-line block ×4, first 2 shown]
	s_waitcnt lgkmcnt(0)
	v_dot4_i32_i8 v213, v201, v6, 0
	v_mul_lo_u32 v212, v212, v215
	v_dot4_i32_i8 v213, v202, v7, v213
	v_dot4_i32_i8 v213, v203, v8, v213
	;; [unrolled: 1-line block ×3, first 2 shown]
	v_mad_u64_u32 v[212:213], s[20:21], v213, v216, v[212:213]
	v_mad_u64_u32 v[213:214], s[20:21], v214, v215, v[211:212]
	v_mul_f32_e32 v211, v172, v45
	v_cvt_f32_i32_e32 v212, v212
	v_cvt_f32_i32_e32 v213, v213
	v_mul_f32_e32 v214, v172, v46
	v_fma_f32 v24, v214, v212, v24
	v_fmac_f32_e32 v23, v211, v213
	v_dot4_i32_i8 v211, v173, v2, 0
	v_dot4_i32_i8 v211, v174, v3, v211
	;; [unrolled: 1-line block ×5, first 2 shown]
	v_mul_lo_u32 v212, v212, v205
	v_dot4_i32_i8 v211, v179, v7, v211
	v_dot4_i32_i8 v211, v182, v8, v211
	;; [unrolled: 1-line block ×3, first 2 shown]
	v_mul_lo_u32 v211, v218, v206
	v_mad_u64_u32 v[212:213], s[20:21], v213, v206, v[212:213]
	v_mad_u64_u32 v[213:214], s[20:21], v217, v205, v[211:212]
	v_mul_f32_e32 v211, v177, v45
	v_cvt_f32_i32_e32 v212, v212
	v_cvt_f32_i32_e32 v213, v213
	v_mul_f32_e32 v214, v177, v46
	v_fma_f32 v26, v214, v212, v26
	v_fmac_f32_e32 v25, v211, v213
	v_dot4_i32_i8 v211, v180, v2, 0
	v_dot4_i32_i8 v2, v189, v2, 0
	;; [unrolled: 1-line block ×7, first 2 shown]
	v_mul_lo_u32 v3, v3, v209
	v_dot4_i32_i8 v2, v197, v7, v2
	v_dot4_i32_i8 v211, v184, v4, v211
	;; [unrolled: 1-line block ×6, first 2 shown]
	v_mul_lo_u32 v212, v212, v207
	v_mul_lo_u32 v2, v222, v210
	v_mad_u64_u32 v[3:4], s[20:21], v4, v210, v[3:4]
	v_dot4_i32_i8 v211, v188, v7, v211
	v_dot4_i32_i8 v211, v191, v8, v211
	;; [unrolled: 1-line block ×3, first 2 shown]
	v_mul_lo_u32 v211, v220, v208
	v_mad_u64_u32 v[212:213], s[20:21], v213, v208, v[212:213]
	v_mad_u64_u32 v[4:5], s[20:21], v221, v209, v[2:3]
	;; [unrolled: 1-line block ×3, first 2 shown]
	v_cvt_f32_i32_e32 v4, v4
	v_cvt_f32_i32_e32 v3, v3
	v_mul_f32_e32 v2, v195, v45
	v_mul_f32_e32 v5, v195, v46
	;; [unrolled: 1-line block ×4, first 2 shown]
	v_cvt_f32_i32_e32 v213, v213
	v_fma_f32 v30, v5, v3, v30
	v_fmac_f32_e32 v29, v2, v4
	ds_read2_b32 v[45:46], v171 offset0:192 offset1:224
	ds_read_b128 v[2:5], v170 offset:6144
	ds_read_b128 v[6:9], v170 offset:6160
	v_fmac_f32_e32 v27, v211, v213
	v_cvt_f32_i32_e32 v212, v212
	v_add_u32_e32 v171, 4, v171
	s_waitcnt lgkmcnt(1)
	v_dot4_i32_i8 v211, v47, v2, 0
	v_dot4_i32_i8 v211, v48, v3, v211
	v_dot4_i32_i8 v211, v49, v4, v211
	v_dot4_i32_i8 v219, v200, v5, v211
	s_waitcnt lgkmcnt(0)
	v_dot4_i32_i8 v211, v201, v6, 0
	v_dot4_i32_i8 v211, v202, v7, v211
	;; [unrolled: 1-line block ×22, first 2 shown]
	v_fma_f32 v28, v214, v212, v28
	v_dot4_i32_i8 v214, v192, v9, v211
	v_dot4_i32_i8 v211, v194, v5, v2
	;; [unrolled: 1-line block ×6, first 2 shown]
	ds_read_b128 v[6:9], v170 offset:7168
	ds_read_b128 v[2:5], v170 offset:7184
	v_add_u32_e32 v170, 32, v170
	s_waitcnt lgkmcnt(1)
	v_dot4_i32_i8 v47, v47, v6, 0
	v_dot4_i32_i8 v47, v48, v7, v47
	;; [unrolled: 1-line block ×4, first 2 shown]
	s_waitcnt lgkmcnt(0)
	v_dot4_i32_i8 v48, v201, v2, 0
	v_mul_lo_u32 v47, v47, v215
	v_dot4_i32_i8 v48, v202, v3, v48
	v_dot4_i32_i8 v48, v203, v4, v48
	;; [unrolled: 1-line block ×3, first 2 shown]
	v_mul_lo_u32 v49, v220, v216
	v_mad_u64_u32 v[47:48], s[20:21], v48, v216, v[47:48]
	v_mad_u64_u32 v[48:49], s[20:21], v219, v215, v[49:50]
	v_cvt_f32_i32_e32 v47, v47
	v_mul_f32_e32 v49, v172, v45
	v_mul_f32_e32 v172, v172, v46
	v_cvt_f32_i32_e32 v48, v48
	v_fma_f32 v16, v172, v47, v16
	v_dot4_i32_i8 v47, v173, v6, 0
	v_dot4_i32_i8 v47, v174, v7, v47
	;; [unrolled: 1-line block ×3, first 2 shown]
	v_fmac_f32_e32 v15, v49, v48
	v_dot4_i32_i8 v48, v176, v9, v47
	v_dot4_i32_i8 v47, v178, v2, 0
	v_mul_lo_u32 v48, v48, v205
	v_dot4_i32_i8 v47, v179, v3, v47
	v_dot4_i32_i8 v47, v182, v4, v47
	;; [unrolled: 1-line block ×3, first 2 shown]
	v_mul_lo_u32 v47, v218, v206
	v_mad_u64_u32 v[48:49], s[20:21], v49, v206, v[48:49]
	v_mul_f32_e32 v49, v177, v46
	v_mad_u64_u32 v[172:173], s[20:21], v217, v205, v[47:48]
	v_mul_f32_e32 v47, v177, v45
	v_cvt_f32_i32_e32 v48, v48
	v_cvt_f32_i32_e32 v172, v172
	v_fma_f32 v18, v49, v48, v18
	v_fmac_f32_e32 v17, v47, v172
	v_dot4_i32_i8 v47, v180, v6, 0
	v_dot4_i32_i8 v6, v189, v6, 0
	;; [unrolled: 1-line block ×11, first 2 shown]
	v_mul_lo_u32 v48, v48, v207
	v_dot4_i32_i8 v2, v197, v3, v2
	v_mul_lo_u32 v3, v6, v209
	v_dot4_i32_i8 v47, v191, v4, v47
	v_dot4_i32_i8 v2, v198, v4, v2
	;; [unrolled: 1-line block ×4, first 2 shown]
	v_mul_lo_u32 v47, v214, v208
	v_mad_u64_u32 v[48:49], s[20:21], v49, v208, v[48:49]
	v_mul_lo_u32 v2, v212, v210
	v_mad_u64_u32 v[3:4], s[20:21], v4, v210, v[3:4]
	v_mad_u64_u32 v[172:173], s[20:21], v213, v207, v[47:48]
	;; [unrolled: 1-line block ×3, first 2 shown]
	v_cvt_f32_i32_e32 v172, v172
	v_cvt_f32_i32_e32 v48, v48
	;; [unrolled: 1-line block ×4, first 2 shown]
	v_mul_f32_e32 v47, v186, v45
	v_mul_f32_e32 v49, v186, v46
	;; [unrolled: 1-line block ×4, first 2 shown]
	v_fma_f32 v20, v49, v48, v20
	v_fmac_f32_e32 v19, v47, v172
	v_fma_f32 v22, v5, v3, v22
	v_fmac_f32_e32 v21, v2, v4
	s_mov_b32 s20, s19
	s_cbranch_scc1 .LBB149_9
; %bb.10:                               ;   in Loop: Header=BB149_6 Depth=1
	s_or_b32 s17, s7, 1
	s_cmp_ge_i32 s17, s4
	s_barrier
	s_cbranch_scc1 .LBB149_5
; %bb.11:                               ;   in Loop: Header=BB149_6 Depth=1
	v_add_u32_e32 v49, s16, v127
	v_add_u32_e32 v172, 8, v169
	;; [unrolled: 1-line block ×3, first 2 shown]
	v_mad_u64_u32 v[172:173], s[18:19], v172, 36, s[2:3]
	v_mad_i64_i32 v[2:3], s[18:19], v2, 36, v[13:14]
	v_add_u32_e32 v4, v49, v111
	v_mad_i64_i32 v[4:5], s[18:19], v4, 36, v[13:14]
	v_add_u32_e32 v6, v49, v112
	v_add_u32_e32 v8, v49, v113
	v_mad_i64_i32 v[6:7], s[18:19], v6, 36, v[13:14]
	v_mad_i64_i32 v[8:9], s[18:19], v8, 36, v[13:14]
	v_add_u32_e32 v45, v49, v114
	v_add_u32_e32 v47, v49, v115
	;; [unrolled: 1-line block ×4, first 2 shown]
	v_mad_i64_i32 v[45:46], s[18:19], v45, 36, v[13:14]
	v_mad_i64_i32 v[47:48], s[18:19], v47, 36, v[13:14]
	;; [unrolled: 1-line block ×4, first 2 shown]
	global_load_dword v49, v[172:173], off
	s_nop 0
	global_load_dword v2, v[2:3], off offset:4
	s_nop 0
	global_load_dword v3, v[4:5], off offset:4
	;; [unrolled: 2-line block ×3, first 2 shown]
	global_load_dword v5, v[8:9], off offset:4
	s_nop 0
	global_load_dword v6, v[45:46], off offset:4
	global_load_dword v7, v[47:48], off offset:4
	;; [unrolled: 1-line block ×4, first 2 shown]
	s_mov_b32 s17, 16
	s_mov_b32 s20, 14
	;; [unrolled: 1-line block ×3, first 2 shown]
	v_mov_b32_e32 v170, v138
	v_mov_b32_e32 v171, v137
	s_waitcnt vmcnt(8)
	v_cvt_f32_f16_e32 v45, v49
	s_waitcnt vmcnt(7)
	ds_write_b32 v151, v2
	s_waitcnt vmcnt(6)
	ds_write_b32 v152, v3
	;; [unrolled: 2-line block ×8, first 2 shown]
	ds_write_b32 v109, v45
	s_waitcnt lgkmcnt(0)
	s_barrier
.LBB149_12:                             ;   Parent Loop BB149_6 Depth=1
                                        ; =>  This Inner Loop Header: Depth=2
	s_add_i32 s19, s20, 2
	s_lshr_b32 s24, s19, 4
	s_and_b32 s22, s19, 0x3ffffff8
	v_lshl_add_u32 v214, s22, 2, v118
	s_lshl_b32 s22, s24, 5
	s_addk_i32 s22, 0x4200
	v_add3_u32 v176, s22, v166, v119
	ds_read2_b32 v[45:46], v171 offset1:32
	ds_read_b128 v[6:9], v170
	ds_read_b128 v[2:5], v170 offset:16
	ds_read2_b32 v[47:48], v214 offset1:1
	ds_read2_b32 v[172:173], v176 offset1:1
	s_add_i32 s21, s20, -14
	s_and_b32 s23, s17, -16
	s_add_i32 s20, s20, s23
	s_waitcnt lgkmcnt(1)
	v_ashrrev_i32_e32 v47, s21, v47
	s_waitcnt lgkmcnt(0)
	v_ashrrev_i32_e32 v172, s18, v172
	v_lshlrev_b32_e32 v172, 2, v172
	v_and_b32_e32 v49, 0x3030303, v47
	v_bfe_u32 v47, v47, 24, 2
	v_and_b32_e32 v172, 0x4040404, v172
	v_sub_u16_e32 v174, v49, v172
	v_sub_u16_sdwa v175, v49, v172 dst_sel:BYTE_1 dst_unused:UNUSED_PAD src0_sel:BYTE_1 src1_sel:BYTE_1
	v_sub_u16_sdwa v47, v47, v172 dst_sel:BYTE_1 dst_unused:UNUSED_PAD src0_sel:DWORD src1_sel:BYTE_3
	v_sub_u16_sdwa v49, v49, v172 dst_sel:DWORD dst_unused:UNUSED_PAD src0_sel:WORD_1 src1_sel:WORD_1
	v_ashrrev_i32_e32 v172, s18, v173
	v_ashrrev_i32_e32 v48, s21, v48
	v_lshlrev_b32_e32 v172, 2, v172
	v_or_b32_sdwa v174, v174, v175 dst_sel:DWORD dst_unused:UNUSED_PAD src0_sel:BYTE_0 src1_sel:DWORD
	v_or_b32_sdwa v47, v49, v47 dst_sel:WORD_1 dst_unused:UNUSED_PAD src0_sel:BYTE_0 src1_sel:DWORD
	v_and_b32_e32 v49, 0x3030303, v48
	v_bfe_u32 v48, v48, 24, 2
	v_and_b32_e32 v172, 0x4040404, v172
	v_or_b32_sdwa v47, v174, v47 dst_sel:DWORD dst_unused:UNUSED_PAD src0_sel:WORD_0 src1_sel:DWORD
	v_sub_u16_e32 v173, v49, v172
	v_sub_u16_sdwa v174, v49, v172 dst_sel:BYTE_1 dst_unused:UNUSED_PAD src0_sel:BYTE_1 src1_sel:BYTE_1
	v_sub_u16_sdwa v48, v48, v172 dst_sel:BYTE_1 dst_unused:UNUSED_PAD src0_sel:DWORD src1_sel:BYTE_3
	v_sub_u16_sdwa v49, v49, v172 dst_sel:DWORD dst_unused:UNUSED_PAD src0_sel:WORD_1 src1_sel:WORD_1
	v_or_b32_sdwa v173, v173, v174 dst_sel:DWORD dst_unused:UNUSED_PAD src0_sel:BYTE_0 src1_sel:DWORD
	v_or_b32_sdwa v48, v49, v48 dst_sel:WORD_1 dst_unused:UNUSED_PAD src0_sel:BYTE_0 src1_sel:DWORD
	v_or_b32_sdwa v48, v173, v48 dst_sel:DWORD dst_unused:UNUSED_PAD src0_sel:WORD_0 src1_sel:DWORD
	ds_read2_b32 v[172:173], v214 offset0:2 offset1:3
	ds_read2_b32 v[174:175], v176 offset0:2 offset1:3
	s_lshl_b32 s23, s24, 2
	s_add_i32 s23, s23, 0x9380
	v_add3_u32 v182, s22, v160, v120
	s_waitcnt lgkmcnt(1)
	v_ashrrev_i32_e32 v49, s21, v172
	s_waitcnt lgkmcnt(0)
	v_ashrrev_i32_e32 v174, s18, v174
	v_lshlrev_b32_e32 v174, 2, v174
	v_and_b32_e32 v172, 0x3030303, v49
	v_bfe_u32 v49, v49, 24, 2
	v_and_b32_e32 v174, 0x4040404, v174
	v_sub_u16_e32 v177, v172, v174
	v_sub_u16_sdwa v178, v172, v174 dst_sel:BYTE_1 dst_unused:UNUSED_PAD src0_sel:BYTE_1 src1_sel:BYTE_1
	v_sub_u16_sdwa v49, v49, v174 dst_sel:BYTE_1 dst_unused:UNUSED_PAD src0_sel:DWORD src1_sel:BYTE_3
	v_sub_u16_sdwa v172, v172, v174 dst_sel:DWORD dst_unused:UNUSED_PAD src0_sel:WORD_1 src1_sel:WORD_1
	v_ashrrev_i32_e32 v174, s18, v175
	v_or_b32_sdwa v49, v172, v49 dst_sel:WORD_1 dst_unused:UNUSED_PAD src0_sel:BYTE_0 src1_sel:DWORD
	v_ashrrev_i32_e32 v172, s21, v173
	v_lshlrev_b32_e32 v174, 2, v174
	v_or_b32_sdwa v177, v177, v178 dst_sel:DWORD dst_unused:UNUSED_PAD src0_sel:BYTE_0 src1_sel:DWORD
	v_and_b32_e32 v173, 0x3030303, v172
	v_bfe_u32 v172, v172, 24, 2
	v_and_b32_e32 v174, 0x4040404, v174
	v_or_b32_sdwa v49, v177, v49 dst_sel:DWORD dst_unused:UNUSED_PAD src0_sel:WORD_0 src1_sel:DWORD
	v_sub_u16_e32 v175, v173, v174
	v_sub_u16_sdwa v177, v173, v174 dst_sel:BYTE_1 dst_unused:UNUSED_PAD src0_sel:BYTE_1 src1_sel:BYTE_1
	v_sub_u16_sdwa v172, v172, v174 dst_sel:BYTE_1 dst_unused:UNUSED_PAD src0_sel:DWORD src1_sel:BYTE_3
	v_sub_u16_sdwa v173, v173, v174 dst_sel:DWORD dst_unused:UNUSED_PAD src0_sel:WORD_1 src1_sel:WORD_1
	v_or_b32_sdwa v175, v175, v177 dst_sel:DWORD dst_unused:UNUSED_PAD src0_sel:BYTE_0 src1_sel:DWORD
	v_or_b32_sdwa v172, v173, v172 dst_sel:WORD_1 dst_unused:UNUSED_PAD src0_sel:BYTE_0 src1_sel:DWORD
	v_or_b32_sdwa v200, v175, v172 dst_sel:DWORD dst_unused:UNUSED_PAD src0_sel:WORD_0 src1_sel:DWORD
	ds_read2_b32 v[172:173], v214 offset0:4 offset1:5
	ds_read2_b32 v[174:175], v176 offset0:4 offset1:5
	v_add3_u32 v191, s22, v162, v122
	v_add3_u32 v215, s22, v164, v124
	v_add_u32_e32 v206, s20, v129
	s_waitcnt lgkmcnt(1)
	v_ashrrev_i32_e32 v172, s21, v172
	s_waitcnt lgkmcnt(0)
	v_ashrrev_i32_e32 v174, s18, v174
	v_lshlrev_b32_e32 v174, 2, v174
	v_and_b32_e32 v177, 0x3030303, v172
	v_bfe_u32 v172, v172, 24, 2
	v_and_b32_e32 v174, 0x4040404, v174
	v_sub_u16_e32 v178, v177, v174
	v_sub_u16_sdwa v179, v177, v174 dst_sel:BYTE_1 dst_unused:UNUSED_PAD src0_sel:BYTE_1 src1_sel:BYTE_1
	v_sub_u16_sdwa v172, v172, v174 dst_sel:BYTE_1 dst_unused:UNUSED_PAD src0_sel:DWORD src1_sel:BYTE_3
	v_sub_u16_sdwa v174, v177, v174 dst_sel:DWORD dst_unused:UNUSED_PAD src0_sel:WORD_1 src1_sel:WORD_1
	v_or_b32_sdwa v178, v178, v179 dst_sel:DWORD dst_unused:UNUSED_PAD src0_sel:BYTE_0 src1_sel:DWORD
	v_or_b32_sdwa v172, v174, v172 dst_sel:WORD_1 dst_unused:UNUSED_PAD src0_sel:BYTE_0 src1_sel:DWORD
	v_ashrrev_i32_e32 v174, s18, v175
	v_or_b32_sdwa v201, v178, v172 dst_sel:DWORD dst_unused:UNUSED_PAD src0_sel:WORD_0 src1_sel:DWORD
	v_ashrrev_i32_e32 v172, s21, v173
	v_lshlrev_b32_e32 v174, 2, v174
	v_and_b32_e32 v173, 0x3030303, v172
	v_bfe_u32 v172, v172, 24, 2
	v_and_b32_e32 v174, 0x4040404, v174
	v_sub_u16_e32 v175, v173, v174
	v_sub_u16_sdwa v177, v173, v174 dst_sel:BYTE_1 dst_unused:UNUSED_PAD src0_sel:BYTE_1 src1_sel:BYTE_1
	v_sub_u16_sdwa v172, v172, v174 dst_sel:BYTE_1 dst_unused:UNUSED_PAD src0_sel:DWORD src1_sel:BYTE_3
	v_sub_u16_sdwa v173, v173, v174 dst_sel:DWORD dst_unused:UNUSED_PAD src0_sel:WORD_1 src1_sel:WORD_1
	v_or_b32_sdwa v175, v175, v177 dst_sel:DWORD dst_unused:UNUSED_PAD src0_sel:BYTE_0 src1_sel:DWORD
	v_or_b32_sdwa v172, v173, v172 dst_sel:WORD_1 dst_unused:UNUSED_PAD src0_sel:BYTE_0 src1_sel:DWORD
	v_or_b32_sdwa v202, v175, v172 dst_sel:DWORD dst_unused:UNUSED_PAD src0_sel:WORD_0 src1_sel:DWORD
	ds_read2_b32 v[172:173], v214 offset0:6 offset1:7
	ds_read2_b32 v[174:175], v176 offset0:6 offset1:7
	v_add_u32_e32 v209, s20, v131
	v_add_u32_e32 v212, s20, v133
	s_add_i32 s17, s17, 2
	s_waitcnt lgkmcnt(1)
	v_ashrrev_i32_e32 v172, s21, v172
	s_waitcnt lgkmcnt(0)
	v_ashrrev_i32_e32 v174, s18, v174
	v_lshlrev_b32_e32 v174, 2, v174
	v_and_b32_e32 v177, 0x3030303, v172
	v_bfe_u32 v172, v172, 24, 2
	v_and_b32_e32 v174, 0x4040404, v174
	v_sub_u16_e32 v176, v177, v174
	v_sub_u16_sdwa v178, v177, v174 dst_sel:BYTE_1 dst_unused:UNUSED_PAD src0_sel:BYTE_1 src1_sel:BYTE_1
	v_sub_u16_sdwa v172, v172, v174 dst_sel:BYTE_1 dst_unused:UNUSED_PAD src0_sel:DWORD src1_sel:BYTE_3
	v_sub_u16_sdwa v174, v177, v174 dst_sel:DWORD dst_unused:UNUSED_PAD src0_sel:WORD_1 src1_sel:WORD_1
	v_or_b32_sdwa v176, v176, v178 dst_sel:DWORD dst_unused:UNUSED_PAD src0_sel:BYTE_0 src1_sel:DWORD
	v_or_b32_sdwa v172, v174, v172 dst_sel:WORD_1 dst_unused:UNUSED_PAD src0_sel:BYTE_0 src1_sel:DWORD
	v_ashrrev_i32_e32 v174, s18, v175
	v_or_b32_sdwa v203, v176, v172 dst_sel:DWORD dst_unused:UNUSED_PAD src0_sel:WORD_0 src1_sel:DWORD
	v_ashrrev_i32_e32 v172, s21, v173
	v_lshlrev_b32_e32 v174, 2, v174
	v_and_b32_e32 v173, 0x3030303, v172
	v_bfe_u32 v172, v172, 24, 2
	v_and_b32_e32 v174, 0x4040404, v174
	v_sub_u16_e32 v175, v173, v174
	v_sub_u16_sdwa v176, v173, v174 dst_sel:BYTE_1 dst_unused:UNUSED_PAD src0_sel:BYTE_1 src1_sel:BYTE_1
	v_sub_u16_sdwa v172, v172, v174 dst_sel:BYTE_1 dst_unused:UNUSED_PAD src0_sel:DWORD src1_sel:BYTE_3
	v_sub_u16_sdwa v173, v173, v174 dst_sel:DWORD dst_unused:UNUSED_PAD src0_sel:WORD_1 src1_sel:WORD_1
	v_or_b32_sdwa v172, v173, v172 dst_sel:WORD_1 dst_unused:UNUSED_PAD src0_sel:BYTE_0 src1_sel:DWORD
	v_dot4_i32_i8 v173, v47, v6, 0
	v_dot4_i32_i8 v173, v48, v7, v173
	;; [unrolled: 1-line block ×5, first 2 shown]
	v_or_b32_sdwa v175, v175, v176 dst_sel:DWORD dst_unused:UNUSED_PAD src0_sel:BYTE_0 src1_sel:DWORD
	v_dot4_i32_i8 v173, v202, v3, v173
	v_or_b32_sdwa v204, v175, v172 dst_sel:DWORD dst_unused:UNUSED_PAD src0_sel:WORD_0 src1_sel:DWORD
	v_dot4_i32_i8 v173, v203, v4, v173
	v_add3_u32 v172, s23, v167, v168
	v_dot4_i32_i8 v207, v204, v5, v173
	v_add_u32_e32 v173, 0x1080, v214
	ds_read_b32 v172, v172
	ds_read2_b32 v[173:174], v173 offset1:1
	ds_read2_b32 v[175:176], v182 offset1:1
	s_waitcnt lgkmcnt(1)
	v_ashrrev_i32_e32 v173, s21, v173
	s_waitcnt lgkmcnt(0)
	v_ashrrev_i32_e32 v175, s18, v175
	v_lshlrev_b32_e32 v175, 2, v175
	v_and_b32_e32 v177, 0x3030303, v173
	v_bfe_u32 v173, v173, 24, 2
	v_and_b32_e32 v175, 0x4040404, v175
	v_ashrrev_i32_e32 v176, s18, v176
	v_sub_u16_e32 v178, v177, v175
	v_sub_u16_sdwa v179, v177, v175 dst_sel:BYTE_1 dst_unused:UNUSED_PAD src0_sel:BYTE_1 src1_sel:BYTE_1
	v_sub_u16_sdwa v173, v173, v175 dst_sel:BYTE_1 dst_unused:UNUSED_PAD src0_sel:DWORD src1_sel:BYTE_3
	v_sub_u16_sdwa v175, v177, v175 dst_sel:DWORD dst_unused:UNUSED_PAD src0_sel:WORD_1 src1_sel:WORD_1
	v_ashrrev_i32_e32 v174, s21, v174
	v_lshlrev_b32_e32 v176, 2, v176
	v_or_b32_sdwa v178, v178, v179 dst_sel:DWORD dst_unused:UNUSED_PAD src0_sel:BYTE_0 src1_sel:DWORD
	v_or_b32_sdwa v173, v175, v173 dst_sel:WORD_1 dst_unused:UNUSED_PAD src0_sel:BYTE_0 src1_sel:DWORD
	v_and_b32_e32 v175, 0x3030303, v174
	v_bfe_u32 v174, v174, 24, 2
	v_and_b32_e32 v176, 0x4040404, v176
	v_or_b32_sdwa v173, v178, v173 dst_sel:DWORD dst_unused:UNUSED_PAD src0_sel:WORD_0 src1_sel:DWORD
	v_sub_u16_e32 v177, v175, v176
	v_sub_u16_sdwa v178, v175, v176 dst_sel:BYTE_1 dst_unused:UNUSED_PAD src0_sel:BYTE_1 src1_sel:BYTE_1
	v_sub_u16_sdwa v174, v174, v176 dst_sel:BYTE_1 dst_unused:UNUSED_PAD src0_sel:DWORD src1_sel:BYTE_3
	v_sub_u16_sdwa v175, v175, v176 dst_sel:DWORD dst_unused:UNUSED_PAD src0_sel:WORD_1 src1_sel:WORD_1
	v_or_b32_sdwa v177, v177, v178 dst_sel:DWORD dst_unused:UNUSED_PAD src0_sel:BYTE_0 src1_sel:DWORD
	v_or_b32_sdwa v174, v175, v174 dst_sel:WORD_1 dst_unused:UNUSED_PAD src0_sel:BYTE_0 src1_sel:DWORD
	v_add_u32_e32 v175, 0x1088, v214
	v_or_b32_sdwa v174, v177, v174 dst_sel:DWORD dst_unused:UNUSED_PAD src0_sel:WORD_0 src1_sel:DWORD
	ds_read2_b32 v[175:176], v175 offset1:1
	ds_read2_b32 v[177:178], v182 offset0:2 offset1:3
	s_waitcnt lgkmcnt(1)
	v_ashrrev_i32_e32 v175, s21, v175
	s_waitcnt lgkmcnt(0)
	v_ashrrev_i32_e32 v177, s18, v177
	v_lshlrev_b32_e32 v177, 2, v177
	v_and_b32_e32 v179, 0x3030303, v175
	v_bfe_u32 v175, v175, 24, 2
	v_and_b32_e32 v177, 0x4040404, v177
	v_ashrrev_i32_e32 v178, s18, v178
	v_sub_u16_e32 v180, v179, v177
	v_sub_u16_sdwa v181, v179, v177 dst_sel:BYTE_1 dst_unused:UNUSED_PAD src0_sel:BYTE_1 src1_sel:BYTE_1
	v_sub_u16_sdwa v175, v175, v177 dst_sel:BYTE_1 dst_unused:UNUSED_PAD src0_sel:DWORD src1_sel:BYTE_3
	v_sub_u16_sdwa v177, v179, v177 dst_sel:DWORD dst_unused:UNUSED_PAD src0_sel:WORD_1 src1_sel:WORD_1
	v_ashrrev_i32_e32 v176, s21, v176
	v_lshlrev_b32_e32 v178, 2, v178
	v_or_b32_sdwa v180, v180, v181 dst_sel:DWORD dst_unused:UNUSED_PAD src0_sel:BYTE_0 src1_sel:DWORD
	v_or_b32_sdwa v175, v177, v175 dst_sel:WORD_1 dst_unused:UNUSED_PAD src0_sel:BYTE_0 src1_sel:DWORD
	v_and_b32_e32 v177, 0x3030303, v176
	v_bfe_u32 v176, v176, 24, 2
	v_and_b32_e32 v178, 0x4040404, v178
	v_or_b32_sdwa v175, v180, v175 dst_sel:DWORD dst_unused:UNUSED_PAD src0_sel:WORD_0 src1_sel:DWORD
	v_sub_u16_e32 v179, v177, v178
	v_sub_u16_sdwa v180, v177, v178 dst_sel:BYTE_1 dst_unused:UNUSED_PAD src0_sel:BYTE_1 src1_sel:BYTE_1
	v_sub_u16_sdwa v176, v176, v178 dst_sel:BYTE_1 dst_unused:UNUSED_PAD src0_sel:DWORD src1_sel:BYTE_3
	v_sub_u16_sdwa v177, v177, v178 dst_sel:DWORD dst_unused:UNUSED_PAD src0_sel:WORD_1 src1_sel:WORD_1
	v_or_b32_sdwa v179, v179, v180 dst_sel:DWORD dst_unused:UNUSED_PAD src0_sel:BYTE_0 src1_sel:DWORD
	v_or_b32_sdwa v176, v177, v176 dst_sel:WORD_1 dst_unused:UNUSED_PAD src0_sel:BYTE_0 src1_sel:DWORD
	v_add_u32_e32 v177, 0x1090, v214
	v_or_b32_sdwa v176, v179, v176 dst_sel:DWORD dst_unused:UNUSED_PAD src0_sel:WORD_0 src1_sel:DWORD
	ds_read2_b32 v[178:179], v177 offset1:1
	ds_read2_b32 v[180:181], v182 offset0:4 offset1:5
	s_waitcnt lgkmcnt(1)
	v_ashrrev_i32_e32 v177, s21, v178
	s_waitcnt lgkmcnt(0)
	v_ashrrev_i32_e32 v180, s18, v180
	v_lshlrev_b32_e32 v180, 2, v180
	v_and_b32_e32 v178, 0x3030303, v177
	v_bfe_u32 v177, v177, 24, 2
	v_and_b32_e32 v180, 0x4040404, v180
	v_sub_u16_e32 v183, v178, v180
	v_sub_u16_sdwa v184, v178, v180 dst_sel:BYTE_1 dst_unused:UNUSED_PAD src0_sel:BYTE_1 src1_sel:BYTE_1
	v_sub_u16_sdwa v177, v177, v180 dst_sel:BYTE_1 dst_unused:UNUSED_PAD src0_sel:DWORD src1_sel:BYTE_3
	v_sub_u16_sdwa v178, v178, v180 dst_sel:DWORD dst_unused:UNUSED_PAD src0_sel:WORD_1 src1_sel:WORD_1
	v_or_b32_sdwa v183, v183, v184 dst_sel:DWORD dst_unused:UNUSED_PAD src0_sel:BYTE_0 src1_sel:DWORD
	v_or_b32_sdwa v177, v178, v177 dst_sel:WORD_1 dst_unused:UNUSED_PAD src0_sel:BYTE_0 src1_sel:DWORD
	v_ashrrev_i32_e32 v180, s18, v181
	v_or_b32_sdwa v178, v183, v177 dst_sel:DWORD dst_unused:UNUSED_PAD src0_sel:WORD_0 src1_sel:DWORD
	v_ashrrev_i32_e32 v177, s21, v179
	v_lshlrev_b32_e32 v180, 2, v180
	v_and_b32_e32 v179, 0x3030303, v177
	v_bfe_u32 v177, v177, 24, 2
	v_and_b32_e32 v180, 0x4040404, v180
	v_sub_u16_e32 v181, v179, v180
	v_sub_u16_sdwa v183, v179, v180 dst_sel:BYTE_1 dst_unused:UNUSED_PAD src0_sel:BYTE_1 src1_sel:BYTE_1
	v_sub_u16_sdwa v177, v177, v180 dst_sel:BYTE_1 dst_unused:UNUSED_PAD src0_sel:DWORD src1_sel:BYTE_3
	v_sub_u16_sdwa v179, v179, v180 dst_sel:DWORD dst_unused:UNUSED_PAD src0_sel:WORD_1 src1_sel:WORD_1
	v_or_b32_sdwa v181, v181, v183 dst_sel:DWORD dst_unused:UNUSED_PAD src0_sel:BYTE_0 src1_sel:DWORD
	v_or_b32_sdwa v177, v179, v177 dst_sel:WORD_1 dst_unused:UNUSED_PAD src0_sel:BYTE_0 src1_sel:DWORD
	v_or_b32_sdwa v179, v181, v177 dst_sel:DWORD dst_unused:UNUSED_PAD src0_sel:WORD_0 src1_sel:DWORD
	v_add_u32_e32 v177, 0x1098, v214
	ds_read2_b32 v[180:181], v177 offset1:1
	ds_read2_b32 v[182:183], v182 offset0:6 offset1:7
	s_waitcnt lgkmcnt(1)
	v_ashrrev_i32_e32 v177, s21, v180
	s_waitcnt lgkmcnt(0)
	v_ashrrev_i32_e32 v182, s18, v182
	v_lshlrev_b32_e32 v182, 2, v182
	v_and_b32_e32 v180, 0x3030303, v177
	v_bfe_u32 v177, v177, 24, 2
	v_and_b32_e32 v182, 0x4040404, v182
	v_sub_u16_e32 v184, v180, v182
	v_sub_u16_sdwa v185, v180, v182 dst_sel:BYTE_1 dst_unused:UNUSED_PAD src0_sel:BYTE_1 src1_sel:BYTE_1
	v_sub_u16_sdwa v177, v177, v182 dst_sel:BYTE_1 dst_unused:UNUSED_PAD src0_sel:DWORD src1_sel:BYTE_3
	v_sub_u16_sdwa v180, v180, v182 dst_sel:DWORD dst_unused:UNUSED_PAD src0_sel:WORD_1 src1_sel:WORD_1
	v_or_b32_sdwa v184, v184, v185 dst_sel:DWORD dst_unused:UNUSED_PAD src0_sel:BYTE_0 src1_sel:DWORD
	v_or_b32_sdwa v177, v180, v177 dst_sel:WORD_1 dst_unused:UNUSED_PAD src0_sel:BYTE_0 src1_sel:DWORD
	v_or_b32_sdwa v182, v184, v177 dst_sel:DWORD dst_unused:UNUSED_PAD src0_sel:WORD_0 src1_sel:DWORD
	v_ashrrev_i32_e32 v177, s21, v181
	v_ashrrev_i32_e32 v181, s18, v183
	v_lshlrev_b32_e32 v181, 2, v181
	v_and_b32_e32 v180, 0x3030303, v177
	v_bfe_u32 v177, v177, 24, 2
	v_and_b32_e32 v181, 0x4040404, v181
	v_sub_u16_e32 v183, v180, v181
	v_sub_u16_sdwa v184, v180, v181 dst_sel:BYTE_1 dst_unused:UNUSED_PAD src0_sel:BYTE_1 src1_sel:BYTE_1
	v_sub_u16_sdwa v177, v177, v181 dst_sel:BYTE_1 dst_unused:UNUSED_PAD src0_sel:DWORD src1_sel:BYTE_3
	v_sub_u16_sdwa v180, v180, v181 dst_sel:DWORD dst_unused:UNUSED_PAD src0_sel:WORD_1 src1_sel:WORD_1
	v_or_b32_sdwa v177, v180, v177 dst_sel:WORD_1 dst_unused:UNUSED_PAD src0_sel:BYTE_0 src1_sel:DWORD
	v_dot4_i32_i8 v180, v173, v6, 0
	v_dot4_i32_i8 v180, v174, v7, v180
	;; [unrolled: 1-line block ×5, first 2 shown]
	v_or_b32_sdwa v183, v183, v184 dst_sel:DWORD dst_unused:UNUSED_PAD src0_sel:BYTE_0 src1_sel:DWORD
	v_dot4_i32_i8 v180, v179, v3, v180
	v_or_b32_sdwa v183, v183, v177 dst_sel:DWORD dst_unused:UNUSED_PAD src0_sel:WORD_0 src1_sel:DWORD
	v_dot4_i32_i8 v180, v182, v4, v180
	v_add3_u32 v177, s23, v161, v121
	v_dot4_i32_i8 v211, v183, v5, v180
	v_add_u32_e32 v180, 0x2100, v214
	ds_read_b32 v177, v177
	ds_read2_b32 v[180:181], v180 offset1:1
	ds_read2_b32 v[184:185], v191 offset1:1
	s_waitcnt lgkmcnt(1)
	v_ashrrev_i32_e32 v180, s21, v180
	s_waitcnt lgkmcnt(0)
	v_ashrrev_i32_e32 v184, s18, v184
	v_lshlrev_b32_e32 v184, 2, v184
	v_and_b32_e32 v186, 0x3030303, v180
	v_bfe_u32 v180, v180, 24, 2
	v_and_b32_e32 v184, 0x4040404, v184
	v_ashrrev_i32_e32 v185, s18, v185
	v_sub_u16_e32 v187, v186, v184
	v_sub_u16_sdwa v188, v186, v184 dst_sel:BYTE_1 dst_unused:UNUSED_PAD src0_sel:BYTE_1 src1_sel:BYTE_1
	v_sub_u16_sdwa v180, v180, v184 dst_sel:BYTE_1 dst_unused:UNUSED_PAD src0_sel:DWORD src1_sel:BYTE_3
	v_sub_u16_sdwa v184, v186, v184 dst_sel:DWORD dst_unused:UNUSED_PAD src0_sel:WORD_1 src1_sel:WORD_1
	v_ashrrev_i32_e32 v181, s21, v181
	v_lshlrev_b32_e32 v185, 2, v185
	v_or_b32_sdwa v187, v187, v188 dst_sel:DWORD dst_unused:UNUSED_PAD src0_sel:BYTE_0 src1_sel:DWORD
	v_or_b32_sdwa v180, v184, v180 dst_sel:WORD_1 dst_unused:UNUSED_PAD src0_sel:BYTE_0 src1_sel:DWORD
	v_and_b32_e32 v184, 0x3030303, v181
	v_bfe_u32 v181, v181, 24, 2
	v_and_b32_e32 v185, 0x4040404, v185
	v_or_b32_sdwa v180, v187, v180 dst_sel:DWORD dst_unused:UNUSED_PAD src0_sel:WORD_0 src1_sel:DWORD
	v_sub_u16_e32 v186, v184, v185
	v_sub_u16_sdwa v187, v184, v185 dst_sel:BYTE_1 dst_unused:UNUSED_PAD src0_sel:BYTE_1 src1_sel:BYTE_1
	v_sub_u16_sdwa v181, v181, v185 dst_sel:BYTE_1 dst_unused:UNUSED_PAD src0_sel:DWORD src1_sel:BYTE_3
	v_sub_u16_sdwa v184, v184, v185 dst_sel:DWORD dst_unused:UNUSED_PAD src0_sel:WORD_1 src1_sel:WORD_1
	v_or_b32_sdwa v186, v186, v187 dst_sel:DWORD dst_unused:UNUSED_PAD src0_sel:BYTE_0 src1_sel:DWORD
	v_or_b32_sdwa v181, v184, v181 dst_sel:WORD_1 dst_unused:UNUSED_PAD src0_sel:BYTE_0 src1_sel:DWORD
	v_add_u32_e32 v184, 0x2108, v214
	v_or_b32_sdwa v181, v186, v181 dst_sel:DWORD dst_unused:UNUSED_PAD src0_sel:WORD_0 src1_sel:DWORD
	ds_read2_b32 v[184:185], v184 offset1:1
	ds_read2_b32 v[186:187], v191 offset0:2 offset1:3
	s_waitcnt lgkmcnt(1)
	v_ashrrev_i32_e32 v184, s21, v184
	s_waitcnt lgkmcnt(0)
	v_ashrrev_i32_e32 v186, s18, v186
	v_lshlrev_b32_e32 v186, 2, v186
	v_and_b32_e32 v188, 0x3030303, v184
	v_bfe_u32 v184, v184, 24, 2
	v_and_b32_e32 v186, 0x4040404, v186
	v_ashrrev_i32_e32 v187, s18, v187
	v_sub_u16_e32 v189, v188, v186
	v_sub_u16_sdwa v190, v188, v186 dst_sel:BYTE_1 dst_unused:UNUSED_PAD src0_sel:BYTE_1 src1_sel:BYTE_1
	v_sub_u16_sdwa v184, v184, v186 dst_sel:BYTE_1 dst_unused:UNUSED_PAD src0_sel:DWORD src1_sel:BYTE_3
	v_sub_u16_sdwa v186, v188, v186 dst_sel:DWORD dst_unused:UNUSED_PAD src0_sel:WORD_1 src1_sel:WORD_1
	v_ashrrev_i32_e32 v185, s21, v185
	v_lshlrev_b32_e32 v187, 2, v187
	v_or_b32_sdwa v189, v189, v190 dst_sel:DWORD dst_unused:UNUSED_PAD src0_sel:BYTE_0 src1_sel:DWORD
	v_or_b32_sdwa v184, v186, v184 dst_sel:WORD_1 dst_unused:UNUSED_PAD src0_sel:BYTE_0 src1_sel:DWORD
	v_and_b32_e32 v186, 0x3030303, v185
	v_bfe_u32 v185, v185, 24, 2
	v_and_b32_e32 v187, 0x4040404, v187
	v_or_b32_sdwa v184, v189, v184 dst_sel:DWORD dst_unused:UNUSED_PAD src0_sel:WORD_0 src1_sel:DWORD
	v_sub_u16_e32 v188, v186, v187
	v_sub_u16_sdwa v189, v186, v187 dst_sel:BYTE_1 dst_unused:UNUSED_PAD src0_sel:BYTE_1 src1_sel:BYTE_1
	v_sub_u16_sdwa v185, v185, v187 dst_sel:BYTE_1 dst_unused:UNUSED_PAD src0_sel:DWORD src1_sel:BYTE_3
	v_sub_u16_sdwa v186, v186, v187 dst_sel:DWORD dst_unused:UNUSED_PAD src0_sel:WORD_1 src1_sel:WORD_1
	v_or_b32_sdwa v188, v188, v189 dst_sel:DWORD dst_unused:UNUSED_PAD src0_sel:BYTE_0 src1_sel:DWORD
	v_or_b32_sdwa v185, v186, v185 dst_sel:WORD_1 dst_unused:UNUSED_PAD src0_sel:BYTE_0 src1_sel:DWORD
	v_add_u32_e32 v186, 0x2110, v214
	v_or_b32_sdwa v185, v188, v185 dst_sel:DWORD dst_unused:UNUSED_PAD src0_sel:WORD_0 src1_sel:DWORD
	ds_read2_b32 v[187:188], v186 offset1:1
	ds_read2_b32 v[189:190], v191 offset0:4 offset1:5
	s_waitcnt lgkmcnt(1)
	v_ashrrev_i32_e32 v186, s21, v187
	s_waitcnt lgkmcnt(0)
	v_ashrrev_i32_e32 v189, s18, v189
	v_lshlrev_b32_e32 v189, 2, v189
	v_and_b32_e32 v187, 0x3030303, v186
	v_bfe_u32 v186, v186, 24, 2
	v_and_b32_e32 v189, 0x4040404, v189
	v_sub_u16_e32 v192, v187, v189
	v_sub_u16_sdwa v193, v187, v189 dst_sel:BYTE_1 dst_unused:UNUSED_PAD src0_sel:BYTE_1 src1_sel:BYTE_1
	v_sub_u16_sdwa v186, v186, v189 dst_sel:BYTE_1 dst_unused:UNUSED_PAD src0_sel:DWORD src1_sel:BYTE_3
	v_sub_u16_sdwa v187, v187, v189 dst_sel:DWORD dst_unused:UNUSED_PAD src0_sel:WORD_1 src1_sel:WORD_1
	v_or_b32_sdwa v192, v192, v193 dst_sel:DWORD dst_unused:UNUSED_PAD src0_sel:BYTE_0 src1_sel:DWORD
	v_or_b32_sdwa v186, v187, v186 dst_sel:WORD_1 dst_unused:UNUSED_PAD src0_sel:BYTE_0 src1_sel:DWORD
	v_ashrrev_i32_e32 v189, s18, v190
	v_or_b32_sdwa v187, v192, v186 dst_sel:DWORD dst_unused:UNUSED_PAD src0_sel:WORD_0 src1_sel:DWORD
	v_ashrrev_i32_e32 v186, s21, v188
	v_lshlrev_b32_e32 v189, 2, v189
	v_and_b32_e32 v188, 0x3030303, v186
	v_bfe_u32 v186, v186, 24, 2
	v_and_b32_e32 v189, 0x4040404, v189
	v_sub_u16_e32 v190, v188, v189
	v_sub_u16_sdwa v192, v188, v189 dst_sel:BYTE_1 dst_unused:UNUSED_PAD src0_sel:BYTE_1 src1_sel:BYTE_1
	v_sub_u16_sdwa v186, v186, v189 dst_sel:BYTE_1 dst_unused:UNUSED_PAD src0_sel:DWORD src1_sel:BYTE_3
	v_sub_u16_sdwa v188, v188, v189 dst_sel:DWORD dst_unused:UNUSED_PAD src0_sel:WORD_1 src1_sel:WORD_1
	v_or_b32_sdwa v190, v190, v192 dst_sel:DWORD dst_unused:UNUSED_PAD src0_sel:BYTE_0 src1_sel:DWORD
	v_or_b32_sdwa v186, v188, v186 dst_sel:WORD_1 dst_unused:UNUSED_PAD src0_sel:BYTE_0 src1_sel:DWORD
	v_or_b32_sdwa v188, v190, v186 dst_sel:DWORD dst_unused:UNUSED_PAD src0_sel:WORD_0 src1_sel:DWORD
	v_add_u32_e32 v186, 0x2118, v214
	ds_read2_b32 v[189:190], v186 offset1:1
	ds_read2_b32 v[191:192], v191 offset0:6 offset1:7
	s_waitcnt lgkmcnt(1)
	v_ashrrev_i32_e32 v186, s21, v189
	s_waitcnt lgkmcnt(0)
	v_ashrrev_i32_e32 v191, s18, v191
	v_lshlrev_b32_e32 v191, 2, v191
	v_and_b32_e32 v189, 0x3030303, v186
	v_bfe_u32 v186, v186, 24, 2
	v_and_b32_e32 v191, 0x4040404, v191
	v_sub_u16_e32 v193, v189, v191
	v_sub_u16_sdwa v194, v189, v191 dst_sel:BYTE_1 dst_unused:UNUSED_PAD src0_sel:BYTE_1 src1_sel:BYTE_1
	v_sub_u16_sdwa v186, v186, v191 dst_sel:BYTE_1 dst_unused:UNUSED_PAD src0_sel:DWORD src1_sel:BYTE_3
	v_sub_u16_sdwa v189, v189, v191 dst_sel:DWORD dst_unused:UNUSED_PAD src0_sel:WORD_1 src1_sel:WORD_1
	v_or_b32_sdwa v193, v193, v194 dst_sel:DWORD dst_unused:UNUSED_PAD src0_sel:BYTE_0 src1_sel:DWORD
	v_or_b32_sdwa v186, v189, v186 dst_sel:WORD_1 dst_unused:UNUSED_PAD src0_sel:BYTE_0 src1_sel:DWORD
	v_or_b32_sdwa v191, v193, v186 dst_sel:DWORD dst_unused:UNUSED_PAD src0_sel:WORD_0 src1_sel:DWORD
	v_ashrrev_i32_e32 v186, s21, v190
	v_ashrrev_i32_e32 v190, s18, v192
	v_lshlrev_b32_e32 v190, 2, v190
	v_and_b32_e32 v189, 0x3030303, v186
	v_bfe_u32 v186, v186, 24, 2
	v_and_b32_e32 v190, 0x4040404, v190
	v_sub_u16_e32 v192, v189, v190
	v_sub_u16_sdwa v193, v189, v190 dst_sel:BYTE_1 dst_unused:UNUSED_PAD src0_sel:BYTE_1 src1_sel:BYTE_1
	v_sub_u16_sdwa v186, v186, v190 dst_sel:BYTE_1 dst_unused:UNUSED_PAD src0_sel:DWORD src1_sel:BYTE_3
	v_sub_u16_sdwa v189, v189, v190 dst_sel:DWORD dst_unused:UNUSED_PAD src0_sel:WORD_1 src1_sel:WORD_1
	v_or_b32_sdwa v186, v189, v186 dst_sel:WORD_1 dst_unused:UNUSED_PAD src0_sel:BYTE_0 src1_sel:DWORD
	v_dot4_i32_i8 v189, v180, v6, 0
	v_dot4_i32_i8 v189, v181, v7, v189
	;; [unrolled: 1-line block ×5, first 2 shown]
	v_or_b32_sdwa v192, v192, v193 dst_sel:DWORD dst_unused:UNUSED_PAD src0_sel:BYTE_0 src1_sel:DWORD
	v_dot4_i32_i8 v189, v188, v3, v189
	v_or_b32_sdwa v192, v192, v186 dst_sel:DWORD dst_unused:UNUSED_PAD src0_sel:WORD_0 src1_sel:DWORD
	v_dot4_i32_i8 v189, v191, v4, v189
	v_add3_u32 v186, s23, v163, v123
	v_dot4_i32_i8 v213, v192, v5, v189
	v_add_u32_e32 v189, 0x3180, v214
	ds_read_b32 v186, v186
	ds_read2_b32 v[189:190], v189 offset1:1
	ds_read2_b32 v[193:194], v215 offset1:1
	s_waitcnt lgkmcnt(1)
	v_ashrrev_i32_e32 v189, s21, v189
	s_waitcnt lgkmcnt(0)
	v_ashrrev_i32_e32 v193, s18, v193
	v_lshlrev_b32_e32 v193, 2, v193
	v_and_b32_e32 v195, 0x3030303, v189
	v_bfe_u32 v189, v189, 24, 2
	v_and_b32_e32 v193, 0x4040404, v193
	v_ashrrev_i32_e32 v194, s18, v194
	v_sub_u16_e32 v196, v195, v193
	v_sub_u16_sdwa v197, v195, v193 dst_sel:BYTE_1 dst_unused:UNUSED_PAD src0_sel:BYTE_1 src1_sel:BYTE_1
	v_sub_u16_sdwa v189, v189, v193 dst_sel:BYTE_1 dst_unused:UNUSED_PAD src0_sel:DWORD src1_sel:BYTE_3
	v_sub_u16_sdwa v193, v195, v193 dst_sel:DWORD dst_unused:UNUSED_PAD src0_sel:WORD_1 src1_sel:WORD_1
	v_ashrrev_i32_e32 v190, s21, v190
	v_lshlrev_b32_e32 v194, 2, v194
	v_or_b32_sdwa v196, v196, v197 dst_sel:DWORD dst_unused:UNUSED_PAD src0_sel:BYTE_0 src1_sel:DWORD
	v_or_b32_sdwa v189, v193, v189 dst_sel:WORD_1 dst_unused:UNUSED_PAD src0_sel:BYTE_0 src1_sel:DWORD
	v_and_b32_e32 v193, 0x3030303, v190
	v_bfe_u32 v190, v190, 24, 2
	v_and_b32_e32 v194, 0x4040404, v194
	v_or_b32_sdwa v189, v196, v189 dst_sel:DWORD dst_unused:UNUSED_PAD src0_sel:WORD_0 src1_sel:DWORD
	v_sub_u16_e32 v195, v193, v194
	v_sub_u16_sdwa v196, v193, v194 dst_sel:BYTE_1 dst_unused:UNUSED_PAD src0_sel:BYTE_1 src1_sel:BYTE_1
	v_sub_u16_sdwa v190, v190, v194 dst_sel:BYTE_1 dst_unused:UNUSED_PAD src0_sel:DWORD src1_sel:BYTE_3
	v_sub_u16_sdwa v193, v193, v194 dst_sel:DWORD dst_unused:UNUSED_PAD src0_sel:WORD_1 src1_sel:WORD_1
	v_or_b32_sdwa v195, v195, v196 dst_sel:DWORD dst_unused:UNUSED_PAD src0_sel:BYTE_0 src1_sel:DWORD
	v_or_b32_sdwa v190, v193, v190 dst_sel:WORD_1 dst_unused:UNUSED_PAD src0_sel:BYTE_0 src1_sel:DWORD
	v_add_u32_e32 v193, 0x3188, v214
	v_or_b32_sdwa v190, v195, v190 dst_sel:DWORD dst_unused:UNUSED_PAD src0_sel:WORD_0 src1_sel:DWORD
	ds_read2_b32 v[193:194], v193 offset1:1
	ds_read2_b32 v[195:196], v215 offset0:2 offset1:3
	v_dot4_i32_i8 v6, v189, v6, 0
	v_dot4_i32_i8 v6, v190, v7, v6
	s_waitcnt lgkmcnt(1)
	v_ashrrev_i32_e32 v193, s21, v193
	s_waitcnt lgkmcnt(0)
	v_ashrrev_i32_e32 v195, s18, v195
	v_lshlrev_b32_e32 v195, 2, v195
	v_and_b32_e32 v197, 0x3030303, v193
	v_bfe_u32 v193, v193, 24, 2
	v_and_b32_e32 v195, 0x4040404, v195
	v_ashrrev_i32_e32 v196, s18, v196
	v_sub_u16_e32 v198, v197, v195
	v_sub_u16_sdwa v199, v197, v195 dst_sel:BYTE_1 dst_unused:UNUSED_PAD src0_sel:BYTE_1 src1_sel:BYTE_1
	v_sub_u16_sdwa v193, v193, v195 dst_sel:BYTE_1 dst_unused:UNUSED_PAD src0_sel:DWORD src1_sel:BYTE_3
	v_sub_u16_sdwa v195, v197, v195 dst_sel:DWORD dst_unused:UNUSED_PAD src0_sel:WORD_1 src1_sel:WORD_1
	v_ashrrev_i32_e32 v194, s21, v194
	v_lshlrev_b32_e32 v196, 2, v196
	v_or_b32_sdwa v198, v198, v199 dst_sel:DWORD dst_unused:UNUSED_PAD src0_sel:BYTE_0 src1_sel:DWORD
	v_or_b32_sdwa v193, v195, v193 dst_sel:WORD_1 dst_unused:UNUSED_PAD src0_sel:BYTE_0 src1_sel:DWORD
	v_and_b32_e32 v195, 0x3030303, v194
	v_bfe_u32 v194, v194, 24, 2
	v_and_b32_e32 v196, 0x4040404, v196
	v_or_b32_sdwa v193, v198, v193 dst_sel:DWORD dst_unused:UNUSED_PAD src0_sel:WORD_0 src1_sel:DWORD
	v_sub_u16_e32 v197, v195, v196
	v_sub_u16_sdwa v198, v195, v196 dst_sel:BYTE_1 dst_unused:UNUSED_PAD src0_sel:BYTE_1 src1_sel:BYTE_1
	v_sub_u16_sdwa v194, v194, v196 dst_sel:BYTE_1 dst_unused:UNUSED_PAD src0_sel:DWORD src1_sel:BYTE_3
	v_sub_u16_sdwa v195, v195, v196 dst_sel:DWORD dst_unused:UNUSED_PAD src0_sel:WORD_1 src1_sel:WORD_1
	v_or_b32_sdwa v197, v197, v198 dst_sel:DWORD dst_unused:UNUSED_PAD src0_sel:BYTE_0 src1_sel:DWORD
	v_or_b32_sdwa v194, v195, v194 dst_sel:WORD_1 dst_unused:UNUSED_PAD src0_sel:BYTE_0 src1_sel:DWORD
	v_add_u32_e32 v195, 0x3190, v214
	v_or_b32_sdwa v194, v197, v194 dst_sel:DWORD dst_unused:UNUSED_PAD src0_sel:WORD_0 src1_sel:DWORD
	ds_read2_b32 v[196:197], v195 offset1:1
	ds_read2_b32 v[198:199], v215 offset0:4 offset1:5
	v_dot4_i32_i8 v6, v193, v8, v6
	v_dot4_i32_i8 v6, v194, v9, v6
	s_waitcnt lgkmcnt(1)
	v_ashrrev_i32_e32 v195, s21, v196
	s_waitcnt lgkmcnt(0)
	v_ashrrev_i32_e32 v198, s18, v198
	v_lshlrev_b32_e32 v198, 2, v198
	v_and_b32_e32 v196, 0x3030303, v195
	v_bfe_u32 v195, v195, 24, 2
	v_and_b32_e32 v198, 0x4040404, v198
	v_sub_u16_e32 v216, v196, v198
	v_sub_u16_sdwa v217, v196, v198 dst_sel:BYTE_1 dst_unused:UNUSED_PAD src0_sel:BYTE_1 src1_sel:BYTE_1
	v_sub_u16_sdwa v195, v195, v198 dst_sel:BYTE_1 dst_unused:UNUSED_PAD src0_sel:DWORD src1_sel:BYTE_3
	v_sub_u16_sdwa v196, v196, v198 dst_sel:DWORD dst_unused:UNUSED_PAD src0_sel:WORD_1 src1_sel:WORD_1
	v_or_b32_sdwa v216, v216, v217 dst_sel:DWORD dst_unused:UNUSED_PAD src0_sel:BYTE_0 src1_sel:DWORD
	v_or_b32_sdwa v195, v196, v195 dst_sel:WORD_1 dst_unused:UNUSED_PAD src0_sel:BYTE_0 src1_sel:DWORD
	v_ashrrev_i32_e32 v198, s18, v199
	v_or_b32_sdwa v196, v216, v195 dst_sel:DWORD dst_unused:UNUSED_PAD src0_sel:WORD_0 src1_sel:DWORD
	v_ashrrev_i32_e32 v195, s21, v197
	v_lshlrev_b32_e32 v198, 2, v198
	v_and_b32_e32 v197, 0x3030303, v195
	v_bfe_u32 v195, v195, 24, 2
	v_and_b32_e32 v198, 0x4040404, v198
	v_sub_u16_e32 v199, v197, v198
	v_sub_u16_sdwa v216, v197, v198 dst_sel:BYTE_1 dst_unused:UNUSED_PAD src0_sel:BYTE_1 src1_sel:BYTE_1
	v_sub_u16_sdwa v195, v195, v198 dst_sel:BYTE_1 dst_unused:UNUSED_PAD src0_sel:DWORD src1_sel:BYTE_3
	v_sub_u16_sdwa v197, v197, v198 dst_sel:DWORD dst_unused:UNUSED_PAD src0_sel:WORD_1 src1_sel:WORD_1
	v_or_b32_sdwa v199, v199, v216 dst_sel:DWORD dst_unused:UNUSED_PAD src0_sel:BYTE_0 src1_sel:DWORD
	v_or_b32_sdwa v195, v197, v195 dst_sel:WORD_1 dst_unused:UNUSED_PAD src0_sel:BYTE_0 src1_sel:DWORD
	v_or_b32_sdwa v197, v199, v195 dst_sel:DWORD dst_unused:UNUSED_PAD src0_sel:WORD_0 src1_sel:DWORD
	v_add_u32_e32 v195, 0x3198, v214
	ds_read2_b32 v[198:199], v195 offset1:1
	ds_read2_b32 v[214:215], v215 offset0:6 offset1:7
	v_dot4_i32_i8 v2, v196, v2, 0
	v_dot4_i32_i8 v2, v197, v3, v2
	s_waitcnt lgkmcnt(1)
	v_ashrrev_i32_e32 v195, s21, v198
	s_waitcnt lgkmcnt(0)
	v_ashrrev_i32_e32 v214, s18, v214
	v_lshlrev_b32_e32 v214, 2, v214
	v_and_b32_e32 v198, 0x3030303, v195
	v_bfe_u32 v195, v195, 24, 2
	v_and_b32_e32 v214, 0x4040404, v214
	v_sub_u16_e32 v216, v198, v214
	v_sub_u16_sdwa v217, v198, v214 dst_sel:BYTE_1 dst_unused:UNUSED_PAD src0_sel:BYTE_1 src1_sel:BYTE_1
	v_sub_u16_sdwa v195, v195, v214 dst_sel:BYTE_1 dst_unused:UNUSED_PAD src0_sel:DWORD src1_sel:BYTE_3
	v_sub_u16_sdwa v198, v198, v214 dst_sel:DWORD dst_unused:UNUSED_PAD src0_sel:WORD_1 src1_sel:WORD_1
	v_or_b32_sdwa v216, v216, v217 dst_sel:DWORD dst_unused:UNUSED_PAD src0_sel:BYTE_0 src1_sel:DWORD
	v_or_b32_sdwa v195, v198, v195 dst_sel:WORD_1 dst_unused:UNUSED_PAD src0_sel:BYTE_0 src1_sel:DWORD
	v_ashrrev_i32_e32 v214, s18, v215
	v_or_b32_sdwa v198, v216, v195 dst_sel:DWORD dst_unused:UNUSED_PAD src0_sel:WORD_0 src1_sel:DWORD
	v_ashrrev_i32_e32 v195, s21, v199
	v_lshlrev_b32_e32 v214, 2, v214
	v_and_b32_e32 v199, 0x3030303, v195
	v_bfe_u32 v195, v195, 24, 2
	v_and_b32_e32 v214, 0x4040404, v214
	v_sub_u16_e32 v215, v199, v214
	v_sub_u16_sdwa v216, v199, v214 dst_sel:BYTE_1 dst_unused:UNUSED_PAD src0_sel:BYTE_1 src1_sel:BYTE_1
	v_sub_u16_sdwa v195, v195, v214 dst_sel:BYTE_1 dst_unused:UNUSED_PAD src0_sel:DWORD src1_sel:BYTE_3
	v_sub_u16_sdwa v199, v199, v214 dst_sel:DWORD dst_unused:UNUSED_PAD src0_sel:WORD_1 src1_sel:WORD_1
	v_or_b32_sdwa v215, v215, v216 dst_sel:DWORD dst_unused:UNUSED_PAD src0_sel:BYTE_0 src1_sel:DWORD
	v_or_b32_sdwa v195, v199, v195 dst_sel:WORD_1 dst_unused:UNUSED_PAD src0_sel:BYTE_0 src1_sel:DWORD
	v_or_b32_sdwa v199, v215, v195 dst_sel:DWORD dst_unused:UNUSED_PAD src0_sel:WORD_0 src1_sel:DWORD
	v_add3_u32 v195, s23, v165, v125
	ds_read_b32 v195, v195
	ds_read_b128 v[217:220], v170 offset:1024
	ds_read_b128 v[221:224], v170 offset:1040
	v_dot4_i32_i8 v2, v198, v4, v2
	v_dot4_i32_i8 v2, v199, v5, v2
	v_add_u32_e32 v214, s20, v135
	s_waitcnt lgkmcnt(1)
	v_dot4_i32_i8 v3, v47, v217, 0
	v_dot4_i32_i8 v3, v48, v218, v3
	;; [unrolled: 1-line block ×4, first 2 shown]
	s_waitcnt lgkmcnt(0)
	v_dot4_i32_i8 v3, v201, v221, 0
	v_dot4_i32_i8 v3, v202, v222, v3
	;; [unrolled: 1-line block ×4, first 2 shown]
	ds_read_u16 v3, v206 offset:33522
	s_add_i32 s18, s18, 1
	s_cmp_lt_u32 s19, 22
	s_waitcnt lgkmcnt(0)
	v_bfe_i32 v215, v3, 0, 8
	v_mul_lo_u32 v4, v4, v215
	v_lshrrev_b16_e32 v7, 8, v3
	v_bfe_i32 v216, v7, 0, 8
	v_mul_lo_u32 v3, v207, v216
	v_mad_u64_u32 v[4:5], s[20:21], v5, v216, v[4:5]
	v_mul_f32_e32 v5, v172, v46
	v_mad_u64_u32 v[7:8], s[20:21], v205, v215, v[3:4]
	v_mul_f32_e32 v3, v172, v45
	v_cvt_f32_i32_e32 v4, v4
	v_cvt_f32_i32_e32 v7, v7
	v_fma_f32 v11, v5, v4, v11
	v_fmac_f32_e32 v10, v3, v7
	v_dot4_i32_i8 v3, v173, v217, 0
	v_dot4_i32_i8 v3, v174, v218, v3
	;; [unrolled: 1-line block ×8, first 2 shown]
	ds_read_u16 v3, v209 offset:34546
	s_waitcnt lgkmcnt(0)
	v_bfe_i32 v205, v3, 0, 8
	v_mul_lo_u32 v4, v4, v205
	v_lshrrev_b16_e32 v7, 8, v3
	v_bfe_i32 v206, v7, 0, 8
	v_mul_lo_u32 v3, v211, v206
	v_mad_u64_u32 v[4:5], s[20:21], v5, v206, v[4:5]
	v_mul_f32_e32 v5, v177, v46
	v_mad_u64_u32 v[7:8], s[20:21], v208, v205, v[3:4]
	v_mul_f32_e32 v3, v177, v45
	v_cvt_f32_i32_e32 v4, v4
	v_cvt_f32_i32_e32 v7, v7
	v_fma_f32 v40, v5, v4, v40
	v_fmac_f32_e32 v39, v3, v7
	v_dot4_i32_i8 v3, v180, v217, 0
	v_dot4_i32_i8 v3, v181, v218, v3
	;; [unrolled: 1-line block ×8, first 2 shown]
	ds_read_u16 v3, v212 offset:35570
	s_waitcnt lgkmcnt(0)
	v_bfe_i32 v207, v3, 0, 8
	v_mul_lo_u32 v4, v4, v207
	v_lshrrev_b16_e32 v7, 8, v3
	v_bfe_i32 v208, v7, 0, 8
	v_mul_lo_u32 v3, v213, v208
	v_mad_u64_u32 v[4:5], s[20:21], v5, v208, v[4:5]
	v_mul_f32_e32 v5, v186, v46
	v_mad_u64_u32 v[7:8], s[20:21], v210, v207, v[3:4]
	v_cvt_f32_i32_e32 v4, v4
	v_mul_f32_e32 v3, v186, v45
	v_cvt_f32_i32_e32 v7, v7
	v_fma_f32 v42, v5, v4, v42
	ds_read_u16 v5, v214 offset:36594
	v_fmac_f32_e32 v41, v3, v7
	v_dot4_i32_i8 v3, v189, v217, 0
	v_dot4_i32_i8 v3, v190, v218, v3
	;; [unrolled: 1-line block ×4, first 2 shown]
	s_waitcnt lgkmcnt(0)
	v_bfe_i32 v209, v5, 0, 8
	v_dot4_i32_i8 v4, v196, v221, 0
	v_mul_lo_u32 v3, v3, v209
	v_dot4_i32_i8 v4, v197, v222, v4
	v_dot4_i32_i8 v4, v198, v223, v4
	v_lshrrev_b16_e32 v7, 8, v5
	v_dot4_i32_i8 v4, v199, v224, v4
	v_bfe_i32 v210, v7, 0, 8
	v_mul_lo_u32 v2, v2, v210
	v_mad_u64_u32 v[3:4], s[20:21], v4, v210, v[3:4]
	v_mad_u64_u32 v[4:5], s[20:21], v6, v209, v[2:3]
	v_cvt_f32_i32_e32 v3, v3
	v_mul_f32_e32 v2, v195, v45
	v_cvt_f32_i32_e32 v4, v4
	v_mul_f32_e32 v5, v195, v46
	v_fma_f32 v44, v5, v3, v44
	v_fmac_f32_e32 v43, v2, v4
	ds_read2_b32 v[45:46], v171 offset0:64 offset1:96
	ds_read_b128 v[2:5], v170 offset:2048
	ds_read_b128 v[6:9], v170 offset:2064
	s_waitcnt lgkmcnt(1)
	v_dot4_i32_i8 v212, v173, v2, 0
	v_dot4_i32_i8 v212, v174, v3, v212
	;; [unrolled: 1-line block ×4, first 2 shown]
	s_waitcnt lgkmcnt(0)
	v_dot4_i32_i8 v212, v178, v6, 0
	v_dot4_i32_i8 v212, v179, v7, v212
	;; [unrolled: 1-line block ×28, first 2 shown]
	ds_read_b128 v[2:5], v170 offset:3072
	ds_read_b128 v[6:9], v170 offset:3088
	v_mul_lo_u32 v211, v211, v216
	s_waitcnt lgkmcnt(1)
	v_dot4_i32_i8 v212, v47, v2, 0
	v_dot4_i32_i8 v212, v48, v3, v212
	;; [unrolled: 1-line block ×4, first 2 shown]
	s_waitcnt lgkmcnt(0)
	v_dot4_i32_i8 v213, v201, v6, 0
	v_mul_lo_u32 v212, v212, v215
	v_dot4_i32_i8 v213, v202, v7, v213
	v_dot4_i32_i8 v213, v203, v8, v213
	;; [unrolled: 1-line block ×3, first 2 shown]
	v_mad_u64_u32 v[212:213], s[20:21], v213, v216, v[212:213]
	v_mad_u64_u32 v[213:214], s[20:21], v214, v215, v[211:212]
	v_mul_f32_e32 v211, v172, v45
	v_cvt_f32_i32_e32 v212, v212
	v_cvt_f32_i32_e32 v213, v213
	v_mul_f32_e32 v214, v172, v46
	v_fma_f32 v32, v214, v212, v32
	v_fmac_f32_e32 v31, v211, v213
	v_dot4_i32_i8 v211, v173, v2, 0
	v_dot4_i32_i8 v211, v174, v3, v211
	;; [unrolled: 1-line block ×5, first 2 shown]
	v_mul_lo_u32 v212, v212, v205
	v_dot4_i32_i8 v211, v179, v7, v211
	v_dot4_i32_i8 v211, v182, v8, v211
	;; [unrolled: 1-line block ×3, first 2 shown]
	v_mul_lo_u32 v211, v218, v206
	v_mad_u64_u32 v[212:213], s[20:21], v213, v206, v[212:213]
	v_mad_u64_u32 v[213:214], s[20:21], v217, v205, v[211:212]
	v_mul_f32_e32 v211, v177, v45
	v_cvt_f32_i32_e32 v212, v212
	v_cvt_f32_i32_e32 v213, v213
	v_mul_f32_e32 v214, v177, v46
	v_fma_f32 v34, v214, v212, v34
	v_fmac_f32_e32 v33, v211, v213
	v_dot4_i32_i8 v211, v180, v2, 0
	v_dot4_i32_i8 v2, v189, v2, 0
	;; [unrolled: 1-line block ×7, first 2 shown]
	v_mul_lo_u32 v3, v3, v209
	v_dot4_i32_i8 v2, v197, v7, v2
	v_dot4_i32_i8 v2, v198, v8, v2
	;; [unrolled: 1-line block ×4, first 2 shown]
	v_mul_lo_u32 v2, v222, v210
	v_mad_u64_u32 v[3:4], s[20:21], v4, v210, v[3:4]
	v_dot4_i32_i8 v212, v185, v5, v211
	v_dot4_i32_i8 v211, v187, v6, 0
	v_mul_lo_u32 v212, v212, v207
	v_dot4_i32_i8 v211, v188, v7, v211
	v_mad_u64_u32 v[4:5], s[20:21], v221, v209, v[2:3]
	v_dot4_i32_i8 v211, v191, v8, v211
	v_dot4_i32_i8 v213, v192, v9, v211
	v_mul_lo_u32 v211, v220, v208
	v_mad_u64_u32 v[212:213], s[20:21], v213, v208, v[212:213]
	v_cvt_f32_i32_e32 v4, v4
	v_cvt_f32_i32_e32 v3, v3
	v_mad_u64_u32 v[213:214], s[20:21], v219, v207, v[211:212]
	v_mul_f32_e32 v2, v195, v45
	v_mul_f32_e32 v5, v195, v46
	;; [unrolled: 1-line block ×4, first 2 shown]
	v_cvt_f32_i32_e32 v212, v212
	v_fma_f32 v38, v5, v3, v38
	v_fmac_f32_e32 v37, v2, v4
	ds_read2_b32 v[45:46], v171 offset0:128 offset1:160
	ds_read_b128 v[2:5], v170 offset:4096
	ds_read_b128 v[6:9], v170 offset:4112
	v_fma_f32 v36, v214, v212, v36
	v_cvt_f32_i32_e32 v213, v213
	s_waitcnt lgkmcnt(1)
	v_dot4_i32_i8 v212, v173, v2, 0
	v_dot4_i32_i8 v212, v174, v3, v212
	;; [unrolled: 1-line block ×4, first 2 shown]
	s_waitcnt lgkmcnt(0)
	v_dot4_i32_i8 v212, v178, v6, 0
	v_dot4_i32_i8 v212, v179, v7, v212
	;; [unrolled: 1-line block ×3, first 2 shown]
	v_fmac_f32_e32 v35, v211, v213
	v_dot4_i32_i8 v211, v47, v2, 0
	v_dot4_i32_i8 v218, v183, v9, v212
	;; [unrolled: 1-line block ×25, first 2 shown]
	ds_read_b128 v[2:5], v170 offset:5120
	ds_read_b128 v[6:9], v170 offset:5136
	v_mul_lo_u32 v211, v211, v216
	s_waitcnt lgkmcnt(1)
	v_dot4_i32_i8 v212, v47, v2, 0
	v_dot4_i32_i8 v212, v48, v3, v212
	;; [unrolled: 1-line block ×4, first 2 shown]
	s_waitcnt lgkmcnt(0)
	v_dot4_i32_i8 v213, v201, v6, 0
	v_mul_lo_u32 v212, v212, v215
	v_dot4_i32_i8 v213, v202, v7, v213
	v_dot4_i32_i8 v213, v203, v8, v213
	;; [unrolled: 1-line block ×3, first 2 shown]
	v_mad_u64_u32 v[212:213], s[20:21], v213, v216, v[212:213]
	v_mad_u64_u32 v[213:214], s[20:21], v214, v215, v[211:212]
	v_mul_f32_e32 v211, v172, v45
	v_cvt_f32_i32_e32 v212, v212
	v_cvt_f32_i32_e32 v213, v213
	v_mul_f32_e32 v214, v172, v46
	v_fma_f32 v24, v214, v212, v24
	v_fmac_f32_e32 v23, v211, v213
	v_dot4_i32_i8 v211, v173, v2, 0
	v_dot4_i32_i8 v211, v174, v3, v211
	;; [unrolled: 1-line block ×5, first 2 shown]
	v_mul_lo_u32 v212, v212, v205
	v_dot4_i32_i8 v211, v179, v7, v211
	v_dot4_i32_i8 v211, v182, v8, v211
	;; [unrolled: 1-line block ×3, first 2 shown]
	v_mul_lo_u32 v211, v218, v206
	v_mad_u64_u32 v[212:213], s[20:21], v213, v206, v[212:213]
	v_mad_u64_u32 v[213:214], s[20:21], v217, v205, v[211:212]
	v_mul_f32_e32 v211, v177, v45
	v_cvt_f32_i32_e32 v212, v212
	v_cvt_f32_i32_e32 v213, v213
	v_mul_f32_e32 v214, v177, v46
	v_fma_f32 v26, v214, v212, v26
	v_fmac_f32_e32 v25, v211, v213
	v_dot4_i32_i8 v211, v180, v2, 0
	v_dot4_i32_i8 v2, v189, v2, 0
	;; [unrolled: 1-line block ×7, first 2 shown]
	v_mul_lo_u32 v3, v3, v209
	v_dot4_i32_i8 v2, v197, v7, v2
	v_dot4_i32_i8 v211, v184, v4, v211
	;; [unrolled: 1-line block ×6, first 2 shown]
	v_mul_lo_u32 v212, v212, v207
	v_mul_lo_u32 v2, v222, v210
	v_mad_u64_u32 v[3:4], s[20:21], v4, v210, v[3:4]
	v_dot4_i32_i8 v211, v188, v7, v211
	v_dot4_i32_i8 v211, v191, v8, v211
	;; [unrolled: 1-line block ×3, first 2 shown]
	v_mul_lo_u32 v211, v220, v208
	v_mad_u64_u32 v[212:213], s[20:21], v213, v208, v[212:213]
	v_mad_u64_u32 v[4:5], s[20:21], v221, v209, v[2:3]
	;; [unrolled: 1-line block ×3, first 2 shown]
	v_cvt_f32_i32_e32 v4, v4
	v_cvt_f32_i32_e32 v3, v3
	v_mul_f32_e32 v2, v195, v45
	v_mul_f32_e32 v5, v195, v46
	;; [unrolled: 1-line block ×4, first 2 shown]
	v_cvt_f32_i32_e32 v213, v213
	v_fma_f32 v30, v5, v3, v30
	v_fmac_f32_e32 v29, v2, v4
	ds_read2_b32 v[45:46], v171 offset0:192 offset1:224
	ds_read_b128 v[2:5], v170 offset:6144
	ds_read_b128 v[6:9], v170 offset:6160
	v_fmac_f32_e32 v27, v211, v213
	v_cvt_f32_i32_e32 v212, v212
	v_add_u32_e32 v171, 4, v171
	s_waitcnt lgkmcnt(1)
	v_dot4_i32_i8 v211, v47, v2, 0
	v_dot4_i32_i8 v211, v48, v3, v211
	;; [unrolled: 1-line block ×4, first 2 shown]
	s_waitcnt lgkmcnt(0)
	v_dot4_i32_i8 v211, v201, v6, 0
	v_dot4_i32_i8 v211, v202, v7, v211
	;; [unrolled: 1-line block ×22, first 2 shown]
	v_fma_f32 v28, v214, v212, v28
	v_dot4_i32_i8 v214, v192, v9, v211
	v_dot4_i32_i8 v211, v194, v5, v2
	v_dot4_i32_i8 v2, v196, v6, 0
	v_dot4_i32_i8 v2, v197, v7, v2
	v_dot4_i32_i8 v2, v198, v8, v2
	v_dot4_i32_i8 v212, v199, v9, v2
	ds_read_b128 v[6:9], v170 offset:7168
	ds_read_b128 v[2:5], v170 offset:7184
	v_add_u32_e32 v170, 32, v170
	s_waitcnt lgkmcnt(1)
	v_dot4_i32_i8 v47, v47, v6, 0
	v_dot4_i32_i8 v47, v48, v7, v47
	;; [unrolled: 1-line block ×4, first 2 shown]
	s_waitcnt lgkmcnt(0)
	v_dot4_i32_i8 v48, v201, v2, 0
	v_mul_lo_u32 v47, v47, v215
	v_dot4_i32_i8 v48, v202, v3, v48
	v_dot4_i32_i8 v48, v203, v4, v48
	v_dot4_i32_i8 v48, v204, v5, v48
	v_mul_lo_u32 v49, v220, v216
	v_mad_u64_u32 v[47:48], s[20:21], v48, v216, v[47:48]
	v_mad_u64_u32 v[48:49], s[20:21], v219, v215, v[49:50]
	v_cvt_f32_i32_e32 v47, v47
	v_mul_f32_e32 v49, v172, v45
	v_mul_f32_e32 v172, v172, v46
	v_cvt_f32_i32_e32 v48, v48
	v_fma_f32 v16, v172, v47, v16
	v_dot4_i32_i8 v47, v173, v6, 0
	v_dot4_i32_i8 v47, v174, v7, v47
	;; [unrolled: 1-line block ×3, first 2 shown]
	v_fmac_f32_e32 v15, v49, v48
	v_dot4_i32_i8 v48, v176, v9, v47
	v_dot4_i32_i8 v47, v178, v2, 0
	v_mul_lo_u32 v48, v48, v205
	v_dot4_i32_i8 v47, v179, v3, v47
	v_dot4_i32_i8 v47, v182, v4, v47
	;; [unrolled: 1-line block ×3, first 2 shown]
	v_mul_lo_u32 v47, v218, v206
	v_mad_u64_u32 v[48:49], s[20:21], v49, v206, v[48:49]
	v_mul_f32_e32 v49, v177, v46
	v_mad_u64_u32 v[172:173], s[20:21], v217, v205, v[47:48]
	v_mul_f32_e32 v47, v177, v45
	v_cvt_f32_i32_e32 v48, v48
	v_cvt_f32_i32_e32 v172, v172
	v_fma_f32 v18, v49, v48, v18
	v_fmac_f32_e32 v17, v47, v172
	v_dot4_i32_i8 v47, v180, v6, 0
	v_dot4_i32_i8 v6, v189, v6, 0
	v_dot4_i32_i8 v47, v181, v7, v47
	v_dot4_i32_i8 v6, v190, v7, v6
	v_dot4_i32_i8 v47, v184, v8, v47
	v_dot4_i32_i8 v6, v193, v8, v6
	v_dot4_i32_i8 v48, v185, v9, v47
	v_dot4_i32_i8 v47, v187, v2, 0
	v_dot4_i32_i8 v6, v194, v9, v6
	v_dot4_i32_i8 v2, v196, v2, 0
	v_dot4_i32_i8 v47, v188, v3, v47
	v_mul_lo_u32 v48, v48, v207
	v_dot4_i32_i8 v2, v197, v3, v2
	v_mul_lo_u32 v3, v6, v209
	v_dot4_i32_i8 v47, v191, v4, v47
	v_dot4_i32_i8 v2, v198, v4, v2
	;; [unrolled: 1-line block ×4, first 2 shown]
	v_mul_lo_u32 v47, v214, v208
	v_mad_u64_u32 v[48:49], s[20:21], v49, v208, v[48:49]
	v_mul_lo_u32 v2, v212, v210
	v_mad_u64_u32 v[3:4], s[20:21], v4, v210, v[3:4]
	v_mad_u64_u32 v[172:173], s[20:21], v213, v207, v[47:48]
	;; [unrolled: 1-line block ×3, first 2 shown]
	v_cvt_f32_i32_e32 v172, v172
	v_cvt_f32_i32_e32 v48, v48
	;; [unrolled: 1-line block ×4, first 2 shown]
	v_mul_f32_e32 v47, v186, v45
	v_mul_f32_e32 v49, v186, v46
	;; [unrolled: 1-line block ×4, first 2 shown]
	v_fma_f32 v20, v49, v48, v20
	v_fmac_f32_e32 v19, v47, v172
	v_fma_f32 v22, v5, v3, v22
	v_fmac_f32_e32 v21, v2, v4
	s_mov_b32 s20, s19
	s_cbranch_scc1 .LBB149_12
; %bb.13:                               ;   in Loop: Header=BB149_6 Depth=1
	v_add_u32_e32 v49, s16, v128
	v_add_u32_e32 v169, 12, v169
	v_add_u32_e32 v2, v49, v110
	v_mad_u64_u32 v[172:173], s[16:17], v169, 36, s[2:3]
	v_mad_i64_i32 v[2:3], s[16:17], v2, 36, v[13:14]
	v_add_u32_e32 v4, v49, v111
	v_mad_i64_i32 v[4:5], s[16:17], v4, 36, v[13:14]
	v_add_u32_e32 v6, v49, v112
	v_add_u32_e32 v8, v49, v113
	v_mad_i64_i32 v[6:7], s[16:17], v6, 36, v[13:14]
	v_mad_i64_i32 v[8:9], s[16:17], v8, 36, v[13:14]
	v_add_u32_e32 v45, v49, v114
	v_add_u32_e32 v47, v49, v115
	;; [unrolled: 1-line block ×4, first 2 shown]
	s_barrier
	v_mad_i64_i32 v[45:46], s[16:17], v45, 36, v[13:14]
	v_mad_i64_i32 v[47:48], s[16:17], v47, 36, v[13:14]
	v_mad_i64_i32 v[170:171], s[16:17], v170, 36, v[13:14]
	v_mad_i64_i32 v[174:175], s[16:17], v49, 36, v[13:14]
	global_load_dword v49, v[172:173], off
	s_nop 0
	global_load_dword v2, v[2:3], off offset:4
	s_nop 0
	global_load_dword v3, v[4:5], off offset:4
	;; [unrolled: 2-line block ×3, first 2 shown]
	global_load_dword v5, v[8:9], off offset:4
	s_nop 0
	global_load_dword v6, v[45:46], off offset:4
	global_load_dword v7, v[47:48], off offset:4
	global_load_dword v8, v[170:171], off offset:4
	global_load_dword v9, v[174:175], off offset:4
	s_mov_b32 s16, 24
	s_mov_b32 s19, 22
	;; [unrolled: 1-line block ×3, first 2 shown]
	v_mov_b32_e32 v169, v138
	v_mov_b32_e32 v170, v137
	s_waitcnt vmcnt(8)
	v_cvt_f32_f16_e32 v45, v49
	s_waitcnt vmcnt(7)
	ds_write_b32 v151, v2
	s_waitcnt vmcnt(6)
	ds_write_b32 v152, v3
	;; [unrolled: 2-line block ×8, first 2 shown]
	ds_write_b32 v109, v45
	s_waitcnt lgkmcnt(0)
	s_barrier
.LBB149_14:                             ;   Parent Loop BB149_6 Depth=1
                                        ; =>  This Inner Loop Header: Depth=2
	s_add_i32 s18, s19, 2
	s_lshr_b32 s23, s18, 4
	s_and_b32 s21, s18, 0x3ffffff8
	v_lshl_add_u32 v213, s21, 2, v118
	s_lshl_b32 s21, s23, 5
	s_addk_i32 s21, 0x4200
	v_add3_u32 v175, s21, v166, v119
	ds_read2_b32 v[45:46], v170 offset1:32
	ds_read_b128 v[6:9], v169
	ds_read_b128 v[2:5], v169 offset:16
	ds_read2_b32 v[47:48], v213 offset1:1
	ds_read2_b32 v[171:172], v175 offset1:1
	s_sub_i32 s20, s19, 22
	s_and_b32 s22, s16, -16
	s_add_i32 s19, s19, s22
	s_waitcnt lgkmcnt(1)
	v_ashrrev_i32_e32 v47, s20, v47
	s_waitcnt lgkmcnt(0)
	v_ashrrev_i32_e32 v171, s17, v171
	v_lshlrev_b32_e32 v171, 2, v171
	v_and_b32_e32 v49, 0x3030303, v47
	v_bfe_u32 v47, v47, 24, 2
	v_and_b32_e32 v171, 0x4040404, v171
	v_sub_u16_e32 v173, v49, v171
	v_sub_u16_sdwa v174, v49, v171 dst_sel:BYTE_1 dst_unused:UNUSED_PAD src0_sel:BYTE_1 src1_sel:BYTE_1
	v_sub_u16_sdwa v47, v47, v171 dst_sel:BYTE_1 dst_unused:UNUSED_PAD src0_sel:DWORD src1_sel:BYTE_3
	v_sub_u16_sdwa v49, v49, v171 dst_sel:DWORD dst_unused:UNUSED_PAD src0_sel:WORD_1 src1_sel:WORD_1
	v_ashrrev_i32_e32 v171, s17, v172
	v_ashrrev_i32_e32 v48, s20, v48
	v_lshlrev_b32_e32 v171, 2, v171
	v_or_b32_sdwa v173, v173, v174 dst_sel:DWORD dst_unused:UNUSED_PAD src0_sel:BYTE_0 src1_sel:DWORD
	v_or_b32_sdwa v47, v49, v47 dst_sel:WORD_1 dst_unused:UNUSED_PAD src0_sel:BYTE_0 src1_sel:DWORD
	v_and_b32_e32 v49, 0x3030303, v48
	v_bfe_u32 v48, v48, 24, 2
	v_and_b32_e32 v171, 0x4040404, v171
	v_or_b32_sdwa v47, v173, v47 dst_sel:DWORD dst_unused:UNUSED_PAD src0_sel:WORD_0 src1_sel:DWORD
	v_sub_u16_e32 v172, v49, v171
	v_sub_u16_sdwa v173, v49, v171 dst_sel:BYTE_1 dst_unused:UNUSED_PAD src0_sel:BYTE_1 src1_sel:BYTE_1
	v_sub_u16_sdwa v48, v48, v171 dst_sel:BYTE_1 dst_unused:UNUSED_PAD src0_sel:DWORD src1_sel:BYTE_3
	v_sub_u16_sdwa v49, v49, v171 dst_sel:DWORD dst_unused:UNUSED_PAD src0_sel:WORD_1 src1_sel:WORD_1
	v_or_b32_sdwa v172, v172, v173 dst_sel:DWORD dst_unused:UNUSED_PAD src0_sel:BYTE_0 src1_sel:DWORD
	v_or_b32_sdwa v48, v49, v48 dst_sel:WORD_1 dst_unused:UNUSED_PAD src0_sel:BYTE_0 src1_sel:DWORD
	v_or_b32_sdwa v48, v172, v48 dst_sel:DWORD dst_unused:UNUSED_PAD src0_sel:WORD_0 src1_sel:DWORD
	ds_read2_b32 v[171:172], v213 offset0:2 offset1:3
	ds_read2_b32 v[173:174], v175 offset0:2 offset1:3
	s_lshl_b32 s22, s23, 2
	s_add_i32 s22, s22, 0x9380
	v_add3_u32 v181, s21, v160, v120
	s_waitcnt lgkmcnt(1)
	v_ashrrev_i32_e32 v49, s20, v171
	s_waitcnt lgkmcnt(0)
	v_ashrrev_i32_e32 v173, s17, v173
	v_lshlrev_b32_e32 v173, 2, v173
	v_and_b32_e32 v171, 0x3030303, v49
	v_bfe_u32 v49, v49, 24, 2
	v_and_b32_e32 v173, 0x4040404, v173
	v_sub_u16_e32 v176, v171, v173
	v_sub_u16_sdwa v177, v171, v173 dst_sel:BYTE_1 dst_unused:UNUSED_PAD src0_sel:BYTE_1 src1_sel:BYTE_1
	v_sub_u16_sdwa v49, v49, v173 dst_sel:BYTE_1 dst_unused:UNUSED_PAD src0_sel:DWORD src1_sel:BYTE_3
	v_sub_u16_sdwa v171, v171, v173 dst_sel:DWORD dst_unused:UNUSED_PAD src0_sel:WORD_1 src1_sel:WORD_1
	v_ashrrev_i32_e32 v173, s17, v174
	v_or_b32_sdwa v49, v171, v49 dst_sel:WORD_1 dst_unused:UNUSED_PAD src0_sel:BYTE_0 src1_sel:DWORD
	v_ashrrev_i32_e32 v171, s20, v172
	v_lshlrev_b32_e32 v173, 2, v173
	v_or_b32_sdwa v176, v176, v177 dst_sel:DWORD dst_unused:UNUSED_PAD src0_sel:BYTE_0 src1_sel:DWORD
	v_and_b32_e32 v172, 0x3030303, v171
	v_bfe_u32 v171, v171, 24, 2
	v_and_b32_e32 v173, 0x4040404, v173
	v_or_b32_sdwa v49, v176, v49 dst_sel:DWORD dst_unused:UNUSED_PAD src0_sel:WORD_0 src1_sel:DWORD
	v_sub_u16_e32 v174, v172, v173
	v_sub_u16_sdwa v176, v172, v173 dst_sel:BYTE_1 dst_unused:UNUSED_PAD src0_sel:BYTE_1 src1_sel:BYTE_1
	v_sub_u16_sdwa v171, v171, v173 dst_sel:BYTE_1 dst_unused:UNUSED_PAD src0_sel:DWORD src1_sel:BYTE_3
	v_sub_u16_sdwa v172, v172, v173 dst_sel:DWORD dst_unused:UNUSED_PAD src0_sel:WORD_1 src1_sel:WORD_1
	v_or_b32_sdwa v174, v174, v176 dst_sel:DWORD dst_unused:UNUSED_PAD src0_sel:BYTE_0 src1_sel:DWORD
	v_or_b32_sdwa v171, v172, v171 dst_sel:WORD_1 dst_unused:UNUSED_PAD src0_sel:BYTE_0 src1_sel:DWORD
	v_or_b32_sdwa v199, v174, v171 dst_sel:DWORD dst_unused:UNUSED_PAD src0_sel:WORD_0 src1_sel:DWORD
	ds_read2_b32 v[171:172], v213 offset0:4 offset1:5
	ds_read2_b32 v[173:174], v175 offset0:4 offset1:5
	v_add3_u32 v190, s21, v162, v122
	v_add3_u32 v214, s21, v164, v124
	v_add_u32_e32 v205, s19, v129
	s_waitcnt lgkmcnt(1)
	v_ashrrev_i32_e32 v171, s20, v171
	s_waitcnt lgkmcnt(0)
	v_ashrrev_i32_e32 v173, s17, v173
	v_lshlrev_b32_e32 v173, 2, v173
	v_and_b32_e32 v176, 0x3030303, v171
	v_bfe_u32 v171, v171, 24, 2
	v_and_b32_e32 v173, 0x4040404, v173
	v_sub_u16_e32 v177, v176, v173
	v_sub_u16_sdwa v178, v176, v173 dst_sel:BYTE_1 dst_unused:UNUSED_PAD src0_sel:BYTE_1 src1_sel:BYTE_1
	v_sub_u16_sdwa v171, v171, v173 dst_sel:BYTE_1 dst_unused:UNUSED_PAD src0_sel:DWORD src1_sel:BYTE_3
	v_sub_u16_sdwa v173, v176, v173 dst_sel:DWORD dst_unused:UNUSED_PAD src0_sel:WORD_1 src1_sel:WORD_1
	v_or_b32_sdwa v177, v177, v178 dst_sel:DWORD dst_unused:UNUSED_PAD src0_sel:BYTE_0 src1_sel:DWORD
	v_or_b32_sdwa v171, v173, v171 dst_sel:WORD_1 dst_unused:UNUSED_PAD src0_sel:BYTE_0 src1_sel:DWORD
	v_ashrrev_i32_e32 v173, s17, v174
	v_or_b32_sdwa v200, v177, v171 dst_sel:DWORD dst_unused:UNUSED_PAD src0_sel:WORD_0 src1_sel:DWORD
	v_ashrrev_i32_e32 v171, s20, v172
	v_lshlrev_b32_e32 v173, 2, v173
	v_and_b32_e32 v172, 0x3030303, v171
	v_bfe_u32 v171, v171, 24, 2
	v_and_b32_e32 v173, 0x4040404, v173
	v_sub_u16_e32 v174, v172, v173
	v_sub_u16_sdwa v176, v172, v173 dst_sel:BYTE_1 dst_unused:UNUSED_PAD src0_sel:BYTE_1 src1_sel:BYTE_1
	v_sub_u16_sdwa v171, v171, v173 dst_sel:BYTE_1 dst_unused:UNUSED_PAD src0_sel:DWORD src1_sel:BYTE_3
	v_sub_u16_sdwa v172, v172, v173 dst_sel:DWORD dst_unused:UNUSED_PAD src0_sel:WORD_1 src1_sel:WORD_1
	v_or_b32_sdwa v174, v174, v176 dst_sel:DWORD dst_unused:UNUSED_PAD src0_sel:BYTE_0 src1_sel:DWORD
	v_or_b32_sdwa v171, v172, v171 dst_sel:WORD_1 dst_unused:UNUSED_PAD src0_sel:BYTE_0 src1_sel:DWORD
	v_or_b32_sdwa v201, v174, v171 dst_sel:DWORD dst_unused:UNUSED_PAD src0_sel:WORD_0 src1_sel:DWORD
	ds_read2_b32 v[171:172], v213 offset0:6 offset1:7
	ds_read2_b32 v[173:174], v175 offset0:6 offset1:7
	v_add_u32_e32 v208, s19, v131
	v_add_u32_e32 v211, s19, v133
	s_add_i32 s16, s16, 2
	s_waitcnt lgkmcnt(1)
	v_ashrrev_i32_e32 v171, s20, v171
	s_waitcnt lgkmcnt(0)
	v_ashrrev_i32_e32 v173, s17, v173
	v_lshlrev_b32_e32 v173, 2, v173
	v_and_b32_e32 v176, 0x3030303, v171
	v_bfe_u32 v171, v171, 24, 2
	v_and_b32_e32 v173, 0x4040404, v173
	v_sub_u16_e32 v175, v176, v173
	v_sub_u16_sdwa v177, v176, v173 dst_sel:BYTE_1 dst_unused:UNUSED_PAD src0_sel:BYTE_1 src1_sel:BYTE_1
	v_sub_u16_sdwa v171, v171, v173 dst_sel:BYTE_1 dst_unused:UNUSED_PAD src0_sel:DWORD src1_sel:BYTE_3
	v_sub_u16_sdwa v173, v176, v173 dst_sel:DWORD dst_unused:UNUSED_PAD src0_sel:WORD_1 src1_sel:WORD_1
	v_or_b32_sdwa v175, v175, v177 dst_sel:DWORD dst_unused:UNUSED_PAD src0_sel:BYTE_0 src1_sel:DWORD
	v_or_b32_sdwa v171, v173, v171 dst_sel:WORD_1 dst_unused:UNUSED_PAD src0_sel:BYTE_0 src1_sel:DWORD
	v_ashrrev_i32_e32 v173, s17, v174
	v_or_b32_sdwa v202, v175, v171 dst_sel:DWORD dst_unused:UNUSED_PAD src0_sel:WORD_0 src1_sel:DWORD
	v_ashrrev_i32_e32 v171, s20, v172
	v_lshlrev_b32_e32 v173, 2, v173
	v_and_b32_e32 v172, 0x3030303, v171
	v_bfe_u32 v171, v171, 24, 2
	v_and_b32_e32 v173, 0x4040404, v173
	v_sub_u16_e32 v174, v172, v173
	v_sub_u16_sdwa v175, v172, v173 dst_sel:BYTE_1 dst_unused:UNUSED_PAD src0_sel:BYTE_1 src1_sel:BYTE_1
	v_sub_u16_sdwa v171, v171, v173 dst_sel:BYTE_1 dst_unused:UNUSED_PAD src0_sel:DWORD src1_sel:BYTE_3
	v_sub_u16_sdwa v172, v172, v173 dst_sel:DWORD dst_unused:UNUSED_PAD src0_sel:WORD_1 src1_sel:WORD_1
	v_or_b32_sdwa v171, v172, v171 dst_sel:WORD_1 dst_unused:UNUSED_PAD src0_sel:BYTE_0 src1_sel:DWORD
	v_dot4_i32_i8 v172, v47, v6, 0
	v_dot4_i32_i8 v172, v48, v7, v172
	;; [unrolled: 1-line block ×5, first 2 shown]
	v_or_b32_sdwa v174, v174, v175 dst_sel:DWORD dst_unused:UNUSED_PAD src0_sel:BYTE_0 src1_sel:DWORD
	v_dot4_i32_i8 v172, v201, v3, v172
	v_or_b32_sdwa v203, v174, v171 dst_sel:DWORD dst_unused:UNUSED_PAD src0_sel:WORD_0 src1_sel:DWORD
	v_dot4_i32_i8 v172, v202, v4, v172
	v_add3_u32 v171, s22, v167, v168
	v_dot4_i32_i8 v206, v203, v5, v172
	v_add_u32_e32 v172, 0x1080, v213
	ds_read_b32 v171, v171
	ds_read2_b32 v[172:173], v172 offset1:1
	ds_read2_b32 v[174:175], v181 offset1:1
	s_waitcnt lgkmcnt(1)
	v_ashrrev_i32_e32 v172, s20, v172
	s_waitcnt lgkmcnt(0)
	v_ashrrev_i32_e32 v174, s17, v174
	v_lshlrev_b32_e32 v174, 2, v174
	v_and_b32_e32 v176, 0x3030303, v172
	v_bfe_u32 v172, v172, 24, 2
	v_and_b32_e32 v174, 0x4040404, v174
	v_ashrrev_i32_e32 v175, s17, v175
	v_sub_u16_e32 v177, v176, v174
	v_sub_u16_sdwa v178, v176, v174 dst_sel:BYTE_1 dst_unused:UNUSED_PAD src0_sel:BYTE_1 src1_sel:BYTE_1
	v_sub_u16_sdwa v172, v172, v174 dst_sel:BYTE_1 dst_unused:UNUSED_PAD src0_sel:DWORD src1_sel:BYTE_3
	v_sub_u16_sdwa v174, v176, v174 dst_sel:DWORD dst_unused:UNUSED_PAD src0_sel:WORD_1 src1_sel:WORD_1
	v_ashrrev_i32_e32 v173, s20, v173
	v_lshlrev_b32_e32 v175, 2, v175
	v_or_b32_sdwa v177, v177, v178 dst_sel:DWORD dst_unused:UNUSED_PAD src0_sel:BYTE_0 src1_sel:DWORD
	v_or_b32_sdwa v172, v174, v172 dst_sel:WORD_1 dst_unused:UNUSED_PAD src0_sel:BYTE_0 src1_sel:DWORD
	v_and_b32_e32 v174, 0x3030303, v173
	v_bfe_u32 v173, v173, 24, 2
	v_and_b32_e32 v175, 0x4040404, v175
	v_or_b32_sdwa v172, v177, v172 dst_sel:DWORD dst_unused:UNUSED_PAD src0_sel:WORD_0 src1_sel:DWORD
	v_sub_u16_e32 v176, v174, v175
	v_sub_u16_sdwa v177, v174, v175 dst_sel:BYTE_1 dst_unused:UNUSED_PAD src0_sel:BYTE_1 src1_sel:BYTE_1
	v_sub_u16_sdwa v173, v173, v175 dst_sel:BYTE_1 dst_unused:UNUSED_PAD src0_sel:DWORD src1_sel:BYTE_3
	v_sub_u16_sdwa v174, v174, v175 dst_sel:DWORD dst_unused:UNUSED_PAD src0_sel:WORD_1 src1_sel:WORD_1
	v_or_b32_sdwa v176, v176, v177 dst_sel:DWORD dst_unused:UNUSED_PAD src0_sel:BYTE_0 src1_sel:DWORD
	v_or_b32_sdwa v173, v174, v173 dst_sel:WORD_1 dst_unused:UNUSED_PAD src0_sel:BYTE_0 src1_sel:DWORD
	v_add_u32_e32 v174, 0x1088, v213
	v_or_b32_sdwa v173, v176, v173 dst_sel:DWORD dst_unused:UNUSED_PAD src0_sel:WORD_0 src1_sel:DWORD
	ds_read2_b32 v[174:175], v174 offset1:1
	ds_read2_b32 v[176:177], v181 offset0:2 offset1:3
	s_waitcnt lgkmcnt(1)
	v_ashrrev_i32_e32 v174, s20, v174
	s_waitcnt lgkmcnt(0)
	v_ashrrev_i32_e32 v176, s17, v176
	v_lshlrev_b32_e32 v176, 2, v176
	v_and_b32_e32 v178, 0x3030303, v174
	v_bfe_u32 v174, v174, 24, 2
	v_and_b32_e32 v176, 0x4040404, v176
	v_ashrrev_i32_e32 v177, s17, v177
	v_sub_u16_e32 v179, v178, v176
	v_sub_u16_sdwa v180, v178, v176 dst_sel:BYTE_1 dst_unused:UNUSED_PAD src0_sel:BYTE_1 src1_sel:BYTE_1
	v_sub_u16_sdwa v174, v174, v176 dst_sel:BYTE_1 dst_unused:UNUSED_PAD src0_sel:DWORD src1_sel:BYTE_3
	v_sub_u16_sdwa v176, v178, v176 dst_sel:DWORD dst_unused:UNUSED_PAD src0_sel:WORD_1 src1_sel:WORD_1
	v_ashrrev_i32_e32 v175, s20, v175
	v_lshlrev_b32_e32 v177, 2, v177
	v_or_b32_sdwa v179, v179, v180 dst_sel:DWORD dst_unused:UNUSED_PAD src0_sel:BYTE_0 src1_sel:DWORD
	v_or_b32_sdwa v174, v176, v174 dst_sel:WORD_1 dst_unused:UNUSED_PAD src0_sel:BYTE_0 src1_sel:DWORD
	v_and_b32_e32 v176, 0x3030303, v175
	v_bfe_u32 v175, v175, 24, 2
	v_and_b32_e32 v177, 0x4040404, v177
	v_or_b32_sdwa v174, v179, v174 dst_sel:DWORD dst_unused:UNUSED_PAD src0_sel:WORD_0 src1_sel:DWORD
	v_sub_u16_e32 v178, v176, v177
	v_sub_u16_sdwa v179, v176, v177 dst_sel:BYTE_1 dst_unused:UNUSED_PAD src0_sel:BYTE_1 src1_sel:BYTE_1
	v_sub_u16_sdwa v175, v175, v177 dst_sel:BYTE_1 dst_unused:UNUSED_PAD src0_sel:DWORD src1_sel:BYTE_3
	v_sub_u16_sdwa v176, v176, v177 dst_sel:DWORD dst_unused:UNUSED_PAD src0_sel:WORD_1 src1_sel:WORD_1
	v_or_b32_sdwa v178, v178, v179 dst_sel:DWORD dst_unused:UNUSED_PAD src0_sel:BYTE_0 src1_sel:DWORD
	v_or_b32_sdwa v175, v176, v175 dst_sel:WORD_1 dst_unused:UNUSED_PAD src0_sel:BYTE_0 src1_sel:DWORD
	v_add_u32_e32 v176, 0x1090, v213
	v_or_b32_sdwa v175, v178, v175 dst_sel:DWORD dst_unused:UNUSED_PAD src0_sel:WORD_0 src1_sel:DWORD
	ds_read2_b32 v[177:178], v176 offset1:1
	ds_read2_b32 v[179:180], v181 offset0:4 offset1:5
	s_waitcnt lgkmcnt(1)
	v_ashrrev_i32_e32 v176, s20, v177
	s_waitcnt lgkmcnt(0)
	v_ashrrev_i32_e32 v179, s17, v179
	v_lshlrev_b32_e32 v179, 2, v179
	v_and_b32_e32 v177, 0x3030303, v176
	v_bfe_u32 v176, v176, 24, 2
	v_and_b32_e32 v179, 0x4040404, v179
	v_sub_u16_e32 v182, v177, v179
	v_sub_u16_sdwa v183, v177, v179 dst_sel:BYTE_1 dst_unused:UNUSED_PAD src0_sel:BYTE_1 src1_sel:BYTE_1
	v_sub_u16_sdwa v176, v176, v179 dst_sel:BYTE_1 dst_unused:UNUSED_PAD src0_sel:DWORD src1_sel:BYTE_3
	v_sub_u16_sdwa v177, v177, v179 dst_sel:DWORD dst_unused:UNUSED_PAD src0_sel:WORD_1 src1_sel:WORD_1
	v_or_b32_sdwa v182, v182, v183 dst_sel:DWORD dst_unused:UNUSED_PAD src0_sel:BYTE_0 src1_sel:DWORD
	v_or_b32_sdwa v176, v177, v176 dst_sel:WORD_1 dst_unused:UNUSED_PAD src0_sel:BYTE_0 src1_sel:DWORD
	v_ashrrev_i32_e32 v179, s17, v180
	v_or_b32_sdwa v177, v182, v176 dst_sel:DWORD dst_unused:UNUSED_PAD src0_sel:WORD_0 src1_sel:DWORD
	v_ashrrev_i32_e32 v176, s20, v178
	v_lshlrev_b32_e32 v179, 2, v179
	v_and_b32_e32 v178, 0x3030303, v176
	v_bfe_u32 v176, v176, 24, 2
	v_and_b32_e32 v179, 0x4040404, v179
	v_sub_u16_e32 v180, v178, v179
	v_sub_u16_sdwa v182, v178, v179 dst_sel:BYTE_1 dst_unused:UNUSED_PAD src0_sel:BYTE_1 src1_sel:BYTE_1
	v_sub_u16_sdwa v176, v176, v179 dst_sel:BYTE_1 dst_unused:UNUSED_PAD src0_sel:DWORD src1_sel:BYTE_3
	v_sub_u16_sdwa v178, v178, v179 dst_sel:DWORD dst_unused:UNUSED_PAD src0_sel:WORD_1 src1_sel:WORD_1
	v_or_b32_sdwa v180, v180, v182 dst_sel:DWORD dst_unused:UNUSED_PAD src0_sel:BYTE_0 src1_sel:DWORD
	v_or_b32_sdwa v176, v178, v176 dst_sel:WORD_1 dst_unused:UNUSED_PAD src0_sel:BYTE_0 src1_sel:DWORD
	v_or_b32_sdwa v178, v180, v176 dst_sel:DWORD dst_unused:UNUSED_PAD src0_sel:WORD_0 src1_sel:DWORD
	v_add_u32_e32 v176, 0x1098, v213
	ds_read2_b32 v[179:180], v176 offset1:1
	ds_read2_b32 v[181:182], v181 offset0:6 offset1:7
	s_waitcnt lgkmcnt(1)
	v_ashrrev_i32_e32 v176, s20, v179
	s_waitcnt lgkmcnt(0)
	v_ashrrev_i32_e32 v181, s17, v181
	v_lshlrev_b32_e32 v181, 2, v181
	v_and_b32_e32 v179, 0x3030303, v176
	v_bfe_u32 v176, v176, 24, 2
	v_and_b32_e32 v181, 0x4040404, v181
	v_sub_u16_e32 v183, v179, v181
	v_sub_u16_sdwa v184, v179, v181 dst_sel:BYTE_1 dst_unused:UNUSED_PAD src0_sel:BYTE_1 src1_sel:BYTE_1
	v_sub_u16_sdwa v176, v176, v181 dst_sel:BYTE_1 dst_unused:UNUSED_PAD src0_sel:DWORD src1_sel:BYTE_3
	v_sub_u16_sdwa v179, v179, v181 dst_sel:DWORD dst_unused:UNUSED_PAD src0_sel:WORD_1 src1_sel:WORD_1
	v_or_b32_sdwa v183, v183, v184 dst_sel:DWORD dst_unused:UNUSED_PAD src0_sel:BYTE_0 src1_sel:DWORD
	v_or_b32_sdwa v176, v179, v176 dst_sel:WORD_1 dst_unused:UNUSED_PAD src0_sel:BYTE_0 src1_sel:DWORD
	v_or_b32_sdwa v181, v183, v176 dst_sel:DWORD dst_unused:UNUSED_PAD src0_sel:WORD_0 src1_sel:DWORD
	v_ashrrev_i32_e32 v176, s20, v180
	v_ashrrev_i32_e32 v180, s17, v182
	v_lshlrev_b32_e32 v180, 2, v180
	v_and_b32_e32 v179, 0x3030303, v176
	v_bfe_u32 v176, v176, 24, 2
	v_and_b32_e32 v180, 0x4040404, v180
	v_sub_u16_e32 v182, v179, v180
	v_sub_u16_sdwa v183, v179, v180 dst_sel:BYTE_1 dst_unused:UNUSED_PAD src0_sel:BYTE_1 src1_sel:BYTE_1
	v_sub_u16_sdwa v176, v176, v180 dst_sel:BYTE_1 dst_unused:UNUSED_PAD src0_sel:DWORD src1_sel:BYTE_3
	v_sub_u16_sdwa v179, v179, v180 dst_sel:DWORD dst_unused:UNUSED_PAD src0_sel:WORD_1 src1_sel:WORD_1
	v_or_b32_sdwa v176, v179, v176 dst_sel:WORD_1 dst_unused:UNUSED_PAD src0_sel:BYTE_0 src1_sel:DWORD
	v_dot4_i32_i8 v179, v172, v6, 0
	v_dot4_i32_i8 v179, v173, v7, v179
	;; [unrolled: 1-line block ×5, first 2 shown]
	v_or_b32_sdwa v182, v182, v183 dst_sel:DWORD dst_unused:UNUSED_PAD src0_sel:BYTE_0 src1_sel:DWORD
	v_dot4_i32_i8 v179, v178, v3, v179
	v_or_b32_sdwa v182, v182, v176 dst_sel:DWORD dst_unused:UNUSED_PAD src0_sel:WORD_0 src1_sel:DWORD
	v_dot4_i32_i8 v179, v181, v4, v179
	v_add3_u32 v176, s22, v161, v121
	v_dot4_i32_i8 v210, v182, v5, v179
	v_add_u32_e32 v179, 0x2100, v213
	ds_read_b32 v176, v176
	ds_read2_b32 v[179:180], v179 offset1:1
	ds_read2_b32 v[183:184], v190 offset1:1
	s_waitcnt lgkmcnt(1)
	v_ashrrev_i32_e32 v179, s20, v179
	s_waitcnt lgkmcnt(0)
	v_ashrrev_i32_e32 v183, s17, v183
	v_lshlrev_b32_e32 v183, 2, v183
	v_and_b32_e32 v185, 0x3030303, v179
	v_bfe_u32 v179, v179, 24, 2
	v_and_b32_e32 v183, 0x4040404, v183
	v_ashrrev_i32_e32 v184, s17, v184
	v_sub_u16_e32 v186, v185, v183
	v_sub_u16_sdwa v187, v185, v183 dst_sel:BYTE_1 dst_unused:UNUSED_PAD src0_sel:BYTE_1 src1_sel:BYTE_1
	v_sub_u16_sdwa v179, v179, v183 dst_sel:BYTE_1 dst_unused:UNUSED_PAD src0_sel:DWORD src1_sel:BYTE_3
	v_sub_u16_sdwa v183, v185, v183 dst_sel:DWORD dst_unused:UNUSED_PAD src0_sel:WORD_1 src1_sel:WORD_1
	v_ashrrev_i32_e32 v180, s20, v180
	v_lshlrev_b32_e32 v184, 2, v184
	v_or_b32_sdwa v186, v186, v187 dst_sel:DWORD dst_unused:UNUSED_PAD src0_sel:BYTE_0 src1_sel:DWORD
	v_or_b32_sdwa v179, v183, v179 dst_sel:WORD_1 dst_unused:UNUSED_PAD src0_sel:BYTE_0 src1_sel:DWORD
	v_and_b32_e32 v183, 0x3030303, v180
	v_bfe_u32 v180, v180, 24, 2
	v_and_b32_e32 v184, 0x4040404, v184
	v_or_b32_sdwa v179, v186, v179 dst_sel:DWORD dst_unused:UNUSED_PAD src0_sel:WORD_0 src1_sel:DWORD
	v_sub_u16_e32 v185, v183, v184
	v_sub_u16_sdwa v186, v183, v184 dst_sel:BYTE_1 dst_unused:UNUSED_PAD src0_sel:BYTE_1 src1_sel:BYTE_1
	v_sub_u16_sdwa v180, v180, v184 dst_sel:BYTE_1 dst_unused:UNUSED_PAD src0_sel:DWORD src1_sel:BYTE_3
	v_sub_u16_sdwa v183, v183, v184 dst_sel:DWORD dst_unused:UNUSED_PAD src0_sel:WORD_1 src1_sel:WORD_1
	v_or_b32_sdwa v185, v185, v186 dst_sel:DWORD dst_unused:UNUSED_PAD src0_sel:BYTE_0 src1_sel:DWORD
	v_or_b32_sdwa v180, v183, v180 dst_sel:WORD_1 dst_unused:UNUSED_PAD src0_sel:BYTE_0 src1_sel:DWORD
	v_add_u32_e32 v183, 0x2108, v213
	v_or_b32_sdwa v180, v185, v180 dst_sel:DWORD dst_unused:UNUSED_PAD src0_sel:WORD_0 src1_sel:DWORD
	ds_read2_b32 v[183:184], v183 offset1:1
	ds_read2_b32 v[185:186], v190 offset0:2 offset1:3
	s_waitcnt lgkmcnt(1)
	v_ashrrev_i32_e32 v183, s20, v183
	s_waitcnt lgkmcnt(0)
	v_ashrrev_i32_e32 v185, s17, v185
	v_lshlrev_b32_e32 v185, 2, v185
	v_and_b32_e32 v187, 0x3030303, v183
	v_bfe_u32 v183, v183, 24, 2
	v_and_b32_e32 v185, 0x4040404, v185
	v_ashrrev_i32_e32 v186, s17, v186
	v_sub_u16_e32 v188, v187, v185
	v_sub_u16_sdwa v189, v187, v185 dst_sel:BYTE_1 dst_unused:UNUSED_PAD src0_sel:BYTE_1 src1_sel:BYTE_1
	v_sub_u16_sdwa v183, v183, v185 dst_sel:BYTE_1 dst_unused:UNUSED_PAD src0_sel:DWORD src1_sel:BYTE_3
	v_sub_u16_sdwa v185, v187, v185 dst_sel:DWORD dst_unused:UNUSED_PAD src0_sel:WORD_1 src1_sel:WORD_1
	v_ashrrev_i32_e32 v184, s20, v184
	v_lshlrev_b32_e32 v186, 2, v186
	v_or_b32_sdwa v188, v188, v189 dst_sel:DWORD dst_unused:UNUSED_PAD src0_sel:BYTE_0 src1_sel:DWORD
	v_or_b32_sdwa v183, v185, v183 dst_sel:WORD_1 dst_unused:UNUSED_PAD src0_sel:BYTE_0 src1_sel:DWORD
	v_and_b32_e32 v185, 0x3030303, v184
	v_bfe_u32 v184, v184, 24, 2
	v_and_b32_e32 v186, 0x4040404, v186
	v_or_b32_sdwa v183, v188, v183 dst_sel:DWORD dst_unused:UNUSED_PAD src0_sel:WORD_0 src1_sel:DWORD
	v_sub_u16_e32 v187, v185, v186
	v_sub_u16_sdwa v188, v185, v186 dst_sel:BYTE_1 dst_unused:UNUSED_PAD src0_sel:BYTE_1 src1_sel:BYTE_1
	v_sub_u16_sdwa v184, v184, v186 dst_sel:BYTE_1 dst_unused:UNUSED_PAD src0_sel:DWORD src1_sel:BYTE_3
	v_sub_u16_sdwa v185, v185, v186 dst_sel:DWORD dst_unused:UNUSED_PAD src0_sel:WORD_1 src1_sel:WORD_1
	v_or_b32_sdwa v187, v187, v188 dst_sel:DWORD dst_unused:UNUSED_PAD src0_sel:BYTE_0 src1_sel:DWORD
	v_or_b32_sdwa v184, v185, v184 dst_sel:WORD_1 dst_unused:UNUSED_PAD src0_sel:BYTE_0 src1_sel:DWORD
	v_add_u32_e32 v185, 0x2110, v213
	v_or_b32_sdwa v184, v187, v184 dst_sel:DWORD dst_unused:UNUSED_PAD src0_sel:WORD_0 src1_sel:DWORD
	ds_read2_b32 v[186:187], v185 offset1:1
	ds_read2_b32 v[188:189], v190 offset0:4 offset1:5
	s_waitcnt lgkmcnt(1)
	v_ashrrev_i32_e32 v185, s20, v186
	s_waitcnt lgkmcnt(0)
	v_ashrrev_i32_e32 v188, s17, v188
	v_lshlrev_b32_e32 v188, 2, v188
	v_and_b32_e32 v186, 0x3030303, v185
	v_bfe_u32 v185, v185, 24, 2
	v_and_b32_e32 v188, 0x4040404, v188
	v_sub_u16_e32 v191, v186, v188
	v_sub_u16_sdwa v192, v186, v188 dst_sel:BYTE_1 dst_unused:UNUSED_PAD src0_sel:BYTE_1 src1_sel:BYTE_1
	v_sub_u16_sdwa v185, v185, v188 dst_sel:BYTE_1 dst_unused:UNUSED_PAD src0_sel:DWORD src1_sel:BYTE_3
	v_sub_u16_sdwa v186, v186, v188 dst_sel:DWORD dst_unused:UNUSED_PAD src0_sel:WORD_1 src1_sel:WORD_1
	v_or_b32_sdwa v191, v191, v192 dst_sel:DWORD dst_unused:UNUSED_PAD src0_sel:BYTE_0 src1_sel:DWORD
	v_or_b32_sdwa v185, v186, v185 dst_sel:WORD_1 dst_unused:UNUSED_PAD src0_sel:BYTE_0 src1_sel:DWORD
	v_ashrrev_i32_e32 v188, s17, v189
	v_or_b32_sdwa v186, v191, v185 dst_sel:DWORD dst_unused:UNUSED_PAD src0_sel:WORD_0 src1_sel:DWORD
	v_ashrrev_i32_e32 v185, s20, v187
	v_lshlrev_b32_e32 v188, 2, v188
	v_and_b32_e32 v187, 0x3030303, v185
	v_bfe_u32 v185, v185, 24, 2
	v_and_b32_e32 v188, 0x4040404, v188
	v_sub_u16_e32 v189, v187, v188
	v_sub_u16_sdwa v191, v187, v188 dst_sel:BYTE_1 dst_unused:UNUSED_PAD src0_sel:BYTE_1 src1_sel:BYTE_1
	v_sub_u16_sdwa v185, v185, v188 dst_sel:BYTE_1 dst_unused:UNUSED_PAD src0_sel:DWORD src1_sel:BYTE_3
	v_sub_u16_sdwa v187, v187, v188 dst_sel:DWORD dst_unused:UNUSED_PAD src0_sel:WORD_1 src1_sel:WORD_1
	v_or_b32_sdwa v189, v189, v191 dst_sel:DWORD dst_unused:UNUSED_PAD src0_sel:BYTE_0 src1_sel:DWORD
	v_or_b32_sdwa v185, v187, v185 dst_sel:WORD_1 dst_unused:UNUSED_PAD src0_sel:BYTE_0 src1_sel:DWORD
	v_or_b32_sdwa v187, v189, v185 dst_sel:DWORD dst_unused:UNUSED_PAD src0_sel:WORD_0 src1_sel:DWORD
	v_add_u32_e32 v185, 0x2118, v213
	ds_read2_b32 v[188:189], v185 offset1:1
	ds_read2_b32 v[190:191], v190 offset0:6 offset1:7
	s_waitcnt lgkmcnt(1)
	v_ashrrev_i32_e32 v185, s20, v188
	s_waitcnt lgkmcnt(0)
	v_ashrrev_i32_e32 v190, s17, v190
	v_lshlrev_b32_e32 v190, 2, v190
	v_and_b32_e32 v188, 0x3030303, v185
	v_bfe_u32 v185, v185, 24, 2
	v_and_b32_e32 v190, 0x4040404, v190
	v_sub_u16_e32 v192, v188, v190
	v_sub_u16_sdwa v193, v188, v190 dst_sel:BYTE_1 dst_unused:UNUSED_PAD src0_sel:BYTE_1 src1_sel:BYTE_1
	v_sub_u16_sdwa v185, v185, v190 dst_sel:BYTE_1 dst_unused:UNUSED_PAD src0_sel:DWORD src1_sel:BYTE_3
	v_sub_u16_sdwa v188, v188, v190 dst_sel:DWORD dst_unused:UNUSED_PAD src0_sel:WORD_1 src1_sel:WORD_1
	v_or_b32_sdwa v192, v192, v193 dst_sel:DWORD dst_unused:UNUSED_PAD src0_sel:BYTE_0 src1_sel:DWORD
	v_or_b32_sdwa v185, v188, v185 dst_sel:WORD_1 dst_unused:UNUSED_PAD src0_sel:BYTE_0 src1_sel:DWORD
	v_or_b32_sdwa v190, v192, v185 dst_sel:DWORD dst_unused:UNUSED_PAD src0_sel:WORD_0 src1_sel:DWORD
	v_ashrrev_i32_e32 v185, s20, v189
	v_ashrrev_i32_e32 v189, s17, v191
	v_lshlrev_b32_e32 v189, 2, v189
	v_and_b32_e32 v188, 0x3030303, v185
	v_bfe_u32 v185, v185, 24, 2
	v_and_b32_e32 v189, 0x4040404, v189
	v_sub_u16_e32 v191, v188, v189
	v_sub_u16_sdwa v192, v188, v189 dst_sel:BYTE_1 dst_unused:UNUSED_PAD src0_sel:BYTE_1 src1_sel:BYTE_1
	v_sub_u16_sdwa v185, v185, v189 dst_sel:BYTE_1 dst_unused:UNUSED_PAD src0_sel:DWORD src1_sel:BYTE_3
	v_sub_u16_sdwa v188, v188, v189 dst_sel:DWORD dst_unused:UNUSED_PAD src0_sel:WORD_1 src1_sel:WORD_1
	v_or_b32_sdwa v185, v188, v185 dst_sel:WORD_1 dst_unused:UNUSED_PAD src0_sel:BYTE_0 src1_sel:DWORD
	v_dot4_i32_i8 v188, v179, v6, 0
	v_dot4_i32_i8 v188, v180, v7, v188
	;; [unrolled: 1-line block ×5, first 2 shown]
	v_or_b32_sdwa v191, v191, v192 dst_sel:DWORD dst_unused:UNUSED_PAD src0_sel:BYTE_0 src1_sel:DWORD
	v_dot4_i32_i8 v188, v187, v3, v188
	v_or_b32_sdwa v191, v191, v185 dst_sel:DWORD dst_unused:UNUSED_PAD src0_sel:WORD_0 src1_sel:DWORD
	v_dot4_i32_i8 v188, v190, v4, v188
	v_add3_u32 v185, s22, v163, v123
	v_dot4_i32_i8 v212, v191, v5, v188
	v_add_u32_e32 v188, 0x3180, v213
	ds_read_b32 v185, v185
	ds_read2_b32 v[188:189], v188 offset1:1
	ds_read2_b32 v[192:193], v214 offset1:1
	s_waitcnt lgkmcnt(1)
	v_ashrrev_i32_e32 v188, s20, v188
	s_waitcnt lgkmcnt(0)
	v_ashrrev_i32_e32 v192, s17, v192
	v_lshlrev_b32_e32 v192, 2, v192
	v_and_b32_e32 v194, 0x3030303, v188
	v_bfe_u32 v188, v188, 24, 2
	v_and_b32_e32 v192, 0x4040404, v192
	v_ashrrev_i32_e32 v193, s17, v193
	v_sub_u16_e32 v195, v194, v192
	v_sub_u16_sdwa v196, v194, v192 dst_sel:BYTE_1 dst_unused:UNUSED_PAD src0_sel:BYTE_1 src1_sel:BYTE_1
	v_sub_u16_sdwa v188, v188, v192 dst_sel:BYTE_1 dst_unused:UNUSED_PAD src0_sel:DWORD src1_sel:BYTE_3
	v_sub_u16_sdwa v192, v194, v192 dst_sel:DWORD dst_unused:UNUSED_PAD src0_sel:WORD_1 src1_sel:WORD_1
	v_ashrrev_i32_e32 v189, s20, v189
	v_lshlrev_b32_e32 v193, 2, v193
	v_or_b32_sdwa v195, v195, v196 dst_sel:DWORD dst_unused:UNUSED_PAD src0_sel:BYTE_0 src1_sel:DWORD
	v_or_b32_sdwa v188, v192, v188 dst_sel:WORD_1 dst_unused:UNUSED_PAD src0_sel:BYTE_0 src1_sel:DWORD
	v_and_b32_e32 v192, 0x3030303, v189
	v_bfe_u32 v189, v189, 24, 2
	v_and_b32_e32 v193, 0x4040404, v193
	v_or_b32_sdwa v188, v195, v188 dst_sel:DWORD dst_unused:UNUSED_PAD src0_sel:WORD_0 src1_sel:DWORD
	v_sub_u16_e32 v194, v192, v193
	v_sub_u16_sdwa v195, v192, v193 dst_sel:BYTE_1 dst_unused:UNUSED_PAD src0_sel:BYTE_1 src1_sel:BYTE_1
	v_sub_u16_sdwa v189, v189, v193 dst_sel:BYTE_1 dst_unused:UNUSED_PAD src0_sel:DWORD src1_sel:BYTE_3
	v_sub_u16_sdwa v192, v192, v193 dst_sel:DWORD dst_unused:UNUSED_PAD src0_sel:WORD_1 src1_sel:WORD_1
	v_or_b32_sdwa v194, v194, v195 dst_sel:DWORD dst_unused:UNUSED_PAD src0_sel:BYTE_0 src1_sel:DWORD
	v_or_b32_sdwa v189, v192, v189 dst_sel:WORD_1 dst_unused:UNUSED_PAD src0_sel:BYTE_0 src1_sel:DWORD
	v_add_u32_e32 v192, 0x3188, v213
	v_or_b32_sdwa v189, v194, v189 dst_sel:DWORD dst_unused:UNUSED_PAD src0_sel:WORD_0 src1_sel:DWORD
	ds_read2_b32 v[192:193], v192 offset1:1
	ds_read2_b32 v[194:195], v214 offset0:2 offset1:3
	v_dot4_i32_i8 v6, v188, v6, 0
	v_dot4_i32_i8 v6, v189, v7, v6
	s_waitcnt lgkmcnt(1)
	v_ashrrev_i32_e32 v192, s20, v192
	s_waitcnt lgkmcnt(0)
	v_ashrrev_i32_e32 v194, s17, v194
	v_lshlrev_b32_e32 v194, 2, v194
	v_and_b32_e32 v196, 0x3030303, v192
	v_bfe_u32 v192, v192, 24, 2
	v_and_b32_e32 v194, 0x4040404, v194
	v_ashrrev_i32_e32 v195, s17, v195
	v_sub_u16_e32 v197, v196, v194
	v_sub_u16_sdwa v198, v196, v194 dst_sel:BYTE_1 dst_unused:UNUSED_PAD src0_sel:BYTE_1 src1_sel:BYTE_1
	v_sub_u16_sdwa v192, v192, v194 dst_sel:BYTE_1 dst_unused:UNUSED_PAD src0_sel:DWORD src1_sel:BYTE_3
	v_sub_u16_sdwa v194, v196, v194 dst_sel:DWORD dst_unused:UNUSED_PAD src0_sel:WORD_1 src1_sel:WORD_1
	v_ashrrev_i32_e32 v193, s20, v193
	v_lshlrev_b32_e32 v195, 2, v195
	v_or_b32_sdwa v197, v197, v198 dst_sel:DWORD dst_unused:UNUSED_PAD src0_sel:BYTE_0 src1_sel:DWORD
	v_or_b32_sdwa v192, v194, v192 dst_sel:WORD_1 dst_unused:UNUSED_PAD src0_sel:BYTE_0 src1_sel:DWORD
	v_and_b32_e32 v194, 0x3030303, v193
	v_bfe_u32 v193, v193, 24, 2
	v_and_b32_e32 v195, 0x4040404, v195
	v_or_b32_sdwa v192, v197, v192 dst_sel:DWORD dst_unused:UNUSED_PAD src0_sel:WORD_0 src1_sel:DWORD
	v_sub_u16_e32 v196, v194, v195
	v_sub_u16_sdwa v197, v194, v195 dst_sel:BYTE_1 dst_unused:UNUSED_PAD src0_sel:BYTE_1 src1_sel:BYTE_1
	v_sub_u16_sdwa v193, v193, v195 dst_sel:BYTE_1 dst_unused:UNUSED_PAD src0_sel:DWORD src1_sel:BYTE_3
	v_sub_u16_sdwa v194, v194, v195 dst_sel:DWORD dst_unused:UNUSED_PAD src0_sel:WORD_1 src1_sel:WORD_1
	v_or_b32_sdwa v196, v196, v197 dst_sel:DWORD dst_unused:UNUSED_PAD src0_sel:BYTE_0 src1_sel:DWORD
	v_or_b32_sdwa v193, v194, v193 dst_sel:WORD_1 dst_unused:UNUSED_PAD src0_sel:BYTE_0 src1_sel:DWORD
	v_add_u32_e32 v194, 0x3190, v213
	v_or_b32_sdwa v193, v196, v193 dst_sel:DWORD dst_unused:UNUSED_PAD src0_sel:WORD_0 src1_sel:DWORD
	ds_read2_b32 v[195:196], v194 offset1:1
	ds_read2_b32 v[197:198], v214 offset0:4 offset1:5
	v_dot4_i32_i8 v6, v192, v8, v6
	v_dot4_i32_i8 v6, v193, v9, v6
	s_waitcnt lgkmcnt(1)
	v_ashrrev_i32_e32 v194, s20, v195
	s_waitcnt lgkmcnt(0)
	v_ashrrev_i32_e32 v197, s17, v197
	v_lshlrev_b32_e32 v197, 2, v197
	v_and_b32_e32 v195, 0x3030303, v194
	v_bfe_u32 v194, v194, 24, 2
	v_and_b32_e32 v197, 0x4040404, v197
	v_sub_u16_e32 v215, v195, v197
	v_sub_u16_sdwa v216, v195, v197 dst_sel:BYTE_1 dst_unused:UNUSED_PAD src0_sel:BYTE_1 src1_sel:BYTE_1
	v_sub_u16_sdwa v194, v194, v197 dst_sel:BYTE_1 dst_unused:UNUSED_PAD src0_sel:DWORD src1_sel:BYTE_3
	v_sub_u16_sdwa v195, v195, v197 dst_sel:DWORD dst_unused:UNUSED_PAD src0_sel:WORD_1 src1_sel:WORD_1
	v_or_b32_sdwa v215, v215, v216 dst_sel:DWORD dst_unused:UNUSED_PAD src0_sel:BYTE_0 src1_sel:DWORD
	v_or_b32_sdwa v194, v195, v194 dst_sel:WORD_1 dst_unused:UNUSED_PAD src0_sel:BYTE_0 src1_sel:DWORD
	v_ashrrev_i32_e32 v197, s17, v198
	v_or_b32_sdwa v195, v215, v194 dst_sel:DWORD dst_unused:UNUSED_PAD src0_sel:WORD_0 src1_sel:DWORD
	v_ashrrev_i32_e32 v194, s20, v196
	v_lshlrev_b32_e32 v197, 2, v197
	v_and_b32_e32 v196, 0x3030303, v194
	v_bfe_u32 v194, v194, 24, 2
	v_and_b32_e32 v197, 0x4040404, v197
	v_sub_u16_e32 v198, v196, v197
	v_sub_u16_sdwa v215, v196, v197 dst_sel:BYTE_1 dst_unused:UNUSED_PAD src0_sel:BYTE_1 src1_sel:BYTE_1
	v_sub_u16_sdwa v194, v194, v197 dst_sel:BYTE_1 dst_unused:UNUSED_PAD src0_sel:DWORD src1_sel:BYTE_3
	v_sub_u16_sdwa v196, v196, v197 dst_sel:DWORD dst_unused:UNUSED_PAD src0_sel:WORD_1 src1_sel:WORD_1
	v_or_b32_sdwa v198, v198, v215 dst_sel:DWORD dst_unused:UNUSED_PAD src0_sel:BYTE_0 src1_sel:DWORD
	v_or_b32_sdwa v194, v196, v194 dst_sel:WORD_1 dst_unused:UNUSED_PAD src0_sel:BYTE_0 src1_sel:DWORD
	v_or_b32_sdwa v196, v198, v194 dst_sel:DWORD dst_unused:UNUSED_PAD src0_sel:WORD_0 src1_sel:DWORD
	v_add_u32_e32 v194, 0x3198, v213
	ds_read2_b32 v[197:198], v194 offset1:1
	ds_read2_b32 v[213:214], v214 offset0:6 offset1:7
	v_dot4_i32_i8 v2, v195, v2, 0
	v_dot4_i32_i8 v2, v196, v3, v2
	s_waitcnt lgkmcnt(1)
	v_ashrrev_i32_e32 v194, s20, v197
	s_waitcnt lgkmcnt(0)
	v_ashrrev_i32_e32 v213, s17, v213
	v_lshlrev_b32_e32 v213, 2, v213
	v_and_b32_e32 v197, 0x3030303, v194
	v_bfe_u32 v194, v194, 24, 2
	v_and_b32_e32 v213, 0x4040404, v213
	v_sub_u16_e32 v215, v197, v213
	v_sub_u16_sdwa v216, v197, v213 dst_sel:BYTE_1 dst_unused:UNUSED_PAD src0_sel:BYTE_1 src1_sel:BYTE_1
	v_sub_u16_sdwa v194, v194, v213 dst_sel:BYTE_1 dst_unused:UNUSED_PAD src0_sel:DWORD src1_sel:BYTE_3
	v_sub_u16_sdwa v197, v197, v213 dst_sel:DWORD dst_unused:UNUSED_PAD src0_sel:WORD_1 src1_sel:WORD_1
	v_or_b32_sdwa v215, v215, v216 dst_sel:DWORD dst_unused:UNUSED_PAD src0_sel:BYTE_0 src1_sel:DWORD
	v_or_b32_sdwa v194, v197, v194 dst_sel:WORD_1 dst_unused:UNUSED_PAD src0_sel:BYTE_0 src1_sel:DWORD
	v_ashrrev_i32_e32 v213, s17, v214
	v_or_b32_sdwa v197, v215, v194 dst_sel:DWORD dst_unused:UNUSED_PAD src0_sel:WORD_0 src1_sel:DWORD
	v_ashrrev_i32_e32 v194, s20, v198
	v_lshlrev_b32_e32 v213, 2, v213
	v_and_b32_e32 v198, 0x3030303, v194
	v_bfe_u32 v194, v194, 24, 2
	v_and_b32_e32 v213, 0x4040404, v213
	v_sub_u16_e32 v214, v198, v213
	v_sub_u16_sdwa v215, v198, v213 dst_sel:BYTE_1 dst_unused:UNUSED_PAD src0_sel:BYTE_1 src1_sel:BYTE_1
	v_sub_u16_sdwa v194, v194, v213 dst_sel:BYTE_1 dst_unused:UNUSED_PAD src0_sel:DWORD src1_sel:BYTE_3
	v_sub_u16_sdwa v198, v198, v213 dst_sel:DWORD dst_unused:UNUSED_PAD src0_sel:WORD_1 src1_sel:WORD_1
	v_or_b32_sdwa v214, v214, v215 dst_sel:DWORD dst_unused:UNUSED_PAD src0_sel:BYTE_0 src1_sel:DWORD
	v_or_b32_sdwa v194, v198, v194 dst_sel:WORD_1 dst_unused:UNUSED_PAD src0_sel:BYTE_0 src1_sel:DWORD
	v_or_b32_sdwa v198, v214, v194 dst_sel:DWORD dst_unused:UNUSED_PAD src0_sel:WORD_0 src1_sel:DWORD
	v_add3_u32 v194, s22, v165, v125
	ds_read_b32 v194, v194
	ds_read_b128 v[216:219], v169 offset:1024
	ds_read_b128 v[220:223], v169 offset:1040
	v_dot4_i32_i8 v2, v197, v4, v2
	v_dot4_i32_i8 v2, v198, v5, v2
	v_add_u32_e32 v213, s19, v135
	s_waitcnt lgkmcnt(1)
	v_dot4_i32_i8 v3, v47, v216, 0
	v_dot4_i32_i8 v3, v48, v217, v3
	;; [unrolled: 1-line block ×4, first 2 shown]
	s_waitcnt lgkmcnt(0)
	v_dot4_i32_i8 v3, v200, v220, 0
	v_dot4_i32_i8 v3, v201, v221, v3
	;; [unrolled: 1-line block ×4, first 2 shown]
	ds_read_u16 v3, v205 offset:33522
	s_add_i32 s17, s17, 1
	s_cmp_lt_u32 s18, 30
	s_mov_b32 s19, s18
	s_waitcnt lgkmcnt(0)
	v_bfe_i32 v214, v3, 0, 8
	v_mul_lo_u32 v4, v4, v214
	v_lshrrev_b16_e32 v7, 8, v3
	v_bfe_i32 v215, v7, 0, 8
	v_mul_lo_u32 v3, v206, v215
	v_mad_u64_u32 v[4:5], s[20:21], v5, v215, v[4:5]
	v_mul_f32_e32 v5, v171, v46
	v_mad_u64_u32 v[7:8], s[20:21], v204, v214, v[3:4]
	v_mul_f32_e32 v3, v171, v45
	v_cvt_f32_i32_e32 v4, v4
	v_cvt_f32_i32_e32 v7, v7
	v_fma_f32 v11, v5, v4, v11
	v_fmac_f32_e32 v10, v3, v7
	v_dot4_i32_i8 v3, v172, v216, 0
	v_dot4_i32_i8 v3, v173, v217, v3
	;; [unrolled: 1-line block ×8, first 2 shown]
	ds_read_u16 v3, v208 offset:34546
	s_waitcnt lgkmcnt(0)
	v_bfe_i32 v204, v3, 0, 8
	v_mul_lo_u32 v4, v4, v204
	v_lshrrev_b16_e32 v7, 8, v3
	v_bfe_i32 v205, v7, 0, 8
	v_mul_lo_u32 v3, v210, v205
	v_mad_u64_u32 v[4:5], s[20:21], v5, v205, v[4:5]
	v_mul_f32_e32 v5, v176, v46
	v_mad_u64_u32 v[7:8], s[20:21], v207, v204, v[3:4]
	v_mul_f32_e32 v3, v176, v45
	v_cvt_f32_i32_e32 v4, v4
	v_cvt_f32_i32_e32 v7, v7
	v_fma_f32 v40, v5, v4, v40
	v_fmac_f32_e32 v39, v3, v7
	v_dot4_i32_i8 v3, v179, v216, 0
	v_dot4_i32_i8 v3, v180, v217, v3
	;; [unrolled: 1-line block ×8, first 2 shown]
	ds_read_u16 v3, v211 offset:35570
	s_waitcnt lgkmcnt(0)
	v_bfe_i32 v206, v3, 0, 8
	v_mul_lo_u32 v4, v4, v206
	v_lshrrev_b16_e32 v7, 8, v3
	v_bfe_i32 v207, v7, 0, 8
	v_mul_lo_u32 v3, v212, v207
	v_mad_u64_u32 v[4:5], s[20:21], v5, v207, v[4:5]
	v_mul_f32_e32 v5, v185, v46
	v_mad_u64_u32 v[7:8], s[20:21], v209, v206, v[3:4]
	v_cvt_f32_i32_e32 v4, v4
	v_mul_f32_e32 v3, v185, v45
	v_cvt_f32_i32_e32 v7, v7
	v_fma_f32 v42, v5, v4, v42
	ds_read_u16 v5, v213 offset:36594
	v_fmac_f32_e32 v41, v3, v7
	v_dot4_i32_i8 v3, v188, v216, 0
	v_dot4_i32_i8 v3, v189, v217, v3
	;; [unrolled: 1-line block ×4, first 2 shown]
	s_waitcnt lgkmcnt(0)
	v_bfe_i32 v208, v5, 0, 8
	v_dot4_i32_i8 v4, v195, v220, 0
	v_mul_lo_u32 v3, v3, v208
	v_dot4_i32_i8 v4, v196, v221, v4
	v_dot4_i32_i8 v4, v197, v222, v4
	v_lshrrev_b16_e32 v7, 8, v5
	v_dot4_i32_i8 v4, v198, v223, v4
	v_bfe_i32 v209, v7, 0, 8
	v_mul_lo_u32 v2, v2, v209
	v_mad_u64_u32 v[3:4], s[20:21], v4, v209, v[3:4]
	v_mad_u64_u32 v[4:5], s[20:21], v6, v208, v[2:3]
	v_cvt_f32_i32_e32 v3, v3
	v_mul_f32_e32 v2, v194, v45
	v_cvt_f32_i32_e32 v4, v4
	v_mul_f32_e32 v5, v194, v46
	v_fma_f32 v44, v5, v3, v44
	v_fmac_f32_e32 v43, v2, v4
	ds_read2_b32 v[45:46], v170 offset0:64 offset1:96
	ds_read_b128 v[2:5], v169 offset:2048
	ds_read_b128 v[6:9], v169 offset:2064
	s_waitcnt lgkmcnt(1)
	v_dot4_i32_i8 v211, v172, v2, 0
	v_dot4_i32_i8 v211, v173, v3, v211
	;; [unrolled: 1-line block ×4, first 2 shown]
	s_waitcnt lgkmcnt(0)
	v_dot4_i32_i8 v211, v177, v6, 0
	v_dot4_i32_i8 v211, v178, v7, v211
	;; [unrolled: 1-line block ×28, first 2 shown]
	ds_read_b128 v[2:5], v169 offset:3072
	ds_read_b128 v[6:9], v169 offset:3088
	v_mul_lo_u32 v210, v210, v215
	s_waitcnt lgkmcnt(1)
	v_dot4_i32_i8 v211, v47, v2, 0
	v_dot4_i32_i8 v211, v48, v3, v211
	v_dot4_i32_i8 v211, v49, v4, v211
	v_dot4_i32_i8 v211, v199, v5, v211
	s_waitcnt lgkmcnt(0)
	v_dot4_i32_i8 v212, v200, v6, 0
	v_mul_lo_u32 v211, v211, v214
	v_dot4_i32_i8 v212, v201, v7, v212
	v_dot4_i32_i8 v212, v202, v8, v212
	;; [unrolled: 1-line block ×3, first 2 shown]
	v_mad_u64_u32 v[211:212], s[20:21], v212, v215, v[211:212]
	v_mad_u64_u32 v[212:213], s[20:21], v213, v214, v[210:211]
	v_mul_f32_e32 v210, v171, v45
	v_cvt_f32_i32_e32 v211, v211
	v_cvt_f32_i32_e32 v212, v212
	v_mul_f32_e32 v213, v171, v46
	v_fma_f32 v32, v213, v211, v32
	v_fmac_f32_e32 v31, v210, v212
	v_dot4_i32_i8 v210, v172, v2, 0
	v_dot4_i32_i8 v210, v173, v3, v210
	v_dot4_i32_i8 v210, v174, v4, v210
	v_dot4_i32_i8 v211, v175, v5, v210
	v_dot4_i32_i8 v210, v177, v6, 0
	v_mul_lo_u32 v211, v211, v204
	v_dot4_i32_i8 v210, v178, v7, v210
	v_dot4_i32_i8 v210, v181, v8, v210
	v_dot4_i32_i8 v212, v182, v9, v210
	v_mul_lo_u32 v210, v217, v205
	v_mad_u64_u32 v[211:212], s[20:21], v212, v205, v[211:212]
	v_mad_u64_u32 v[212:213], s[20:21], v216, v204, v[210:211]
	v_mul_f32_e32 v210, v176, v45
	v_cvt_f32_i32_e32 v211, v211
	v_cvt_f32_i32_e32 v212, v212
	v_mul_f32_e32 v213, v176, v46
	v_fma_f32 v34, v213, v211, v34
	v_fmac_f32_e32 v33, v210, v212
	v_dot4_i32_i8 v210, v179, v2, 0
	v_dot4_i32_i8 v2, v188, v2, 0
	;; [unrolled: 1-line block ×7, first 2 shown]
	v_mul_lo_u32 v3, v3, v208
	v_dot4_i32_i8 v2, v196, v7, v2
	v_dot4_i32_i8 v2, v197, v8, v2
	;; [unrolled: 1-line block ×4, first 2 shown]
	v_mul_lo_u32 v2, v221, v209
	v_mad_u64_u32 v[3:4], s[20:21], v4, v209, v[3:4]
	v_dot4_i32_i8 v211, v184, v5, v210
	v_dot4_i32_i8 v210, v186, v6, 0
	v_mul_lo_u32 v211, v211, v206
	v_dot4_i32_i8 v210, v187, v7, v210
	v_mad_u64_u32 v[4:5], s[20:21], v220, v208, v[2:3]
	v_dot4_i32_i8 v210, v190, v8, v210
	v_dot4_i32_i8 v212, v191, v9, v210
	v_mul_lo_u32 v210, v219, v207
	v_mad_u64_u32 v[211:212], s[20:21], v212, v207, v[211:212]
	v_cvt_f32_i32_e32 v4, v4
	v_cvt_f32_i32_e32 v3, v3
	v_mad_u64_u32 v[212:213], s[20:21], v218, v206, v[210:211]
	v_mul_f32_e32 v2, v194, v45
	v_mul_f32_e32 v5, v194, v46
	;; [unrolled: 1-line block ×4, first 2 shown]
	v_cvt_f32_i32_e32 v211, v211
	v_fma_f32 v38, v5, v3, v38
	v_fmac_f32_e32 v37, v2, v4
	ds_read2_b32 v[45:46], v170 offset0:128 offset1:160
	ds_read_b128 v[2:5], v169 offset:4096
	ds_read_b128 v[6:9], v169 offset:4112
	v_fma_f32 v36, v213, v211, v36
	v_cvt_f32_i32_e32 v212, v212
	s_waitcnt lgkmcnt(1)
	v_dot4_i32_i8 v211, v172, v2, 0
	v_dot4_i32_i8 v211, v173, v3, v211
	;; [unrolled: 1-line block ×4, first 2 shown]
	s_waitcnt lgkmcnt(0)
	v_dot4_i32_i8 v211, v177, v6, 0
	v_dot4_i32_i8 v211, v178, v7, v211
	;; [unrolled: 1-line block ×3, first 2 shown]
	v_fmac_f32_e32 v35, v210, v212
	v_dot4_i32_i8 v210, v47, v2, 0
	v_dot4_i32_i8 v217, v182, v9, v211
	;; [unrolled: 1-line block ×25, first 2 shown]
	ds_read_b128 v[2:5], v169 offset:5120
	ds_read_b128 v[6:9], v169 offset:5136
	v_mul_lo_u32 v210, v210, v215
	s_waitcnt lgkmcnt(1)
	v_dot4_i32_i8 v211, v47, v2, 0
	v_dot4_i32_i8 v211, v48, v3, v211
	;; [unrolled: 1-line block ×4, first 2 shown]
	s_waitcnt lgkmcnt(0)
	v_dot4_i32_i8 v212, v200, v6, 0
	v_mul_lo_u32 v211, v211, v214
	v_dot4_i32_i8 v212, v201, v7, v212
	v_dot4_i32_i8 v212, v202, v8, v212
	;; [unrolled: 1-line block ×3, first 2 shown]
	v_mad_u64_u32 v[211:212], s[20:21], v212, v215, v[211:212]
	v_mad_u64_u32 v[212:213], s[20:21], v213, v214, v[210:211]
	v_mul_f32_e32 v210, v171, v45
	v_cvt_f32_i32_e32 v211, v211
	v_cvt_f32_i32_e32 v212, v212
	v_mul_f32_e32 v213, v171, v46
	v_fma_f32 v24, v213, v211, v24
	v_fmac_f32_e32 v23, v210, v212
	v_dot4_i32_i8 v210, v172, v2, 0
	v_dot4_i32_i8 v210, v173, v3, v210
	;; [unrolled: 1-line block ×5, first 2 shown]
	v_mul_lo_u32 v211, v211, v204
	v_dot4_i32_i8 v210, v178, v7, v210
	v_dot4_i32_i8 v210, v181, v8, v210
	;; [unrolled: 1-line block ×3, first 2 shown]
	v_mul_lo_u32 v210, v217, v205
	v_mad_u64_u32 v[211:212], s[20:21], v212, v205, v[211:212]
	v_mad_u64_u32 v[212:213], s[20:21], v216, v204, v[210:211]
	v_mul_f32_e32 v210, v176, v45
	v_cvt_f32_i32_e32 v211, v211
	v_cvt_f32_i32_e32 v212, v212
	v_mul_f32_e32 v213, v176, v46
	v_fma_f32 v26, v213, v211, v26
	v_fmac_f32_e32 v25, v210, v212
	v_dot4_i32_i8 v210, v179, v2, 0
	v_dot4_i32_i8 v2, v188, v2, 0
	;; [unrolled: 1-line block ×7, first 2 shown]
	v_mul_lo_u32 v3, v3, v208
	v_dot4_i32_i8 v2, v196, v7, v2
	v_dot4_i32_i8 v210, v183, v4, v210
	;; [unrolled: 1-line block ×6, first 2 shown]
	v_mul_lo_u32 v211, v211, v206
	v_mul_lo_u32 v2, v221, v209
	v_mad_u64_u32 v[3:4], s[20:21], v4, v209, v[3:4]
	v_dot4_i32_i8 v210, v187, v7, v210
	v_dot4_i32_i8 v210, v190, v8, v210
	;; [unrolled: 1-line block ×3, first 2 shown]
	v_mul_lo_u32 v210, v219, v207
	v_mad_u64_u32 v[211:212], s[20:21], v212, v207, v[211:212]
	v_mad_u64_u32 v[4:5], s[20:21], v220, v208, v[2:3]
	;; [unrolled: 1-line block ×3, first 2 shown]
	v_cvt_f32_i32_e32 v4, v4
	v_cvt_f32_i32_e32 v3, v3
	v_mul_f32_e32 v2, v194, v45
	v_mul_f32_e32 v5, v194, v46
	;; [unrolled: 1-line block ×4, first 2 shown]
	v_cvt_f32_i32_e32 v212, v212
	v_fma_f32 v30, v5, v3, v30
	v_fmac_f32_e32 v29, v2, v4
	ds_read2_b32 v[45:46], v170 offset0:192 offset1:224
	ds_read_b128 v[2:5], v169 offset:6144
	ds_read_b128 v[6:9], v169 offset:6160
	v_fmac_f32_e32 v27, v210, v212
	v_cvt_f32_i32_e32 v211, v211
	v_add_u32_e32 v170, 4, v170
	s_waitcnt lgkmcnt(1)
	v_dot4_i32_i8 v210, v47, v2, 0
	v_dot4_i32_i8 v210, v48, v3, v210
	;; [unrolled: 1-line block ×4, first 2 shown]
	s_waitcnt lgkmcnt(0)
	v_dot4_i32_i8 v210, v200, v6, 0
	v_dot4_i32_i8 v210, v201, v7, v210
	;; [unrolled: 1-line block ×22, first 2 shown]
	v_fma_f32 v28, v213, v211, v28
	v_dot4_i32_i8 v213, v191, v9, v210
	v_dot4_i32_i8 v210, v193, v5, v2
	;; [unrolled: 1-line block ×6, first 2 shown]
	ds_read_b128 v[6:9], v169 offset:7168
	ds_read_b128 v[2:5], v169 offset:7184
	v_add_u32_e32 v169, 32, v169
	s_waitcnt lgkmcnt(1)
	v_dot4_i32_i8 v47, v47, v6, 0
	v_dot4_i32_i8 v47, v48, v7, v47
	;; [unrolled: 1-line block ×4, first 2 shown]
	s_waitcnt lgkmcnt(0)
	v_dot4_i32_i8 v48, v200, v2, 0
	v_mul_lo_u32 v47, v47, v214
	v_dot4_i32_i8 v48, v201, v3, v48
	v_dot4_i32_i8 v48, v202, v4, v48
	;; [unrolled: 1-line block ×3, first 2 shown]
	v_mul_lo_u32 v49, v219, v215
	v_mad_u64_u32 v[47:48], s[20:21], v48, v215, v[47:48]
	v_mad_u64_u32 v[48:49], s[20:21], v218, v214, v[49:50]
	v_cvt_f32_i32_e32 v47, v47
	v_mul_f32_e32 v49, v171, v45
	v_mul_f32_e32 v171, v171, v46
	v_cvt_f32_i32_e32 v48, v48
	v_fma_f32 v16, v171, v47, v16
	v_dot4_i32_i8 v47, v172, v6, 0
	v_dot4_i32_i8 v47, v173, v7, v47
	;; [unrolled: 1-line block ×3, first 2 shown]
	v_fmac_f32_e32 v15, v49, v48
	v_dot4_i32_i8 v48, v175, v9, v47
	v_dot4_i32_i8 v47, v177, v2, 0
	v_mul_lo_u32 v48, v48, v204
	v_dot4_i32_i8 v47, v178, v3, v47
	v_dot4_i32_i8 v47, v181, v4, v47
	;; [unrolled: 1-line block ×3, first 2 shown]
	v_mul_lo_u32 v47, v217, v205
	v_mad_u64_u32 v[48:49], s[20:21], v49, v205, v[48:49]
	v_mul_f32_e32 v49, v176, v46
	v_mad_u64_u32 v[171:172], s[20:21], v216, v204, v[47:48]
	v_mul_f32_e32 v47, v176, v45
	v_cvt_f32_i32_e32 v48, v48
	v_cvt_f32_i32_e32 v171, v171
	v_fma_f32 v18, v49, v48, v18
	v_fmac_f32_e32 v17, v47, v171
	v_dot4_i32_i8 v47, v179, v6, 0
	v_dot4_i32_i8 v6, v188, v6, 0
	v_dot4_i32_i8 v47, v180, v7, v47
	v_dot4_i32_i8 v6, v189, v7, v6
	v_dot4_i32_i8 v47, v183, v8, v47
	v_dot4_i32_i8 v6, v192, v8, v6
	v_dot4_i32_i8 v48, v184, v9, v47
	v_dot4_i32_i8 v47, v186, v2, 0
	v_dot4_i32_i8 v6, v193, v9, v6
	v_dot4_i32_i8 v2, v195, v2, 0
	v_dot4_i32_i8 v47, v187, v3, v47
	v_mul_lo_u32 v48, v48, v206
	v_dot4_i32_i8 v2, v196, v3, v2
	v_mul_lo_u32 v3, v6, v208
	v_dot4_i32_i8 v47, v190, v4, v47
	v_dot4_i32_i8 v2, v197, v4, v2
	v_dot4_i32_i8 v49, v191, v5, v47
	v_dot4_i32_i8 v4, v198, v5, v2
	v_mul_lo_u32 v47, v213, v207
	v_mad_u64_u32 v[48:49], s[20:21], v49, v207, v[48:49]
	v_mul_lo_u32 v2, v211, v209
	v_mad_u64_u32 v[3:4], s[20:21], v4, v209, v[3:4]
	v_mad_u64_u32 v[171:172], s[20:21], v212, v206, v[47:48]
	;; [unrolled: 1-line block ×3, first 2 shown]
	v_cvt_f32_i32_e32 v171, v171
	v_cvt_f32_i32_e32 v48, v48
	;; [unrolled: 1-line block ×4, first 2 shown]
	v_mul_f32_e32 v47, v185, v45
	v_mul_f32_e32 v49, v185, v46
	;; [unrolled: 1-line block ×4, first 2 shown]
	v_fma_f32 v20, v49, v48, v20
	v_fmac_f32_e32 v19, v47, v171
	v_fma_f32 v22, v5, v3, v22
	v_fmac_f32_e32 v21, v2, v4
	s_cbranch_scc1 .LBB149_14
; %bb.15:                               ;   in Loop: Header=BB149_6 Depth=1
	s_barrier
	s_branch .LBB149_5
.LBB149_16:
	v_cvt_f16_f32_e32 v2, v11
	v_cvt_f16_f32_e32 v3, v10
	v_cvt_f16_f32_e32 v4, v40
	v_cvt_f16_f32_e32 v5, v39
	v_cvt_f16_f32_e32 v6, v42
	v_cvt_f16_f32_e32 v7, v41
	v_cvt_f16_f32_e32 v8, v44
	v_cvt_f16_f32_e32 v9, v43
	v_pack_b32_f16 v42, v3, v2
	v_pack_b32_f16 v41, v5, v4
	v_pack_b32_f16 v40, v7, v6
	v_pack_b32_f16 v39, v9, v8
	v_cvt_f16_f32_e32 v2, v32
	v_cvt_f16_f32_e32 v3, v31
	v_cvt_f16_f32_e32 v4, v34
	v_cvt_f16_f32_e32 v5, v33
	v_cvt_f16_f32_e32 v6, v36
	v_cvt_f16_f32_e32 v7, v35
	v_cvt_f16_f32_e32 v8, v38
	v_cvt_f16_f32_e32 v9, v37
	v_pack_b32_f16 v32, v3, v2
	v_pack_b32_f16 v31, v5, v4
	v_pack_b32_f16 v14, v7, v6
	v_pack_b32_f16 v13, v9, v8
	;; [unrolled: 12-line block ×4, first 2 shown]
	v_mov_b32_e32 v6, v50
.LBB149_17:
	v_cmp_gt_u32_e32 vcc, s8, v6
	s_and_saveexec_b64 s[0:1], vcc
	s_cbranch_execz .LBB149_68
; %bb.18:
	v_mul_lo_u32 v15, v6, s10
	v_add_u32_e32 v0, s6, v0
	v_cmp_gt_u32_e32 vcc, s10, v0
	s_and_saveexec_b64 s[2:3], vcc
	s_cbranch_execz .LBB149_20
; %bb.19:
	v_add_u32_e32 v6, v0, v15
	v_mov_b32_e32 v7, 0
	v_lshlrev_b64 v[6:7], 1, v[6:7]
	s_waitcnt lgkmcnt(0)
	v_mov_b32_e32 v8, s13
	v_add_co_u32_e64 v6, s[0:1], s12, v6
	v_addc_co_u32_e64 v7, s[0:1], v8, v7, s[0:1]
	global_store_short v[6:7], v42, off
.LBB149_20:
	s_or_b64 exec, exec, s[2:3]
	v_add_u32_e32 v6, 32, v0
	v_cmp_gt_u32_e64 s[0:1], s10, v6
	s_and_saveexec_b64 s[4:5], s[0:1]
	s_cbranch_execz .LBB149_22
; %bb.21:
	v_add_u32_e32 v7, v6, v15
	v_mov_b32_e32 v8, 0
	v_lshlrev_b64 v[7:8], 1, v[7:8]
	s_waitcnt lgkmcnt(0)
	v_mov_b32_e32 v16, s13
	v_add_co_u32_e64 v7, s[2:3], s12, v7
	v_addc_co_u32_e64 v8, s[2:3], v16, v8, s[2:3]
	global_store_short v[7:8], v41, off
.LBB149_22:
	s_or_b64 exec, exec, s[4:5]
	v_add_u32_e32 v7, 64, v0
	v_cmp_gt_u32_e64 s[2:3], s10, v7
	s_and_saveexec_b64 s[6:7], s[2:3]
	;; [unrolled: 15-line block ×3, first 2 shown]
	s_cbranch_execz .LBB149_26
; %bb.25:
	v_add_u32_e32 v15, v8, v15
	v_mov_b32_e32 v16, 0
	v_lshlrev_b64 v[15:16], 1, v[15:16]
	s_waitcnt lgkmcnt(0)
	v_mov_b32_e32 v17, s13
	v_add_co_u32_e64 v15, s[6:7], s12, v15
	v_addc_co_u32_e64 v16, s[6:7], v17, v16, s[6:7]
	global_store_short v[15:16], v39, off
.LBB149_26:
	s_or_b64 exec, exec, s[14:15]
	v_add3_u32 v15, v1, s11, 8
	v_cmp_gt_u32_e64 s[6:7], s8, v15
	s_and_b64 exec, exec, s[6:7]
	s_cbranch_execz .LBB149_68
; %bb.27:
	v_mul_lo_u32 v15, v15, s10
	s_and_saveexec_b64 s[14:15], vcc
	s_cbranch_execnz .LBB149_69
; %bb.28:
	s_or_b64 exec, exec, s[14:15]
	s_and_saveexec_b64 s[14:15], s[0:1]
	s_cbranch_execnz .LBB149_70
.LBB149_29:
	s_or_b64 exec, exec, s[14:15]
	s_and_saveexec_b64 s[14:15], s[2:3]
	s_cbranch_execnz .LBB149_71
.LBB149_30:
	s_or_b64 exec, exec, s[14:15]
	s_and_saveexec_b64 s[14:15], s[4:5]
	s_cbranch_execz .LBB149_32
.LBB149_31:
	v_add_u32_e32 v15, v15, v8
	v_mov_b32_e32 v16, 0
	v_lshlrev_b64 v[15:16], 1, v[15:16]
	s_waitcnt lgkmcnt(0)
	v_mov_b32_e32 v17, s13
	v_add_co_u32_e64 v15, s[6:7], s12, v15
	v_addc_co_u32_e64 v16, s[6:7], v17, v16, s[6:7]
	global_store_short_d16_hi v[15:16], v39, off
.LBB149_32:
	s_or_b64 exec, exec, s[14:15]
	v_add3_u32 v15, v1, s11, 16
	v_cmp_gt_u32_e64 s[6:7], s8, v15
	s_and_b64 exec, exec, s[6:7]
	s_cbranch_execz .LBB149_68
; %bb.33:
	v_mul_lo_u32 v15, v15, s10
	s_and_saveexec_b64 s[14:15], vcc
	s_cbranch_execnz .LBB149_72
; %bb.34:
	s_or_b64 exec, exec, s[14:15]
	s_and_saveexec_b64 s[14:15], s[0:1]
	s_cbranch_execnz .LBB149_73
.LBB149_35:
	s_or_b64 exec, exec, s[14:15]
	s_and_saveexec_b64 s[14:15], s[2:3]
	s_cbranch_execnz .LBB149_74
.LBB149_36:
	s_or_b64 exec, exec, s[14:15]
	s_and_saveexec_b64 s[14:15], s[4:5]
	s_cbranch_execz .LBB149_38
.LBB149_37:
	v_add_u32_e32 v15, v15, v8
	v_mov_b32_e32 v16, 0
	v_lshlrev_b64 v[15:16], 1, v[15:16]
	s_waitcnt lgkmcnt(0)
	v_mov_b32_e32 v17, s13
	v_add_co_u32_e64 v15, s[6:7], s12, v15
	v_addc_co_u32_e64 v16, s[6:7], v17, v16, s[6:7]
	global_store_short v[15:16], v13, off
.LBB149_38:
	s_or_b64 exec, exec, s[14:15]
	v_add3_u32 v15, v1, s11, 24
	v_cmp_gt_u32_e64 s[6:7], s8, v15
	s_and_b64 exec, exec, s[6:7]
	s_cbranch_execz .LBB149_68
; %bb.39:
	v_mul_lo_u32 v15, v15, s10
	s_and_saveexec_b64 s[14:15], vcc
	s_cbranch_execnz .LBB149_75
; %bb.40:
	s_or_b64 exec, exec, s[14:15]
	s_and_saveexec_b64 s[14:15], s[0:1]
	s_cbranch_execnz .LBB149_76
.LBB149_41:
	s_or_b64 exec, exec, s[14:15]
	s_and_saveexec_b64 s[14:15], s[2:3]
	s_cbranch_execnz .LBB149_77
.LBB149_42:
	s_or_b64 exec, exec, s[14:15]
	s_and_saveexec_b64 s[14:15], s[4:5]
	s_cbranch_execz .LBB149_44
.LBB149_43:
	v_add_u32_e32 v14, v15, v8
	v_mov_b32_e32 v15, 0
	v_lshlrev_b64 v[14:15], 1, v[14:15]
	s_waitcnt lgkmcnt(0)
	v_mov_b32_e32 v16, s13
	v_add_co_u32_e64 v14, s[6:7], s12, v14
	v_addc_co_u32_e64 v15, s[6:7], v16, v15, s[6:7]
	global_store_short_d16_hi v[14:15], v13, off
.LBB149_44:
	s_or_b64 exec, exec, s[14:15]
	v_add3_u32 v13, v1, s11, 32
	v_cmp_gt_u32_e64 s[6:7], s8, v13
	s_and_b64 exec, exec, s[6:7]
	s_cbranch_execz .LBB149_68
; %bb.45:
	v_mul_lo_u32 v13, v13, s10
	s_and_saveexec_b64 s[14:15], vcc
	s_cbranch_execnz .LBB149_78
; %bb.46:
	s_or_b64 exec, exec, s[14:15]
	s_and_saveexec_b64 s[14:15], s[0:1]
	s_cbranch_execnz .LBB149_79
.LBB149_47:
	s_or_b64 exec, exec, s[14:15]
	s_and_saveexec_b64 s[14:15], s[2:3]
	s_cbranch_execnz .LBB149_80
.LBB149_48:
	s_or_b64 exec, exec, s[14:15]
	s_and_saveexec_b64 s[14:15], s[4:5]
	s_cbranch_execz .LBB149_50
.LBB149_49:
	v_add_u32_e32 v13, v13, v8
	v_mov_b32_e32 v14, 0
	v_lshlrev_b64 v[13:14], 1, v[13:14]
	s_waitcnt lgkmcnt(0)
	v_mov_b32_e32 v15, s13
	v_add_co_u32_e64 v13, s[6:7], s12, v13
	v_addc_co_u32_e64 v14, s[6:7], v15, v14, s[6:7]
	global_store_short v[13:14], v9, off
.LBB149_50:
	s_or_b64 exec, exec, s[14:15]
	v_add3_u32 v13, v1, s11, 40
	v_cmp_gt_u32_e64 s[6:7], s8, v13
	s_and_b64 exec, exec, s[6:7]
	s_cbranch_execz .LBB149_68
; %bb.51:
	v_mul_lo_u32 v13, v13, s10
	s_and_saveexec_b64 s[14:15], vcc
	s_cbranch_execnz .LBB149_81
; %bb.52:
	s_or_b64 exec, exec, s[14:15]
	s_and_saveexec_b64 s[14:15], s[0:1]
	s_cbranch_execnz .LBB149_82
.LBB149_53:
	s_or_b64 exec, exec, s[14:15]
	s_and_saveexec_b64 s[14:15], s[2:3]
	s_cbranch_execnz .LBB149_83
.LBB149_54:
	s_or_b64 exec, exec, s[14:15]
	s_and_saveexec_b64 s[14:15], s[4:5]
	s_cbranch_execz .LBB149_56
.LBB149_55:
	v_add_u32_e32 v10, v13, v8
	v_mov_b32_e32 v11, 0
	v_lshlrev_b64 v[10:11], 1, v[10:11]
	s_waitcnt lgkmcnt(0)
	v_mov_b32_e32 v12, s13
	v_add_co_u32_e64 v10, s[6:7], s12, v10
	v_addc_co_u32_e64 v11, s[6:7], v12, v11, s[6:7]
	global_store_short_d16_hi v[10:11], v9, off
.LBB149_56:
	s_or_b64 exec, exec, s[14:15]
	v_add3_u32 v9, v1, s11, 48
	v_cmp_gt_u32_e64 s[6:7], s8, v9
	s_and_b64 exec, exec, s[6:7]
	s_cbranch_execz .LBB149_68
; %bb.57:
	v_mul_lo_u32 v9, v9, s10
	s_and_saveexec_b64 s[14:15], vcc
	s_cbranch_execnz .LBB149_84
; %bb.58:
	s_or_b64 exec, exec, s[14:15]
	s_and_saveexec_b64 s[14:15], s[0:1]
	s_cbranch_execnz .LBB149_85
.LBB149_59:
	s_or_b64 exec, exec, s[14:15]
	s_and_saveexec_b64 s[14:15], s[2:3]
	s_cbranch_execnz .LBB149_86
.LBB149_60:
	s_or_b64 exec, exec, s[14:15]
	s_and_saveexec_b64 s[14:15], s[4:5]
	s_cbranch_execz .LBB149_62
.LBB149_61:
	v_add_u32_e32 v9, v9, v8
	v_mov_b32_e32 v10, 0
	v_lshlrev_b64 v[9:10], 1, v[9:10]
	s_waitcnt lgkmcnt(0)
	v_mov_b32_e32 v11, s13
	v_add_co_u32_e64 v9, s[6:7], s12, v9
	v_addc_co_u32_e64 v10, s[6:7], v11, v10, s[6:7]
	global_store_short v[9:10], v2, off
.LBB149_62:
	s_or_b64 exec, exec, s[14:15]
	v_add3_u32 v1, v1, s11, 56
	v_cmp_gt_u32_e64 s[6:7], s8, v1
	s_and_b64 exec, exec, s[6:7]
	s_cbranch_execz .LBB149_68
; %bb.63:
	v_mul_lo_u32 v1, v1, s10
	s_and_saveexec_b64 s[6:7], vcc
	s_cbranch_execnz .LBB149_87
; %bb.64:
	s_or_b64 exec, exec, s[6:7]
	s_and_saveexec_b64 s[6:7], s[0:1]
	s_cbranch_execnz .LBB149_88
.LBB149_65:
	s_or_b64 exec, exec, s[6:7]
	s_and_saveexec_b64 s[0:1], s[2:3]
	s_cbranch_execnz .LBB149_89
.LBB149_66:
	s_or_b64 exec, exec, s[0:1]
	s_and_b64 exec, exec, s[4:5]
	s_cbranch_execz .LBB149_68
.LBB149_67:
	v_add_u32_e32 v0, v1, v8
	v_mov_b32_e32 v1, 0
	v_lshlrev_b64 v[0:1], 1, v[0:1]
	s_waitcnt lgkmcnt(0)
	v_mov_b32_e32 v3, s13
	v_add_co_u32_e32 v0, vcc, s12, v0
	v_addc_co_u32_e32 v1, vcc, v3, v1, vcc
	global_store_short_d16_hi v[0:1], v2, off
.LBB149_68:
	s_endpgm
.LBB149_69:
	v_add_u32_e32 v16, v15, v0
	v_mov_b32_e32 v17, 0
	v_lshlrev_b64 v[16:17], 1, v[16:17]
	s_waitcnt lgkmcnt(0)
	v_mov_b32_e32 v18, s13
	v_add_co_u32_e64 v16, s[6:7], s12, v16
	v_addc_co_u32_e64 v17, s[6:7], v18, v17, s[6:7]
	global_store_short_d16_hi v[16:17], v42, off
	s_or_b64 exec, exec, s[14:15]
	s_and_saveexec_b64 s[14:15], s[0:1]
	s_cbranch_execz .LBB149_29
.LBB149_70:
	v_add_u32_e32 v16, v15, v6
	v_mov_b32_e32 v17, 0
	v_lshlrev_b64 v[16:17], 1, v[16:17]
	s_waitcnt lgkmcnt(0)
	v_mov_b32_e32 v18, s13
	v_add_co_u32_e64 v16, s[6:7], s12, v16
	v_addc_co_u32_e64 v17, s[6:7], v18, v17, s[6:7]
	global_store_short_d16_hi v[16:17], v41, off
	s_or_b64 exec, exec, s[14:15]
	s_and_saveexec_b64 s[14:15], s[2:3]
	s_cbranch_execz .LBB149_30
.LBB149_71:
	v_add_u32_e32 v16, v15, v7
	v_mov_b32_e32 v17, 0
	v_lshlrev_b64 v[16:17], 1, v[16:17]
	s_waitcnt lgkmcnt(0)
	v_mov_b32_e32 v18, s13
	v_add_co_u32_e64 v16, s[6:7], s12, v16
	v_addc_co_u32_e64 v17, s[6:7], v18, v17, s[6:7]
	global_store_short_d16_hi v[16:17], v40, off
	s_or_b64 exec, exec, s[14:15]
	s_and_saveexec_b64 s[14:15], s[4:5]
	s_cbranch_execnz .LBB149_31
	s_branch .LBB149_32
.LBB149_72:
	v_add_u32_e32 v16, v15, v0
	v_mov_b32_e32 v17, 0
	v_lshlrev_b64 v[16:17], 1, v[16:17]
	s_waitcnt lgkmcnt(0)
	v_mov_b32_e32 v18, s13
	v_add_co_u32_e64 v16, s[6:7], s12, v16
	v_addc_co_u32_e64 v17, s[6:7], v18, v17, s[6:7]
	global_store_short v[16:17], v32, off
	s_or_b64 exec, exec, s[14:15]
	s_and_saveexec_b64 s[14:15], s[0:1]
	s_cbranch_execz .LBB149_35
.LBB149_73:
	v_add_u32_e32 v16, v15, v6
	v_mov_b32_e32 v17, 0
	v_lshlrev_b64 v[16:17], 1, v[16:17]
	s_waitcnt lgkmcnt(0)
	v_mov_b32_e32 v18, s13
	v_add_co_u32_e64 v16, s[6:7], s12, v16
	v_addc_co_u32_e64 v17, s[6:7], v18, v17, s[6:7]
	global_store_short v[16:17], v31, off
	s_or_b64 exec, exec, s[14:15]
	s_and_saveexec_b64 s[14:15], s[2:3]
	s_cbranch_execz .LBB149_36
.LBB149_74:
	v_add_u32_e32 v16, v15, v7
	v_mov_b32_e32 v17, 0
	v_lshlrev_b64 v[16:17], 1, v[16:17]
	s_waitcnt lgkmcnt(0)
	v_mov_b32_e32 v18, s13
	v_add_co_u32_e64 v16, s[6:7], s12, v16
	v_addc_co_u32_e64 v17, s[6:7], v18, v17, s[6:7]
	global_store_short v[16:17], v14, off
	s_or_b64 exec, exec, s[14:15]
	s_and_saveexec_b64 s[14:15], s[4:5]
	s_cbranch_execnz .LBB149_37
	s_branch .LBB149_38
.LBB149_75:
	v_add_u32_e32 v16, v15, v0
	v_mov_b32_e32 v17, 0
	v_lshlrev_b64 v[16:17], 1, v[16:17]
	s_waitcnt lgkmcnt(0)
	v_mov_b32_e32 v18, s13
	v_add_co_u32_e64 v16, s[6:7], s12, v16
	v_addc_co_u32_e64 v17, s[6:7], v18, v17, s[6:7]
	global_store_short_d16_hi v[16:17], v32, off
	s_or_b64 exec, exec, s[14:15]
	s_and_saveexec_b64 s[14:15], s[0:1]
	s_cbranch_execz .LBB149_41
.LBB149_76:
	v_add_u32_e32 v16, v15, v6
	v_mov_b32_e32 v17, 0
	v_lshlrev_b64 v[16:17], 1, v[16:17]
	s_waitcnt lgkmcnt(0)
	v_mov_b32_e32 v18, s13
	v_add_co_u32_e64 v16, s[6:7], s12, v16
	v_addc_co_u32_e64 v17, s[6:7], v18, v17, s[6:7]
	global_store_short_d16_hi v[16:17], v31, off
	s_or_b64 exec, exec, s[14:15]
	s_and_saveexec_b64 s[14:15], s[2:3]
	s_cbranch_execz .LBB149_42
.LBB149_77:
	v_add_u32_e32 v16, v15, v7
	v_mov_b32_e32 v17, 0
	v_lshlrev_b64 v[16:17], 1, v[16:17]
	s_waitcnt lgkmcnt(0)
	v_mov_b32_e32 v18, s13
	v_add_co_u32_e64 v16, s[6:7], s12, v16
	v_addc_co_u32_e64 v17, s[6:7], v18, v17, s[6:7]
	global_store_short_d16_hi v[16:17], v14, off
	s_or_b64 exec, exec, s[14:15]
	s_and_saveexec_b64 s[14:15], s[4:5]
	s_cbranch_execnz .LBB149_43
	s_branch .LBB149_44
.LBB149_78:
	v_add_u32_e32 v14, v13, v0
	v_mov_b32_e32 v15, 0
	v_lshlrev_b64 v[14:15], 1, v[14:15]
	s_waitcnt lgkmcnt(0)
	v_mov_b32_e32 v16, s13
	v_add_co_u32_e64 v14, s[6:7], s12, v14
	v_addc_co_u32_e64 v15, s[6:7], v16, v15, s[6:7]
	global_store_short v[14:15], v12, off
	s_or_b64 exec, exec, s[14:15]
	s_and_saveexec_b64 s[14:15], s[0:1]
	s_cbranch_execz .LBB149_47
.LBB149_79:
	v_add_u32_e32 v14, v13, v6
	v_mov_b32_e32 v15, 0
	v_lshlrev_b64 v[14:15], 1, v[14:15]
	s_waitcnt lgkmcnt(0)
	v_mov_b32_e32 v16, s13
	v_add_co_u32_e64 v14, s[6:7], s12, v14
	v_addc_co_u32_e64 v15, s[6:7], v16, v15, s[6:7]
	global_store_short v[14:15], v11, off
	s_or_b64 exec, exec, s[14:15]
	s_and_saveexec_b64 s[14:15], s[2:3]
	s_cbranch_execz .LBB149_48
.LBB149_80:
	v_add_u32_e32 v14, v13, v7
	v_mov_b32_e32 v15, 0
	v_lshlrev_b64 v[14:15], 1, v[14:15]
	s_waitcnt lgkmcnt(0)
	v_mov_b32_e32 v16, s13
	v_add_co_u32_e64 v14, s[6:7], s12, v14
	v_addc_co_u32_e64 v15, s[6:7], v16, v15, s[6:7]
	global_store_short v[14:15], v10, off
	s_or_b64 exec, exec, s[14:15]
	s_and_saveexec_b64 s[14:15], s[4:5]
	s_cbranch_execnz .LBB149_49
	s_branch .LBB149_50
.LBB149_81:
	v_add_u32_e32 v14, v13, v0
	v_mov_b32_e32 v15, 0
	v_lshlrev_b64 v[14:15], 1, v[14:15]
	s_waitcnt lgkmcnt(0)
	v_mov_b32_e32 v16, s13
	v_add_co_u32_e64 v14, s[6:7], s12, v14
	v_addc_co_u32_e64 v15, s[6:7], v16, v15, s[6:7]
	global_store_short_d16_hi v[14:15], v12, off
	s_or_b64 exec, exec, s[14:15]
	s_and_saveexec_b64 s[14:15], s[0:1]
	s_cbranch_execz .LBB149_53
.LBB149_82:
	v_add_u32_e32 v14, v13, v6
	v_mov_b32_e32 v15, 0
	v_lshlrev_b64 v[14:15], 1, v[14:15]
	s_waitcnt lgkmcnt(0)
	v_mov_b32_e32 v12, s13
	v_add_co_u32_e64 v14, s[6:7], s12, v14
	v_addc_co_u32_e64 v15, s[6:7], v12, v15, s[6:7]
	global_store_short_d16_hi v[14:15], v11, off
	s_or_b64 exec, exec, s[14:15]
	s_and_saveexec_b64 s[14:15], s[2:3]
	s_cbranch_execz .LBB149_54
.LBB149_83:
	v_add_u32_e32 v11, v13, v7
	v_mov_b32_e32 v12, 0
	v_lshlrev_b64 v[11:12], 1, v[11:12]
	s_waitcnt lgkmcnt(0)
	v_mov_b32_e32 v14, s13
	v_add_co_u32_e64 v11, s[6:7], s12, v11
	v_addc_co_u32_e64 v12, s[6:7], v14, v12, s[6:7]
	global_store_short_d16_hi v[11:12], v10, off
	s_or_b64 exec, exec, s[14:15]
	s_and_saveexec_b64 s[14:15], s[4:5]
	s_cbranch_execnz .LBB149_55
	s_branch .LBB149_56
.LBB149_84:
	v_add_u32_e32 v10, v9, v0
	v_mov_b32_e32 v11, 0
	v_lshlrev_b64 v[10:11], 1, v[10:11]
	s_waitcnt lgkmcnt(0)
	v_mov_b32_e32 v12, s13
	v_add_co_u32_e64 v10, s[6:7], s12, v10
	v_addc_co_u32_e64 v11, s[6:7], v12, v11, s[6:7]
	global_store_short v[10:11], v5, off
	s_or_b64 exec, exec, s[14:15]
	s_and_saveexec_b64 s[14:15], s[0:1]
	s_cbranch_execz .LBB149_59
.LBB149_85:
	v_add_u32_e32 v10, v9, v6
	v_mov_b32_e32 v11, 0
	v_lshlrev_b64 v[10:11], 1, v[10:11]
	s_waitcnt lgkmcnt(0)
	v_mov_b32_e32 v12, s13
	v_add_co_u32_e64 v10, s[6:7], s12, v10
	v_addc_co_u32_e64 v11, s[6:7], v12, v11, s[6:7]
	global_store_short v[10:11], v4, off
	s_or_b64 exec, exec, s[14:15]
	s_and_saveexec_b64 s[14:15], s[2:3]
	s_cbranch_execz .LBB149_60
.LBB149_86:
	v_add_u32_e32 v10, v9, v7
	v_mov_b32_e32 v11, 0
	v_lshlrev_b64 v[10:11], 1, v[10:11]
	s_waitcnt lgkmcnt(0)
	v_mov_b32_e32 v12, s13
	v_add_co_u32_e64 v10, s[6:7], s12, v10
	v_addc_co_u32_e64 v11, s[6:7], v12, v11, s[6:7]
	global_store_short v[10:11], v3, off
	s_or_b64 exec, exec, s[14:15]
	s_and_saveexec_b64 s[14:15], s[4:5]
	s_cbranch_execnz .LBB149_61
	s_branch .LBB149_62
.LBB149_87:
	v_add_u32_e32 v9, v1, v0
	v_mov_b32_e32 v10, 0
	v_lshlrev_b64 v[9:10], 1, v[9:10]
	s_waitcnt lgkmcnt(0)
	v_mov_b32_e32 v0, s13
	v_add_co_u32_e32 v9, vcc, s12, v9
	v_addc_co_u32_e32 v10, vcc, v0, v10, vcc
	global_store_short_d16_hi v[9:10], v5, off
	s_or_b64 exec, exec, s[6:7]
	s_and_saveexec_b64 s[6:7], s[0:1]
	s_cbranch_execz .LBB149_65
.LBB149_88:
	v_add_u32_e32 v5, v1, v6
	v_mov_b32_e32 v6, 0
	v_lshlrev_b64 v[5:6], 1, v[5:6]
	s_waitcnt lgkmcnt(0)
	v_mov_b32_e32 v0, s13
	v_add_co_u32_e32 v5, vcc, s12, v5
	v_addc_co_u32_e32 v6, vcc, v0, v6, vcc
	global_store_short_d16_hi v[5:6], v4, off
	s_or_b64 exec, exec, s[6:7]
	s_and_saveexec_b64 s[0:1], s[2:3]
	s_cbranch_execz .LBB149_66
.LBB149_89:
	v_add_u32_e32 v4, v1, v7
	v_mov_b32_e32 v5, 0
	v_lshlrev_b64 v[4:5], 1, v[4:5]
	s_waitcnt lgkmcnt(0)
	v_mov_b32_e32 v0, s13
	v_add_co_u32_e32 v4, vcc, s12, v4
	v_addc_co_u32_e32 v5, vcc, v0, v5, vcc
	global_store_short_d16_hi v[4:5], v3, off
	s_or_b64 exec, exec, s[0:1]
	s_and_b64 exec, exec, s[4:5]
	s_cbranch_execnz .LBB149_67
	s_branch .LBB149_68
	.section	.rodata,"a",@progbits
	.p2align	6, 0x0
	.amdhsa_kernel _ZL12mul_mat_q3_KIN3c104HalfELb0EEvPKvS3_PT_iiiii
		.amdhsa_group_segment_fixed_size 39840
		.amdhsa_private_segment_fixed_size 0
		.amdhsa_kernarg_size 44
		.amdhsa_user_sgpr_count 6
		.amdhsa_user_sgpr_private_segment_buffer 1
		.amdhsa_user_sgpr_dispatch_ptr 0
		.amdhsa_user_sgpr_queue_ptr 0
		.amdhsa_user_sgpr_kernarg_segment_ptr 1
		.amdhsa_user_sgpr_dispatch_id 0
		.amdhsa_user_sgpr_flat_scratch_init 0
		.amdhsa_user_sgpr_private_segment_size 0
		.amdhsa_uses_dynamic_stack 0
		.amdhsa_system_sgpr_private_segment_wavefront_offset 0
		.amdhsa_system_sgpr_workgroup_id_x 1
		.amdhsa_system_sgpr_workgroup_id_y 1
		.amdhsa_system_sgpr_workgroup_id_z 0
		.amdhsa_system_sgpr_workgroup_info 0
		.amdhsa_system_vgpr_workitem_id 1
		.amdhsa_next_free_vgpr 225
		.amdhsa_next_free_sgpr 98
		.amdhsa_reserve_vcc 1
		.amdhsa_reserve_flat_scratch 0
		.amdhsa_float_round_mode_32 0
		.amdhsa_float_round_mode_16_64 0
		.amdhsa_float_denorm_mode_32 3
		.amdhsa_float_denorm_mode_16_64 3
		.amdhsa_dx10_clamp 1
		.amdhsa_ieee_mode 1
		.amdhsa_fp16_overflow 0
		.amdhsa_exception_fp_ieee_invalid_op 0
		.amdhsa_exception_fp_denorm_src 0
		.amdhsa_exception_fp_ieee_div_zero 0
		.amdhsa_exception_fp_ieee_overflow 0
		.amdhsa_exception_fp_ieee_underflow 0
		.amdhsa_exception_fp_ieee_inexact 0
		.amdhsa_exception_int_div_zero 0
	.end_amdhsa_kernel
	.section	.text._ZL12mul_mat_q3_KIN3c104HalfELb0EEvPKvS3_PT_iiiii,"axG",@progbits,_ZL12mul_mat_q3_KIN3c104HalfELb0EEvPKvS3_PT_iiiii,comdat
.Lfunc_end149:
	.size	_ZL12mul_mat_q3_KIN3c104HalfELb0EEvPKvS3_PT_iiiii, .Lfunc_end149-_ZL12mul_mat_q3_KIN3c104HalfELb0EEvPKvS3_PT_iiiii
                                        ; -- End function
	.set _ZL12mul_mat_q3_KIN3c104HalfELb0EEvPKvS3_PT_iiiii.num_vgpr, 225
	.set _ZL12mul_mat_q3_KIN3c104HalfELb0EEvPKvS3_PT_iiiii.num_agpr, 0
	.set _ZL12mul_mat_q3_KIN3c104HalfELb0EEvPKvS3_PT_iiiii.numbered_sgpr, 25
	.set _ZL12mul_mat_q3_KIN3c104HalfELb0EEvPKvS3_PT_iiiii.num_named_barrier, 0
	.set _ZL12mul_mat_q3_KIN3c104HalfELb0EEvPKvS3_PT_iiiii.private_seg_size, 0
	.set _ZL12mul_mat_q3_KIN3c104HalfELb0EEvPKvS3_PT_iiiii.uses_vcc, 1
	.set _ZL12mul_mat_q3_KIN3c104HalfELb0EEvPKvS3_PT_iiiii.uses_flat_scratch, 0
	.set _ZL12mul_mat_q3_KIN3c104HalfELb0EEvPKvS3_PT_iiiii.has_dyn_sized_stack, 0
	.set _ZL12mul_mat_q3_KIN3c104HalfELb0EEvPKvS3_PT_iiiii.has_recursion, 0
	.set _ZL12mul_mat_q3_KIN3c104HalfELb0EEvPKvS3_PT_iiiii.has_indirect_call, 0
	.section	.AMDGPU.csdata,"",@progbits
; Kernel info:
; codeLenInByte = 34896
; TotalNumSgprs: 29
; NumVgprs: 225
; ScratchSize: 0
; MemoryBound: 0
; FloatMode: 240
; IeeeMode: 1
; LDSByteSize: 39840 bytes/workgroup (compile time only)
; SGPRBlocks: 12
; VGPRBlocks: 56
; NumSGPRsForWavesPerEU: 102
; NumVGPRsForWavesPerEU: 225
; Occupancy: 1
; WaveLimiterHint : 0
; COMPUTE_PGM_RSRC2:SCRATCH_EN: 0
; COMPUTE_PGM_RSRC2:USER_SGPR: 6
; COMPUTE_PGM_RSRC2:TRAP_HANDLER: 0
; COMPUTE_PGM_RSRC2:TGID_X_EN: 1
; COMPUTE_PGM_RSRC2:TGID_Y_EN: 1
; COMPUTE_PGM_RSRC2:TGID_Z_EN: 0
; COMPUTE_PGM_RSRC2:TIDIG_COMP_CNT: 1
	.section	.text._ZL12mul_mat_q3_KIN3c104HalfELb1EEvPKvS3_PT_iiiii,"axG",@progbits,_ZL12mul_mat_q3_KIN3c104HalfELb1EEvPKvS3_PT_iiiii,comdat
	.globl	_ZL12mul_mat_q3_KIN3c104HalfELb1EEvPKvS3_PT_iiiii ; -- Begin function _ZL12mul_mat_q3_KIN3c104HalfELb1EEvPKvS3_PT_iiiii
	.p2align	8
	.type	_ZL12mul_mat_q3_KIN3c104HalfELb1EEvPKvS3_PT_iiiii,@function
_ZL12mul_mat_q3_KIN3c104HalfELb1EEvPKvS3_PT_iiiii: ; @_ZL12mul_mat_q3_KIN3c104HalfELb1EEvPKvS3_PT_iiiii
; %bb.0:
	s_load_dwordx4 s[8:11], s[4:5], 0x18
	s_load_dword s14, s[4:5], 0x28
	s_lshl_b32 s15, s7, 6
	v_add_u32_e32 v66, s15, v1
	s_waitcnt lgkmcnt(0)
	s_cmpk_gt_i32 s8, 0xff
	s_cbranch_scc1 .LBB150_2
; %bb.1:
	v_add_u32_e32 v6, s15, v1
	s_mov_b64 s[0:1], 0
	s_branch .LBB150_3
.LBB150_2:
	s_mov_b64 s[0:1], -1
                                        ; implicit-def: $vgpr6
.LBB150_3:
	s_load_dwordx2 s[12:13], s[4:5], 0x10
	s_lshl_b32 s6, s6, 7
	s_mov_b32 s7, 0
	v_mov_b32_e32 v2, 0
	s_andn2_b64 vcc, exec, s[0:1]
	v_mov_b32_e32 v9, 0
	v_mov_b32_e32 v13, 0
	;; [unrolled: 1-line block ×15, first 2 shown]
	s_cbranch_vccnz .LBB150_17
; %bb.4:
	s_load_dwordx4 s[0:3], s[4:5], 0x0
	s_ashr_i32 s4, s8, 31
	s_lshr_b32 s4, s4, 24
	s_add_i32 s4, s8, s4
	s_ashr_i32 s5, s11, 31
	s_ashr_i32 s4, s4, 8
	s_lshr_b32 s5, s5, 27
	s_add_i32 s5, s11, s5
	s_mul_i32 s11, s4, s6
	s_ashr_i32 s8, s5, 5
	s_mul_hi_i32 s16, s11, 0x6e
	s_mulk_i32 s11, 0x6e
	s_waitcnt lgkmcnt(0)
	s_add_u32 s0, s0, s11
	s_addc_u32 s1, s1, s16
	s_not_b32 s11, s6
	s_add_i32 s9, s9, s11
	v_and_b32_e32 v3, 15, v0
	v_min_i32_e32 v4, s9, v1
	v_lshlrev_b32_e32 v2, 2, v0
	s_movk_i32 s11, 0x84
	v_add_u32_e32 v11, 8, v1
	v_mul_lo_u32 v69, v4, s4
	v_mad_u64_u32 v[12:13], s[16:17], v4, s11, v[2:3]
	v_min_i32_e32 v4, s9, v11
	v_add_u32_e32 v32, 16, v1
	v_mul_lo_u32 v70, v4, s4
	v_mad_u64_u32 v[13:14], s[16:17], v4, s11, v[2:3]
	v_min_i32_e32 v4, s9, v32
	;; [unrolled: 4-line block ×7, first 2 shown]
	v_mul_lo_u32 v76, v4, s4
	v_mad_u64_u32 v[19:20], s[16:17], v4, s11, v[2:3]
	v_add_u32_e32 v4, 64, v1
	v_min_i32_e32 v4, s9, v4
	v_mul_lo_u32 v77, v4, s4
	v_mad_u64_u32 v[20:21], s[16:17], v4, s11, v[2:3]
	v_add_u32_e32 v4, 0x48, v1
	v_min_i32_e32 v4, s9, v4
	;; [unrolled: 4-line block ×8, first 2 shown]
	v_lshlrev_b32_e32 v38, 4, v1
	v_lshrrev_b32_e32 v86, 1, v0
	v_mul_lo_u32 v84, v4, s4
	v_mad_u64_u32 v[27:28], s[16:17], v4, s11, v[2:3]
	v_add_u32_e32 v4, v86, v38
	v_and_b32_e32 v4, 0x7f, v4
	v_min_i32_e32 v4, s9, v4
	v_ashrrev_i32_e32 v5, 31, v4
	v_lshrrev_b32_e32 v5, 28, v5
	v_add_u32_e32 v5, v4, v5
	v_lshrrev_b32_e32 v67, 4, v0
	v_and_b32_e32 v85, 1, v0
	v_ashrrev_i32_e32 v5, 4, v5
	v_mul_lo_u32 v87, v4, s4
	v_lshlrev_b32_e32 v5, 2, v5
	v_lshlrev_b32_e32 v6, 2, v85
	s_mov_b32 s11, 0x9380
	v_lshlrev_b32_e32 v40, 3, v4
	v_lshl_add_u32 v4, v1, 1, v67
	v_add3_u32 v39, v5, v6, s11
	v_min_i32_e32 v5, s9, v4
	v_lshrrev_b32_e32 v6, 31, v5
	v_mul_lo_u32 v90, v5, s4
	v_add_lshl_u32 v6, v5, v6, 1
	v_lshlrev_b32_e32 v42, 6, v5
	v_add_u32_e32 v5, 16, v4
	v_lshlrev_b32_e32 v68, 2, v3
	v_and_b32_e32 v6, -4, v6
	s_movk_i32 s11, 0x4200
	v_min_i32_e32 v5, s9, v5
	v_add3_u32 v41, v6, v68, s11
	v_lshrrev_b32_e32 v6, 31, v5
	v_mul_lo_u32 v91, v5, s4
	v_add_lshl_u32 v6, v5, v6, 1
	v_lshlrev_b32_e32 v44, 6, v5
	v_add_u32_e32 v5, 32, v4
	v_and_b32_e32 v6, -4, v6
	v_min_i32_e32 v5, s9, v5
	v_add3_u32 v43, v6, v68, s11
	v_lshrrev_b32_e32 v6, 31, v5
	v_mul_lo_u32 v92, v5, s4
	v_add_lshl_u32 v6, v5, v6, 1
	v_lshlrev_b32_e32 v46, 6, v5
	v_add_u32_e32 v5, 48, v4
	v_and_b32_e32 v6, -4, v6
	;; [unrolled: 8-line block ×5, first 2 shown]
	v_min_i32_e32 v5, s9, v5
	v_add_u32_e32 v4, 0x70, v4
	v_add3_u32 v51, v6, v68, s11
	v_lshrrev_b32_e32 v6, 31, v5
	v_min_i32_e32 v4, s9, v4
	v_mul_lo_u32 v96, v5, s4
	v_add_lshl_u32 v6, v5, v6, 1
	v_lshlrev_b32_e32 v54, 6, v5
	v_lshrrev_b32_e32 v5, 31, v4
	v_cmp_lt_u32_e32 vcc, 7, v3
	v_and_b32_e32 v3, 7, v0
	v_add_lshl_u32 v5, v4, v5, 1
	v_cndmask_b32_e64 v88, 0, 1, vcc
	v_lshlrev_b32_e32 v89, 2, v3
	v_and_b32_e32 v5, -4, v5
	v_cmp_lt_u32_e32 vcc, 3, v3
	v_and_b32_e32 v3, 3, v0
	v_and_b32_e32 v6, -4, v6
	v_add3_u32 v55, v5, v68, s11
	v_lshrrev_b32_e32 v98, 3, v0
	v_cndmask_b32_e64 v99, 0, 1, vcc
	v_add_u16_e32 v5, -2, v3
	v_cmp_gt_u32_e32 vcc, 2, v3
	v_add3_u32 v53, v6, v68, s11
	v_mul_lo_u32 v97, v4, s4
	v_lshlrev_b32_e32 v56, 6, v4
	v_lshl_add_u32 v4, v1, 2, v98
	v_cndmask_b32_e32 v5, v5, v3, vcc
	v_mov_b32_e32 v6, 2
	v_lshlrev_b32_sdwa v102, v6, v5 dst_sel:DWORD dst_unused:UNUSED_PAD src0_sel:DWORD src1_sel:BYTE_0
	v_min_i32_e32 v5, s9, v4
	v_ashrrev_i32_e32 v6, 31, v5
	v_lshrrev_b32_e32 v6, 30, v6
	v_mul_lo_u32 v104, v5, s4
	v_add_u32_e32 v6, v5, v6
	v_lshlrev_b32_e32 v58, 5, v5
	v_add_u32_e32 v5, 32, v4
	v_and_b32_e32 v6, -4, v6
	s_mov_b32 s11, 0x8300
	v_min_i32_e32 v5, s9, v5
	v_add3_u32 v57, v6, v89, s11
	v_ashrrev_i32_e32 v6, 31, v5
	v_lshrrev_b32_e32 v6, 30, v6
	v_mul_lo_u32 v105, v5, s4
	v_add_u32_e32 v6, v5, v6
	v_lshlrev_b32_e32 v60, 5, v5
	v_add_u32_e32 v5, 64, v4
	v_and_b32_e32 v6, -4, v6
	v_min_i32_e32 v5, s9, v5
	v_add3_u32 v59, v6, v89, s11
	v_ashrrev_i32_e32 v6, 31, v5
	v_add_u32_e32 v4, 0x60, v4
	v_lshrrev_b32_e32 v6, 30, v6
	v_min_i32_e32 v4, s9, v4
	v_mul_lo_u32 v106, v5, s4
	v_add_u32_e32 v6, v5, v6
	v_lshlrev_b32_e32 v62, 5, v5
	v_ashrrev_i32_e32 v5, 31, v4
	v_lshrrev_b32_e32 v5, 30, v5
	v_add_u32_e32 v5, v4, v5
	v_and_b32_e32 v6, -4, v6
	v_and_b32_e32 v5, -4, v5
	s_add_i32 s9, s10, -1
	v_add_u32_e32 v8, 8, v66
	v_add3_u32 v61, v6, v89, s11
	v_mul_lo_u32 v107, v4, s4
	v_add3_u32 v63, v5, v89, s11
	v_lshlrev_b32_e32 v64, 5, v4
	v_cvt_f64_i32_e32 v[4:5], s9
	v_and_b32_e32 v6, 31, v0
	v_and_b32_e32 v65, 28, v2
	v_mov_b32_e32 v2, 0x6300
	v_cvt_f64_u32_e32 v[8:9], v8
	v_add_u32_e32 v28, 16, v66
	v_lshl_or_b32 v108, v6, 2, v2
	v_lshrrev_b32_e32 v2, 2, v0
	v_cvt_f64_u32_e32 v[28:29], v28
	v_lshl_add_u32 v2, v1, 3, v2
	v_and_b32_e32 v2, 63, v2
	v_or_b32_e32 v30, s15, v2
	v_min_f64 v[8:9], v[8:9], v[4:5]
	v_min_i32_e32 v109, s9, v30
	v_min_f64 v[30:31], v[28:29], v[4:5]
	v_cvt_f64_u32_e32 v[6:7], v66
	v_lshlrev_b32_e32 v103, 1, v3
	v_mad_u64_u32 v[28:29], s[16:17], v109, s8, v[3:4]
	v_lshlrev_b32_e32 v3, 2, v3
	v_lshl_or_b32 v2, v2, 4, v3
	v_min_f64 v[6:7], v[6:7], v[4:5]
	v_add_u32_e32 v109, 0x97a0, v2
	v_cvt_i32_f64_e32 v2, v[8:9]
	v_cvt_i32_f64_e32 v3, v[30:31]
	v_add_u32_e32 v8, 40, v66
	v_lshlrev_b32_e32 v154, 7, v11
	v_mul_lo_u32 v112, s8, v2
	v_add_u32_e32 v2, 24, v66
	v_mul_lo_u32 v113, s8, v3
	v_cvt_f64_u32_e32 v[2:3], v2
	v_cvt_i32_f64_e32 v6, v[6:7]
	v_cvt_f64_u32_e32 v[8:9], v8
	v_add_u32_e32 v11, 48, v66
	v_min_f64 v[2:3], v[2:3], v[4:5]
	v_mul_lo_u32 v110, s8, v6
	v_add_u32_e32 v6, 32, v66
	v_cvt_f64_u32_e32 v[29:30], v11
	v_add_u32_e32 v11, 56, v66
	v_cvt_f64_u32_e32 v[6:7], v6
	v_lshlrev_b32_e32 v155, 7, v32
	v_cvt_f64_u32_e32 v[31:32], v11
	v_min_f64 v[8:9], v[8:9], v[4:5]
	v_min_f64 v[6:7], v[6:7], v[4:5]
	v_cvt_i32_f64_e32 v11, v[2:3]
	v_min_f64 v[2:3], v[29:30], v[4:5]
	v_min_f64 v[4:5], v[31:32], v[4:5]
	v_mov_b32_e32 v10, 0
	v_mul_lo_u32 v114, s8, v11
	v_add_u32_e32 v11, 64, v0
	v_cvt_i32_f64_e32 v8, v[8:9]
	v_cvt_i32_f64_e32 v6, v[6:7]
	v_lshlrev_b32_e32 v7, 7, v33
	v_cvt_i32_f64_e32 v2, v[2:3]
	v_cvt_i32_f64_e32 v3, v[4:5]
	v_mul_lo_u32 v116, s8, v8
	v_add_u32_e32 v8, 32, v0
	v_lshlrev_b32_e32 v5, 5, v0
	v_lshrrev_b32_e32 v9, 1, v8
	v_lshrrev_b32_e32 v31, 4, v8
	v_lshlrev_b32_e32 v121, 6, v8
	v_lshlrev_b32_e32 v122, 3, v8
	v_lshrrev_b32_e32 v127, 3, v8
	v_and_b32_e32 v8, 0x1fc, v8
	v_mul_lo_u32 v115, s8, v6
	v_lshlrev_b32_e32 v6, 7, v34
	v_mul_lo_u32 v117, s8, v2
	v_mul_lo_u32 v118, s8, v3
	v_add_u32_e32 v34, 0x60, v0
	v_add_u32_e32 v132, v5, v8
	v_and_b32_e32 v8, 0x1fc, v11
	v_lshlrev_b32_e32 v4, 7, v35
	v_lshlrev_b32_e32 v2, 7, v36
	v_lshlrev_b32_e32 v3, 7, v37
	v_lshrrev_b32_e32 v32, 1, v11
	v_lshrrev_b32_e32 v33, 4, v11
	v_lshrrev_b32_e32 v35, 1, v34
	v_lshrrev_b32_e32 v36, 4, v34
	v_lshlrev_b32_e32 v123, 6, v11
	v_lshlrev_b32_e32 v124, 3, v11
	v_lshrrev_b32_e32 v128, 3, v11
	v_and_b32_e32 v37, 0xfc, v0
	v_add_u32_e32 v134, v5, v8
	v_and_b32_e32 v8, 0x1fc, v34
	v_mov_b32_e32 v11, v10
	v_lshlrev_b32_e32 v100, 1, v0
	v_lshlrev_b32_e32 v111, 7, v1
	v_lshlrev_b32_e32 v125, 6, v34
	v_lshlrev_b32_e32 v126, 3, v34
	v_lshrrev_b32_e32 v129, 3, v34
	v_mov_b32_e32 v30, s3
	v_add_co_u32_e32 v29, vcc, s2, v65
	v_add_u32_e32 v130, v5, v37
	v_add_u32_e32 v136, v5, v8
	;; [unrolled: 1-line block ×14, first 2 shown]
	v_lshlrev_b32_e32 v162, 2, v31
	v_lshlrev_b32_e32 v163, 2, v32
	;; [unrolled: 1-line block ×5, first 2 shown]
	v_mov_b32_e32 v48, v11
	v_mov_b32_e32 v40, v11
	v_mov_b32_e32 v32, v11
	v_mov_b32_e32 v56, v11
	v_mov_b32_e32 v50, v11
	v_mov_b32_e32 v42, v11
	v_mov_b32_e32 v34, v11
	v_mov_b32_e32 v58, v11
	v_mov_b32_e32 v52, v11
	v_mov_b32_e32 v44, v11
	v_mov_b32_e32 v36, v11
	v_mov_b32_e32 v60, v11
	v_mov_b32_e32 v54, v11
	v_mov_b32_e32 v46, v11
	v_mov_b32_e32 v38, v11
	s_movk_i32 s5, 0x6e
	v_and_b32_e32 v101, 4, v100
	v_mul_u32_u24_e32 v119, 0x84, v0
	v_lshlrev_b32_e32 v120, 6, v0
	v_addc_co_u32_e32 v30, vcc, 0, v30, vcc
	v_add_u32_e32 v131, 0x8300, v130
	v_add_u32_e32 v133, 0x8700, v132
	;; [unrolled: 1-line block ×5, first 2 shown]
	s_mov_b32 s8, 0x30303030
	s_movk_i32 s9, 0x3f00
	s_movk_i32 s11, 0xe000
	v_add_u32_e32 v151, v61, v62
	v_add_u32_e32 v152, v63, v64
	v_mov_b32_e32 v153, 8
	v_add_u32_e32 v154, v108, v154
	v_add_u32_e32 v155, v108, v155
	;; [unrolled: 1-line block ×7, first 2 shown]
	v_lshlrev_b32_e32 v161, 2, v9
	v_mov_b32_e32 v47, v10
	v_mov_b32_e32 v39, v10
	;; [unrolled: 1-line block ×15, first 2 shown]
	s_branch .LBB150_6
.LBB150_5:                              ;   in Loop: Header=BB150_6 Depth=1
	s_add_i32 s7, s7, 2
	s_cmp_ge_i32 s7, s4
	s_cbranch_scc1 .LBB150_16
.LBB150_6:                              ; =>This Loop Header: Depth=1
                                        ;     Child Loop BB150_7 Depth 2
                                        ;     Child Loop BB150_9 Depth 2
	;; [unrolled: 1-line block ×4, first 2 shown]
	s_mul_i32 s16, s7, 0x6e
	s_mul_hi_u32 s17, s7, 0x6e
	s_add_u32 s16, s0, s16
	s_addc_u32 s17, s1, s17
	v_mov_b32_e32 v2, s16
	v_mov_b32_e32 v3, s17
	v_mad_u64_u32 v[4:5], s[16:17], v67, s5, v[2:3]
	s_mov_b32 s20, -2
	v_mad_i64_i32 v[6:7], s[16:17], v69, s5, v[4:5]
	v_mad_i64_i32 v[8:9], s[16:17], v70, s5, v[4:5]
	v_add_co_u32_e32 v6, vcc, v6, v68
	v_mad_i64_i32 v[61:62], s[16:17], v71, s5, v[4:5]
	v_addc_co_u32_e32 v7, vcc, 0, v7, vcc
	v_add_co_u32_e32 v8, vcc, v8, v68
	v_mad_i64_i32 v[63:64], s[16:17], v72, s5, v[4:5]
	v_addc_co_u32_e32 v9, vcc, 0, v9, vcc
	;; [unrolled: 3-line block ×6, first 2 shown]
	v_add_co_u32_e32 v171, vcc, v171, v68
	v_addc_co_u32_e32 v172, vcc, 0, v172, vcc
	v_mad_i64_i32 v[175:176], s[16:17], v77, s5, v[4:5]
	v_add_co_u32_e32 v173, vcc, v173, v68
	v_addc_co_u32_e32 v174, vcc, 0, v174, vcc
	global_load_dword v65, v[6:7], off offset:32
	global_load_dword v177, v[8:9], off offset:32
	;; [unrolled: 1-line block ×8, first 2 shown]
	v_mad_i64_i32 v[8:9], s[16:17], v78, s5, v[4:5]
	v_add_co_u32_e32 v6, vcc, v175, v68
	v_mad_i64_i32 v[61:62], s[16:17], v79, s5, v[4:5]
	v_addc_co_u32_e32 v7, vcc, 0, v176, vcc
	v_add_co_u32_e32 v8, vcc, v8, v68
	v_mad_i64_i32 v[63:64], s[16:17], v80, s5, v[4:5]
	v_addc_co_u32_e32 v9, vcc, 0, v9, vcc
	;; [unrolled: 3-line block ×6, first 2 shown]
	v_mad_i64_i32 v[173:174], s[16:17], v87, s5, v[2:3]
	v_add_co_u32_e32 v171, vcc, v171, v68
	v_mad_u64_u32 v[175:176], s[16:17], v88, s5, v[2:3]
	v_addc_co_u32_e32 v172, vcc, 0, v172, vcc
	v_add_co_u32_e32 v4, vcc, v4, v68
	v_addc_co_u32_e32 v5, vcc, 0, v5, vcc
	v_mad_u64_u32 v[173:174], s[16:17], v85, s5, v[173:174]
	global_load_dword v184, v[6:7], off offset:32
	global_load_dword v185, v[8:9], off offset:32
	;; [unrolled: 1-line block ×6, first 2 shown]
	s_nop 0
	global_load_dword v171, v[171:172], off offset:32
	s_nop 0
	global_load_dword v172, v[4:5], off offset:32
	s_nop 0
	global_load_ushort v173, v[173:174], off offset:108
	v_add_co_u32_e32 v4, vcc, v175, v89
	v_addc_co_u32_e32 v5, vcc, 0, v176, vcc
	v_mad_i64_i32 v[6:7], s[16:17], v90, s5, v[4:5]
	v_mad_i64_i32 v[8:9], s[16:17], v91, s5, v[4:5]
	;; [unrolled: 1-line block ×4, first 2 shown]
	global_load_dword v174, v[6:7], off
	global_load_dword v175, v[8:9], off
	;; [unrolled: 1-line block ×4, first 2 shown]
	v_mad_i64_i32 v[6:7], s[16:17], v94, s5, v[4:5]
	v_mad_i64_i32 v[8:9], s[16:17], v95, s5, v[4:5]
	;; [unrolled: 1-line block ×3, first 2 shown]
	global_load_dword v191, v[6:7], off
	global_load_dword v192, v[8:9], off
	;; [unrolled: 1-line block ×3, first 2 shown]
	v_mad_u64_u32 v[2:3], s[16:17], v99, s5, v[2:3]
	v_mad_i64_i32 v[4:5], s[16:17], v97, s5, v[4:5]
	v_mad_i64_i32 v[6:7], s[16:17], v104, s5, v[2:3]
	;; [unrolled: 1-line block ×3, first 2 shown]
	v_add_co_u32_e32 v8, vcc, v6, v102
	v_mad_i64_i32 v[63:64], s[16:17], v106, s5, v[2:3]
	v_addc_co_u32_e32 v9, vcc, 0, v7, vcc
	v_add_co_u32_e32 v167, vcc, v61, v102
	v_addc_co_u32_e32 v168, vcc, 0, v62, vcc
	v_add_co_u32_e32 v169, vcc, v63, v102
	v_addc_co_u32_e32 v170, vcc, 0, v64, vcc
	v_mad_i64_i32 v[2:3], s[16:17], v107, s5, v[2:3]
	global_load_dword v194, v[4:5], off
	global_load_dword v195, v[8:9], off offset:96
	s_nop 0
	global_load_dword v167, v[167:168], off offset:96
	s_nop 0
	;; [unrolled: 2-line block ×5, first 2 shown]
	global_load_dword v64, v[61:62], off offset:104
	global_load_dword v196, v[6:7], off offset:104
	s_waitcnt vmcnt(31)
	ds_write_b32 v12, v65
	s_waitcnt vmcnt(30)
	ds_write_b32 v13, v177
	;; [unrolled: 2-line block ×13, first 2 shown]
	v_add_co_u32_e32 v2, vcc, v2, v102
	v_addc_co_u32_e32 v3, vcc, 0, v3, vcc
	s_waitcnt vmcnt(15)
	v_cvt_f32_f16_e32 v4, v173
	ds_write_b32 v25, v189
	ds_write_b32 v26, v171
	;; [unrolled: 1-line block ×4, first 2 shown]
	global_load_dword v65, v[2:3], off offset:96
	s_lshl_b32 s16, s7, 3
	v_add_u32_e32 v171, s16, v98
	v_add_u32_e32 v2, v171, v110
	v_mad_i64_i32 v[2:3], s[18:19], v2, 36, v[29:30]
	v_add_u32_e32 v6, v171, v113
	s_waitcnt vmcnt(15)
	v_not_b32_e32 v4, v174
	ds_write_b32 v141, v4
	s_waitcnt vmcnt(14)
	v_not_b32_e32 v4, v175
	ds_write_b32 v142, v4
	;; [unrolled: 3-line block ×7, first 2 shown]
	v_add_u32_e32 v4, v171, v112
	v_mad_i64_i32 v[4:5], s[18:19], v4, 36, v[29:30]
	v_mad_i64_i32 v[6:7], s[18:19], v6, 36, v[29:30]
	v_add_u32_e32 v8, v171, v114
	v_add_u32_e32 v61, v171, v115
	;; [unrolled: 1-line block ×3, first 2 shown]
	v_mad_i64_i32 v[8:9], s[18:19], v8, 36, v[29:30]
	v_mad_i64_i32 v[61:62], s[18:19], v61, 36, v[29:30]
	global_load_dword v172, v[2:3], off offset:4
	global_load_dword v173, v[4:5], off offset:4
	;; [unrolled: 1-line block ×4, first 2 shown]
	s_nop 0
	global_load_dword v61, v[61:62], off offset:4
	v_add_u32_e32 v2, v171, v116
	v_mad_u64_u32 v[6:7], s[18:19], v170, 36, s[2:3]
	v_mad_i64_i32 v[2:3], s[18:19], v2, 36, v[29:30]
	v_add_u32_e32 v4, v171, v117
	v_mad_i64_i32 v[4:5], s[18:19], v4, 36, v[29:30]
	v_add_u32_e32 v8, v171, v118
	v_mad_i64_i32 v[8:9], s[18:19], v8, 36, v[29:30]
	global_load_dword v6, v[6:7], off
	s_nop 0
	global_load_dword v2, v[2:3], off offset:4
	s_nop 0
	global_load_dword v3, v[4:5], off offset:4
	;; [unrolled: 2-line block ×3, first 2 shown]
	s_waitcnt vmcnt(17)
	v_not_b32_e32 v5, v194
	ds_write_b32 v148, v5
	s_waitcnt vmcnt(16)
	v_ashrrev_i32_e32 v5, v101, v195
	s_waitcnt vmcnt(10)
	v_ashrrev_i32_e32 v7, v103, v196
	v_and_b32_e32 v5, 0xf0f0f0f, v5
	v_lshlrev_b32_e32 v7, 4, v7
	v_and_or_b32 v5, v7, s8, v5
	v_lshlrev_b16_e32 v8, 8, v5
	v_and_b32_e32 v7, 0x3f00, v5
	v_add_u16_e32 v8, 0xe000, v8
	v_or_b32_sdwa v7, v7, v8 dst_sel:DWORD dst_unused:UNUSED_PAD src0_sel:DWORD src1_sel:BYTE_1
	v_and_b32_sdwa v8, v5, s9 dst_sel:DWORD dst_unused:UNUSED_PAD src0_sel:WORD_1 src1_sel:DWORD
	v_lshlrev_b16_sdwa v5, v153, v5 dst_sel:DWORD dst_unused:UNUSED_PAD src0_sel:DWORD src1_sel:WORD_1
	v_add_u16_e32 v5, 0xe000, v5
	v_or_b32_sdwa v5, v8, v5 dst_sel:DWORD dst_unused:UNUSED_PAD src0_sel:DWORD src1_sel:BYTE_1
	v_add_u16_e32 v7, 0xe000, v7
	v_add_u16_sdwa v5, v5, s11 dst_sel:WORD_1 dst_unused:UNUSED_PAD src0_sel:DWORD src1_sel:DWORD
	v_or_b32_e32 v5, v7, v5
	ds_write_b32 v149, v5
	v_ashrrev_i32_e32 v5, v101, v167
	v_ashrrev_i32_e32 v7, v103, v64
	v_and_b32_e32 v5, 0xf0f0f0f, v5
	v_lshlrev_b32_e32 v7, 4, v7
	v_and_or_b32 v5, v7, s8, v5
	v_lshlrev_b16_e32 v8, 8, v5
	v_and_b32_e32 v7, 0x3f00, v5
	v_add_u16_e32 v8, 0xe000, v8
	v_or_b32_sdwa v7, v7, v8 dst_sel:DWORD dst_unused:UNUSED_PAD src0_sel:DWORD src1_sel:BYTE_1
	v_and_b32_sdwa v8, v5, s9 dst_sel:DWORD dst_unused:UNUSED_PAD src0_sel:WORD_1 src1_sel:DWORD
	v_lshlrev_b16_sdwa v5, v153, v5 dst_sel:DWORD dst_unused:UNUSED_PAD src0_sel:DWORD src1_sel:WORD_1
	v_add_u16_e32 v5, 0xe000, v5
	v_or_b32_sdwa v5, v8, v5 dst_sel:DWORD dst_unused:UNUSED_PAD src0_sel:DWORD src1_sel:BYTE_1
	v_add_u16_e32 v7, 0xe000, v7
	v_add_u16_sdwa v5, v5, s11 dst_sel:WORD_1 dst_unused:UNUSED_PAD src0_sel:DWORD src1_sel:DWORD
	v_or_b32_e32 v5, v7, v5
	ds_write_b32 v150, v5
	v_ashrrev_i32_e32 v5, v101, v168
	v_ashrrev_i32_e32 v7, v103, v63
	v_and_b32_e32 v5, 0xf0f0f0f, v5
	v_lshlrev_b32_e32 v7, 4, v7
	v_and_or_b32 v5, v7, s8, v5
	v_lshlrev_b16_e32 v8, 8, v5
	v_and_b32_e32 v7, 0x3f00, v5
	v_add_u16_e32 v8, 0xe000, v8
	v_or_b32_sdwa v7, v7, v8 dst_sel:DWORD dst_unused:UNUSED_PAD src0_sel:DWORD src1_sel:BYTE_1
	v_and_b32_sdwa v8, v5, s9 dst_sel:DWORD dst_unused:UNUSED_PAD src0_sel:WORD_1 src1_sel:DWORD
	v_lshlrev_b16_sdwa v5, v153, v5 dst_sel:DWORD dst_unused:UNUSED_PAD src0_sel:DWORD src1_sel:WORD_1
	v_add_u16_e32 v5, 0xe000, v5
	v_or_b32_sdwa v5, v8, v5 dst_sel:DWORD dst_unused:UNUSED_PAD src0_sel:DWORD src1_sel:BYTE_1
	v_add_u16_e32 v7, 0xe000, v7
	v_add_u16_sdwa v5, v5, s11 dst_sel:WORD_1 dst_unused:UNUSED_PAD src0_sel:DWORD src1_sel:DWORD
	v_or_b32_e32 v5, v7, v5
	ds_write_b32 v151, v5
	s_waitcnt vmcnt(9)
	v_ashrrev_i32_e32 v5, v101, v65
	v_ashrrev_i32_e32 v7, v103, v169
	v_and_b32_e32 v5, 0xf0f0f0f, v5
	v_lshlrev_b32_e32 v7, 4, v7
	v_and_or_b32 v5, v7, s8, v5
	v_lshlrev_b16_e32 v8, 8, v5
	v_and_b32_e32 v7, 0x3f00, v5
	v_add_u16_e32 v8, 0xe000, v8
	v_or_b32_sdwa v7, v7, v8 dst_sel:DWORD dst_unused:UNUSED_PAD src0_sel:DWORD src1_sel:BYTE_1
	v_and_b32_sdwa v8, v5, s9 dst_sel:DWORD dst_unused:UNUSED_PAD src0_sel:WORD_1 src1_sel:DWORD
	v_lshlrev_b16_sdwa v5, v153, v5 dst_sel:DWORD dst_unused:UNUSED_PAD src0_sel:DWORD src1_sel:WORD_1
	v_add_u16_e32 v5, 0xe000, v5
	v_or_b32_sdwa v5, v8, v5 dst_sel:DWORD dst_unused:UNUSED_PAD src0_sel:DWORD src1_sel:BYTE_1
	v_add_u16_e32 v7, 0xe000, v7
	v_add_u16_sdwa v5, v5, s11 dst_sel:WORD_1 dst_unused:UNUSED_PAD src0_sel:DWORD src1_sel:DWORD
	v_or_b32_e32 v5, v7, v5
	v_add_u32_e32 v171, v108, v111
	ds_write_b32 v152, v5
	s_waitcnt vmcnt(8)
	ds_write_b32 v171, v172
	s_waitcnt vmcnt(7)
	;; [unrolled: 2-line block ×5, first 2 shown]
	ds_write_b32 v157, v61
	v_mov_b32_e32 v172, v139
	v_mov_b32_e32 v173, v138
	s_mov_b32 s17, 0
	s_mov_b32 s18, 0
	s_waitcnt vmcnt(3)
	v_cvt_f32_f16_e32 v5, v6
	s_waitcnt vmcnt(2)
	ds_write_b32 v158, v2
	s_waitcnt vmcnt(1)
	ds_write_b32 v159, v3
	;; [unrolled: 2-line block ×3, first 2 shown]
	ds_write_b32 v109, v5
	s_waitcnt lgkmcnt(0)
	s_barrier
.LBB150_7:                              ;   Parent Loop BB150_6 Depth=1
                                        ; =>  This Inner Loop Header: Depth=2
	s_add_i32 s19, s20, 2
	s_lshr_b32 s23, s19, 4
	s_and_b32 s21, s19, 0x3ffffff8
	v_lshl_add_u32 v197, s21, 2, v119
	s_lshl_b32 s21, s23, 5
	s_addk_i32 s21, 0x4200
	v_lshlrev_b32_e32 v167, 2, v86
	v_add3_u32 v176, s21, v167, v120
	ds_read2_b32 v[61:62], v173 offset1:32
	ds_read_b128 v[6:9], v172
	ds_read_b128 v[2:5], v172 offset:16
	ds_read2_b32 v[63:64], v197 offset1:1
	ds_read2_b32 v[168:169], v176 offset1:1
	s_and_b32 s22, s18, -16
	s_add_i32 s20, s20, s22
	s_lshl_b32 s22, s23, 2
	s_waitcnt lgkmcnt(1)
	v_ashrrev_i32_e32 v63, s19, v63
	s_waitcnt lgkmcnt(0)
	v_ashrrev_i32_e32 v168, s17, v168
	v_lshlrev_b32_e32 v168, 2, v168
	v_and_b32_e32 v65, 0x3030303, v63
	v_bfe_u32 v63, v63, 24, 2
	v_and_b32_e32 v168, 0x4040404, v168
	v_sub_u16_e32 v174, v65, v168
	v_sub_u16_sdwa v175, v65, v168 dst_sel:BYTE_1 dst_unused:UNUSED_PAD src0_sel:BYTE_1 src1_sel:BYTE_1
	v_sub_u16_sdwa v63, v63, v168 dst_sel:BYTE_1 dst_unused:UNUSED_PAD src0_sel:DWORD src1_sel:BYTE_3
	v_sub_u16_sdwa v65, v65, v168 dst_sel:DWORD dst_unused:UNUSED_PAD src0_sel:WORD_1 src1_sel:WORD_1
	v_ashrrev_i32_e32 v168, s17, v169
	v_ashrrev_i32_e32 v64, s19, v64
	v_lshlrev_b32_e32 v168, 2, v168
	v_or_b32_sdwa v174, v174, v175 dst_sel:DWORD dst_unused:UNUSED_PAD src0_sel:BYTE_0 src1_sel:DWORD
	v_or_b32_sdwa v63, v65, v63 dst_sel:WORD_1 dst_unused:UNUSED_PAD src0_sel:BYTE_0 src1_sel:DWORD
	v_and_b32_e32 v65, 0x3030303, v64
	v_bfe_u32 v64, v64, 24, 2
	v_and_b32_e32 v168, 0x4040404, v168
	v_or_b32_sdwa v63, v174, v63 dst_sel:DWORD dst_unused:UNUSED_PAD src0_sel:WORD_0 src1_sel:DWORD
	v_sub_u16_e32 v169, v65, v168
	v_sub_u16_sdwa v174, v65, v168 dst_sel:BYTE_1 dst_unused:UNUSED_PAD src0_sel:BYTE_1 src1_sel:BYTE_1
	v_sub_u16_sdwa v64, v64, v168 dst_sel:BYTE_1 dst_unused:UNUSED_PAD src0_sel:DWORD src1_sel:BYTE_3
	v_sub_u16_sdwa v65, v65, v168 dst_sel:DWORD dst_unused:UNUSED_PAD src0_sel:WORD_1 src1_sel:WORD_1
	v_or_b32_sdwa v169, v169, v174 dst_sel:DWORD dst_unused:UNUSED_PAD src0_sel:BYTE_0 src1_sel:DWORD
	v_or_b32_sdwa v64, v65, v64 dst_sel:WORD_1 dst_unused:UNUSED_PAD src0_sel:BYTE_0 src1_sel:DWORD
	v_or_b32_sdwa v64, v169, v64 dst_sel:DWORD dst_unused:UNUSED_PAD src0_sel:WORD_0 src1_sel:DWORD
	ds_read2_b32 v[168:169], v197 offset0:2 offset1:3
	ds_read2_b32 v[174:175], v176 offset0:2 offset1:3
	s_add_i32 s22, s22, 0x9380
	v_add3_u32 v184, s21, v161, v121
	v_add3_u32 v193, s21, v163, v123
	s_waitcnt lgkmcnt(1)
	v_ashrrev_i32_e32 v65, s19, v168
	s_waitcnt lgkmcnt(0)
	v_ashrrev_i32_e32 v174, s17, v174
	v_lshlrev_b32_e32 v174, 2, v174
	v_and_b32_e32 v168, 0x3030303, v65
	v_bfe_u32 v65, v65, 24, 2
	v_and_b32_e32 v174, 0x4040404, v174
	v_sub_u16_e32 v177, v168, v174
	v_sub_u16_sdwa v178, v168, v174 dst_sel:BYTE_1 dst_unused:UNUSED_PAD src0_sel:BYTE_1 src1_sel:BYTE_1
	v_sub_u16_sdwa v65, v65, v174 dst_sel:BYTE_1 dst_unused:UNUSED_PAD src0_sel:DWORD src1_sel:BYTE_3
	v_sub_u16_sdwa v168, v168, v174 dst_sel:DWORD dst_unused:UNUSED_PAD src0_sel:WORD_1 src1_sel:WORD_1
	v_ashrrev_i32_e32 v174, s17, v175
	v_or_b32_sdwa v65, v168, v65 dst_sel:WORD_1 dst_unused:UNUSED_PAD src0_sel:BYTE_0 src1_sel:DWORD
	v_ashrrev_i32_e32 v168, s19, v169
	v_lshlrev_b32_e32 v174, 2, v174
	v_or_b32_sdwa v177, v177, v178 dst_sel:DWORD dst_unused:UNUSED_PAD src0_sel:BYTE_0 src1_sel:DWORD
	v_and_b32_e32 v169, 0x3030303, v168
	v_bfe_u32 v168, v168, 24, 2
	v_and_b32_e32 v174, 0x4040404, v174
	v_or_b32_sdwa v65, v177, v65 dst_sel:DWORD dst_unused:UNUSED_PAD src0_sel:WORD_0 src1_sel:DWORD
	v_sub_u16_e32 v175, v169, v174
	v_sub_u16_sdwa v177, v169, v174 dst_sel:BYTE_1 dst_unused:UNUSED_PAD src0_sel:BYTE_1 src1_sel:BYTE_1
	v_sub_u16_sdwa v168, v168, v174 dst_sel:BYTE_1 dst_unused:UNUSED_PAD src0_sel:DWORD src1_sel:BYTE_3
	v_sub_u16_sdwa v169, v169, v174 dst_sel:DWORD dst_unused:UNUSED_PAD src0_sel:WORD_1 src1_sel:WORD_1
	v_or_b32_sdwa v175, v175, v177 dst_sel:DWORD dst_unused:UNUSED_PAD src0_sel:BYTE_0 src1_sel:DWORD
	v_or_b32_sdwa v168, v169, v168 dst_sel:WORD_1 dst_unused:UNUSED_PAD src0_sel:BYTE_0 src1_sel:DWORD
	v_or_b32_sdwa v202, v175, v168 dst_sel:DWORD dst_unused:UNUSED_PAD src0_sel:WORD_0 src1_sel:DWORD
	ds_read2_b32 v[168:169], v197 offset0:4 offset1:5
	ds_read2_b32 v[174:175], v176 offset0:4 offset1:5
	v_add3_u32 v214, s21, v165, v125
	v_add_u32_e32 v207, s20, v131
	v_add_u32_e32 v211, s20, v133
	s_waitcnt lgkmcnt(1)
	v_ashrrev_i32_e32 v168, s19, v168
	s_waitcnt lgkmcnt(0)
	v_ashrrev_i32_e32 v174, s17, v174
	v_lshlrev_b32_e32 v174, 2, v174
	v_and_b32_e32 v177, 0x3030303, v168
	v_bfe_u32 v168, v168, 24, 2
	v_and_b32_e32 v174, 0x4040404, v174
	v_sub_u16_e32 v178, v177, v174
	v_sub_u16_sdwa v179, v177, v174 dst_sel:BYTE_1 dst_unused:UNUSED_PAD src0_sel:BYTE_1 src1_sel:BYTE_1
	v_sub_u16_sdwa v168, v168, v174 dst_sel:BYTE_1 dst_unused:UNUSED_PAD src0_sel:DWORD src1_sel:BYTE_3
	v_sub_u16_sdwa v174, v177, v174 dst_sel:DWORD dst_unused:UNUSED_PAD src0_sel:WORD_1 src1_sel:WORD_1
	v_or_b32_sdwa v178, v178, v179 dst_sel:DWORD dst_unused:UNUSED_PAD src0_sel:BYTE_0 src1_sel:DWORD
	v_or_b32_sdwa v168, v174, v168 dst_sel:WORD_1 dst_unused:UNUSED_PAD src0_sel:BYTE_0 src1_sel:DWORD
	v_ashrrev_i32_e32 v174, s17, v175
	v_or_b32_sdwa v203, v178, v168 dst_sel:DWORD dst_unused:UNUSED_PAD src0_sel:WORD_0 src1_sel:DWORD
	v_ashrrev_i32_e32 v168, s19, v169
	v_lshlrev_b32_e32 v174, 2, v174
	v_and_b32_e32 v169, 0x3030303, v168
	v_bfe_u32 v168, v168, 24, 2
	v_and_b32_e32 v174, 0x4040404, v174
	v_sub_u16_e32 v175, v169, v174
	v_sub_u16_sdwa v177, v169, v174 dst_sel:BYTE_1 dst_unused:UNUSED_PAD src0_sel:BYTE_1 src1_sel:BYTE_1
	v_sub_u16_sdwa v168, v168, v174 dst_sel:BYTE_1 dst_unused:UNUSED_PAD src0_sel:DWORD src1_sel:BYTE_3
	v_sub_u16_sdwa v169, v169, v174 dst_sel:DWORD dst_unused:UNUSED_PAD src0_sel:WORD_1 src1_sel:WORD_1
	v_or_b32_sdwa v175, v175, v177 dst_sel:DWORD dst_unused:UNUSED_PAD src0_sel:BYTE_0 src1_sel:DWORD
	v_or_b32_sdwa v168, v169, v168 dst_sel:WORD_1 dst_unused:UNUSED_PAD src0_sel:BYTE_0 src1_sel:DWORD
	v_or_b32_sdwa v204, v175, v168 dst_sel:DWORD dst_unused:UNUSED_PAD src0_sel:WORD_0 src1_sel:DWORD
	ds_read2_b32 v[168:169], v197 offset0:6 offset1:7
	ds_read2_b32 v[174:175], v176 offset0:6 offset1:7
	v_add_u32_e32 v216, s20, v135
	s_add_i32 s18, s18, 2
	s_waitcnt lgkmcnt(1)
	v_ashrrev_i32_e32 v168, s19, v168
	s_waitcnt lgkmcnt(0)
	v_ashrrev_i32_e32 v174, s17, v174
	v_lshlrev_b32_e32 v174, 2, v174
	v_and_b32_e32 v177, 0x3030303, v168
	v_bfe_u32 v168, v168, 24, 2
	v_and_b32_e32 v174, 0x4040404, v174
	v_sub_u16_e32 v176, v177, v174
	v_sub_u16_sdwa v178, v177, v174 dst_sel:BYTE_1 dst_unused:UNUSED_PAD src0_sel:BYTE_1 src1_sel:BYTE_1
	v_sub_u16_sdwa v168, v168, v174 dst_sel:BYTE_1 dst_unused:UNUSED_PAD src0_sel:DWORD src1_sel:BYTE_3
	v_sub_u16_sdwa v174, v177, v174 dst_sel:DWORD dst_unused:UNUSED_PAD src0_sel:WORD_1 src1_sel:WORD_1
	v_or_b32_sdwa v176, v176, v178 dst_sel:DWORD dst_unused:UNUSED_PAD src0_sel:BYTE_0 src1_sel:DWORD
	v_or_b32_sdwa v168, v174, v168 dst_sel:WORD_1 dst_unused:UNUSED_PAD src0_sel:BYTE_0 src1_sel:DWORD
	v_ashrrev_i32_e32 v174, s17, v175
	v_or_b32_sdwa v205, v176, v168 dst_sel:DWORD dst_unused:UNUSED_PAD src0_sel:WORD_0 src1_sel:DWORD
	v_ashrrev_i32_e32 v168, s19, v169
	v_lshlrev_b32_e32 v174, 2, v174
	v_and_b32_e32 v169, 0x3030303, v168
	v_bfe_u32 v168, v168, 24, 2
	v_and_b32_e32 v174, 0x4040404, v174
	v_sub_u16_e32 v175, v169, v174
	v_sub_u16_sdwa v176, v169, v174 dst_sel:BYTE_1 dst_unused:UNUSED_PAD src0_sel:BYTE_1 src1_sel:BYTE_1
	v_sub_u16_sdwa v168, v168, v174 dst_sel:BYTE_1 dst_unused:UNUSED_PAD src0_sel:DWORD src1_sel:BYTE_3
	v_sub_u16_sdwa v169, v169, v174 dst_sel:DWORD dst_unused:UNUSED_PAD src0_sel:WORD_1 src1_sel:WORD_1
	v_or_b32_sdwa v175, v175, v176 dst_sel:DWORD dst_unused:UNUSED_PAD src0_sel:BYTE_0 src1_sel:DWORD
	v_or_b32_sdwa v168, v169, v168 dst_sel:WORD_1 dst_unused:UNUSED_PAD src0_sel:BYTE_0 src1_sel:DWORD
	v_or_b32_sdwa v206, v175, v168 dst_sel:DWORD dst_unused:UNUSED_PAD src0_sel:WORD_0 src1_sel:DWORD
	v_dot4_i32_i8 v175, v63, v6, 0
	v_dot4_i32_i8 v175, v64, v7, v175
	;; [unrolled: 1-line block ×6, first 2 shown]
	v_lshlrev_b32_e32 v168, 2, v67
	v_lshlrev_b32_e32 v169, 2, v100
	v_dot4_i32_i8 v175, v205, v4, v175
	v_add3_u32 v174, s22, v168, v169
	v_dot4_i32_i8 v209, v206, v5, v175
	v_add_u32_e32 v175, 0x1080, v197
	ds_read_b32 v174, v174
	ds_read2_b32 v[175:176], v175 offset1:1
	ds_read2_b32 v[177:178], v184 offset1:1
	s_waitcnt lgkmcnt(1)
	v_ashrrev_i32_e32 v175, s19, v175
	s_waitcnt lgkmcnt(0)
	v_ashrrev_i32_e32 v177, s17, v177
	v_lshlrev_b32_e32 v177, 2, v177
	v_and_b32_e32 v179, 0x3030303, v175
	v_bfe_u32 v175, v175, 24, 2
	v_and_b32_e32 v177, 0x4040404, v177
	v_ashrrev_i32_e32 v178, s17, v178
	v_sub_u16_e32 v180, v179, v177
	v_sub_u16_sdwa v181, v179, v177 dst_sel:BYTE_1 dst_unused:UNUSED_PAD src0_sel:BYTE_1 src1_sel:BYTE_1
	v_sub_u16_sdwa v175, v175, v177 dst_sel:BYTE_1 dst_unused:UNUSED_PAD src0_sel:DWORD src1_sel:BYTE_3
	v_sub_u16_sdwa v177, v179, v177 dst_sel:DWORD dst_unused:UNUSED_PAD src0_sel:WORD_1 src1_sel:WORD_1
	v_ashrrev_i32_e32 v176, s19, v176
	v_lshlrev_b32_e32 v178, 2, v178
	v_or_b32_sdwa v180, v180, v181 dst_sel:DWORD dst_unused:UNUSED_PAD src0_sel:BYTE_0 src1_sel:DWORD
	v_or_b32_sdwa v175, v177, v175 dst_sel:WORD_1 dst_unused:UNUSED_PAD src0_sel:BYTE_0 src1_sel:DWORD
	v_and_b32_e32 v177, 0x3030303, v176
	v_bfe_u32 v176, v176, 24, 2
	v_and_b32_e32 v178, 0x4040404, v178
	v_or_b32_sdwa v175, v180, v175 dst_sel:DWORD dst_unused:UNUSED_PAD src0_sel:WORD_0 src1_sel:DWORD
	v_sub_u16_e32 v179, v177, v178
	v_sub_u16_sdwa v180, v177, v178 dst_sel:BYTE_1 dst_unused:UNUSED_PAD src0_sel:BYTE_1 src1_sel:BYTE_1
	v_sub_u16_sdwa v176, v176, v178 dst_sel:BYTE_1 dst_unused:UNUSED_PAD src0_sel:DWORD src1_sel:BYTE_3
	v_sub_u16_sdwa v177, v177, v178 dst_sel:DWORD dst_unused:UNUSED_PAD src0_sel:WORD_1 src1_sel:WORD_1
	v_or_b32_sdwa v179, v179, v180 dst_sel:DWORD dst_unused:UNUSED_PAD src0_sel:BYTE_0 src1_sel:DWORD
	v_or_b32_sdwa v176, v177, v176 dst_sel:WORD_1 dst_unused:UNUSED_PAD src0_sel:BYTE_0 src1_sel:DWORD
	v_add_u32_e32 v177, 0x1088, v197
	v_or_b32_sdwa v176, v179, v176 dst_sel:DWORD dst_unused:UNUSED_PAD src0_sel:WORD_0 src1_sel:DWORD
	ds_read2_b32 v[177:178], v177 offset1:1
	ds_read2_b32 v[179:180], v184 offset0:2 offset1:3
	s_waitcnt lgkmcnt(1)
	v_ashrrev_i32_e32 v177, s19, v177
	s_waitcnt lgkmcnt(0)
	v_ashrrev_i32_e32 v179, s17, v179
	v_lshlrev_b32_e32 v179, 2, v179
	v_and_b32_e32 v181, 0x3030303, v177
	v_bfe_u32 v177, v177, 24, 2
	v_and_b32_e32 v179, 0x4040404, v179
	v_ashrrev_i32_e32 v180, s17, v180
	v_sub_u16_e32 v182, v181, v179
	v_sub_u16_sdwa v183, v181, v179 dst_sel:BYTE_1 dst_unused:UNUSED_PAD src0_sel:BYTE_1 src1_sel:BYTE_1
	v_sub_u16_sdwa v177, v177, v179 dst_sel:BYTE_1 dst_unused:UNUSED_PAD src0_sel:DWORD src1_sel:BYTE_3
	v_sub_u16_sdwa v179, v181, v179 dst_sel:DWORD dst_unused:UNUSED_PAD src0_sel:WORD_1 src1_sel:WORD_1
	v_ashrrev_i32_e32 v178, s19, v178
	v_lshlrev_b32_e32 v180, 2, v180
	v_or_b32_sdwa v182, v182, v183 dst_sel:DWORD dst_unused:UNUSED_PAD src0_sel:BYTE_0 src1_sel:DWORD
	v_or_b32_sdwa v177, v179, v177 dst_sel:WORD_1 dst_unused:UNUSED_PAD src0_sel:BYTE_0 src1_sel:DWORD
	v_and_b32_e32 v179, 0x3030303, v178
	v_bfe_u32 v178, v178, 24, 2
	v_and_b32_e32 v180, 0x4040404, v180
	v_or_b32_sdwa v177, v182, v177 dst_sel:DWORD dst_unused:UNUSED_PAD src0_sel:WORD_0 src1_sel:DWORD
	v_sub_u16_e32 v181, v179, v180
	v_sub_u16_sdwa v182, v179, v180 dst_sel:BYTE_1 dst_unused:UNUSED_PAD src0_sel:BYTE_1 src1_sel:BYTE_1
	v_sub_u16_sdwa v178, v178, v180 dst_sel:BYTE_1 dst_unused:UNUSED_PAD src0_sel:DWORD src1_sel:BYTE_3
	v_sub_u16_sdwa v179, v179, v180 dst_sel:DWORD dst_unused:UNUSED_PAD src0_sel:WORD_1 src1_sel:WORD_1
	v_or_b32_sdwa v181, v181, v182 dst_sel:DWORD dst_unused:UNUSED_PAD src0_sel:BYTE_0 src1_sel:DWORD
	v_or_b32_sdwa v178, v179, v178 dst_sel:WORD_1 dst_unused:UNUSED_PAD src0_sel:BYTE_0 src1_sel:DWORD
	v_add_u32_e32 v179, 0x1090, v197
	v_or_b32_sdwa v178, v181, v178 dst_sel:DWORD dst_unused:UNUSED_PAD src0_sel:WORD_0 src1_sel:DWORD
	ds_read2_b32 v[180:181], v179 offset1:1
	ds_read2_b32 v[182:183], v184 offset0:4 offset1:5
	s_waitcnt lgkmcnt(1)
	v_ashrrev_i32_e32 v179, s19, v180
	s_waitcnt lgkmcnt(0)
	v_ashrrev_i32_e32 v182, s17, v182
	v_lshlrev_b32_e32 v182, 2, v182
	v_and_b32_e32 v180, 0x3030303, v179
	v_bfe_u32 v179, v179, 24, 2
	v_and_b32_e32 v182, 0x4040404, v182
	v_sub_u16_e32 v185, v180, v182
	v_sub_u16_sdwa v186, v180, v182 dst_sel:BYTE_1 dst_unused:UNUSED_PAD src0_sel:BYTE_1 src1_sel:BYTE_1
	v_sub_u16_sdwa v179, v179, v182 dst_sel:BYTE_1 dst_unused:UNUSED_PAD src0_sel:DWORD src1_sel:BYTE_3
	v_sub_u16_sdwa v180, v180, v182 dst_sel:DWORD dst_unused:UNUSED_PAD src0_sel:WORD_1 src1_sel:WORD_1
	v_or_b32_sdwa v185, v185, v186 dst_sel:DWORD dst_unused:UNUSED_PAD src0_sel:BYTE_0 src1_sel:DWORD
	v_or_b32_sdwa v179, v180, v179 dst_sel:WORD_1 dst_unused:UNUSED_PAD src0_sel:BYTE_0 src1_sel:DWORD
	v_ashrrev_i32_e32 v182, s17, v183
	v_or_b32_sdwa v180, v185, v179 dst_sel:DWORD dst_unused:UNUSED_PAD src0_sel:WORD_0 src1_sel:DWORD
	v_ashrrev_i32_e32 v179, s19, v181
	v_lshlrev_b32_e32 v182, 2, v182
	v_and_b32_e32 v181, 0x3030303, v179
	v_bfe_u32 v179, v179, 24, 2
	v_and_b32_e32 v182, 0x4040404, v182
	v_sub_u16_e32 v183, v181, v182
	v_sub_u16_sdwa v185, v181, v182 dst_sel:BYTE_1 dst_unused:UNUSED_PAD src0_sel:BYTE_1 src1_sel:BYTE_1
	v_sub_u16_sdwa v179, v179, v182 dst_sel:BYTE_1 dst_unused:UNUSED_PAD src0_sel:DWORD src1_sel:BYTE_3
	v_sub_u16_sdwa v181, v181, v182 dst_sel:DWORD dst_unused:UNUSED_PAD src0_sel:WORD_1 src1_sel:WORD_1
	v_or_b32_sdwa v183, v183, v185 dst_sel:DWORD dst_unused:UNUSED_PAD src0_sel:BYTE_0 src1_sel:DWORD
	v_or_b32_sdwa v179, v181, v179 dst_sel:WORD_1 dst_unused:UNUSED_PAD src0_sel:BYTE_0 src1_sel:DWORD
	v_or_b32_sdwa v181, v183, v179 dst_sel:DWORD dst_unused:UNUSED_PAD src0_sel:WORD_0 src1_sel:DWORD
	v_add_u32_e32 v179, 0x1098, v197
	ds_read2_b32 v[182:183], v179 offset1:1
	ds_read2_b32 v[184:185], v184 offset0:6 offset1:7
	s_waitcnt lgkmcnt(1)
	v_ashrrev_i32_e32 v179, s19, v182
	s_waitcnt lgkmcnt(0)
	v_ashrrev_i32_e32 v184, s17, v184
	v_lshlrev_b32_e32 v184, 2, v184
	v_and_b32_e32 v182, 0x3030303, v179
	v_bfe_u32 v179, v179, 24, 2
	v_and_b32_e32 v184, 0x4040404, v184
	v_sub_u16_e32 v186, v182, v184
	v_sub_u16_sdwa v187, v182, v184 dst_sel:BYTE_1 dst_unused:UNUSED_PAD src0_sel:BYTE_1 src1_sel:BYTE_1
	v_sub_u16_sdwa v179, v179, v184 dst_sel:BYTE_1 dst_unused:UNUSED_PAD src0_sel:DWORD src1_sel:BYTE_3
	v_sub_u16_sdwa v182, v182, v184 dst_sel:DWORD dst_unused:UNUSED_PAD src0_sel:WORD_1 src1_sel:WORD_1
	v_or_b32_sdwa v186, v186, v187 dst_sel:DWORD dst_unused:UNUSED_PAD src0_sel:BYTE_0 src1_sel:DWORD
	v_or_b32_sdwa v179, v182, v179 dst_sel:WORD_1 dst_unused:UNUSED_PAD src0_sel:BYTE_0 src1_sel:DWORD
	v_or_b32_sdwa v184, v186, v179 dst_sel:DWORD dst_unused:UNUSED_PAD src0_sel:WORD_0 src1_sel:DWORD
	v_ashrrev_i32_e32 v179, s19, v183
	v_ashrrev_i32_e32 v183, s17, v185
	v_lshlrev_b32_e32 v183, 2, v183
	v_and_b32_e32 v182, 0x3030303, v179
	v_bfe_u32 v179, v179, 24, 2
	v_and_b32_e32 v183, 0x4040404, v183
	v_sub_u16_e32 v185, v182, v183
	v_sub_u16_sdwa v186, v182, v183 dst_sel:BYTE_1 dst_unused:UNUSED_PAD src0_sel:BYTE_1 src1_sel:BYTE_1
	v_sub_u16_sdwa v179, v179, v183 dst_sel:BYTE_1 dst_unused:UNUSED_PAD src0_sel:DWORD src1_sel:BYTE_3
	v_sub_u16_sdwa v182, v182, v183 dst_sel:DWORD dst_unused:UNUSED_PAD src0_sel:WORD_1 src1_sel:WORD_1
	v_or_b32_sdwa v179, v182, v179 dst_sel:WORD_1 dst_unused:UNUSED_PAD src0_sel:BYTE_0 src1_sel:DWORD
	v_dot4_i32_i8 v182, v175, v6, 0
	v_dot4_i32_i8 v182, v176, v7, v182
	;; [unrolled: 1-line block ×5, first 2 shown]
	v_or_b32_sdwa v185, v185, v186 dst_sel:DWORD dst_unused:UNUSED_PAD src0_sel:BYTE_0 src1_sel:DWORD
	v_dot4_i32_i8 v182, v181, v3, v182
	v_or_b32_sdwa v185, v185, v179 dst_sel:DWORD dst_unused:UNUSED_PAD src0_sel:WORD_0 src1_sel:DWORD
	v_dot4_i32_i8 v182, v184, v4, v182
	v_add3_u32 v179, s22, v162, v122
	v_dot4_i32_i8 v213, v185, v5, v182
	v_add_u32_e32 v182, 0x2100, v197
	ds_read_b32 v179, v179
	ds_read2_b32 v[182:183], v182 offset1:1
	ds_read2_b32 v[186:187], v193 offset1:1
	s_waitcnt lgkmcnt(1)
	v_ashrrev_i32_e32 v182, s19, v182
	s_waitcnt lgkmcnt(0)
	v_ashrrev_i32_e32 v186, s17, v186
	v_lshlrev_b32_e32 v186, 2, v186
	v_and_b32_e32 v188, 0x3030303, v182
	v_bfe_u32 v182, v182, 24, 2
	v_and_b32_e32 v186, 0x4040404, v186
	v_ashrrev_i32_e32 v187, s17, v187
	v_sub_u16_e32 v189, v188, v186
	v_sub_u16_sdwa v190, v188, v186 dst_sel:BYTE_1 dst_unused:UNUSED_PAD src0_sel:BYTE_1 src1_sel:BYTE_1
	v_sub_u16_sdwa v182, v182, v186 dst_sel:BYTE_1 dst_unused:UNUSED_PAD src0_sel:DWORD src1_sel:BYTE_3
	v_sub_u16_sdwa v186, v188, v186 dst_sel:DWORD dst_unused:UNUSED_PAD src0_sel:WORD_1 src1_sel:WORD_1
	v_ashrrev_i32_e32 v183, s19, v183
	v_lshlrev_b32_e32 v187, 2, v187
	v_or_b32_sdwa v189, v189, v190 dst_sel:DWORD dst_unused:UNUSED_PAD src0_sel:BYTE_0 src1_sel:DWORD
	v_or_b32_sdwa v182, v186, v182 dst_sel:WORD_1 dst_unused:UNUSED_PAD src0_sel:BYTE_0 src1_sel:DWORD
	v_and_b32_e32 v186, 0x3030303, v183
	v_bfe_u32 v183, v183, 24, 2
	v_and_b32_e32 v187, 0x4040404, v187
	v_or_b32_sdwa v182, v189, v182 dst_sel:DWORD dst_unused:UNUSED_PAD src0_sel:WORD_0 src1_sel:DWORD
	v_sub_u16_e32 v188, v186, v187
	v_sub_u16_sdwa v189, v186, v187 dst_sel:BYTE_1 dst_unused:UNUSED_PAD src0_sel:BYTE_1 src1_sel:BYTE_1
	v_sub_u16_sdwa v183, v183, v187 dst_sel:BYTE_1 dst_unused:UNUSED_PAD src0_sel:DWORD src1_sel:BYTE_3
	v_sub_u16_sdwa v186, v186, v187 dst_sel:DWORD dst_unused:UNUSED_PAD src0_sel:WORD_1 src1_sel:WORD_1
	v_or_b32_sdwa v188, v188, v189 dst_sel:DWORD dst_unused:UNUSED_PAD src0_sel:BYTE_0 src1_sel:DWORD
	v_or_b32_sdwa v183, v186, v183 dst_sel:WORD_1 dst_unused:UNUSED_PAD src0_sel:BYTE_0 src1_sel:DWORD
	v_add_u32_e32 v186, 0x2108, v197
	v_or_b32_sdwa v183, v188, v183 dst_sel:DWORD dst_unused:UNUSED_PAD src0_sel:WORD_0 src1_sel:DWORD
	ds_read2_b32 v[186:187], v186 offset1:1
	ds_read2_b32 v[188:189], v193 offset0:2 offset1:3
	s_waitcnt lgkmcnt(1)
	v_ashrrev_i32_e32 v186, s19, v186
	s_waitcnt lgkmcnt(0)
	v_ashrrev_i32_e32 v188, s17, v188
	v_lshlrev_b32_e32 v188, 2, v188
	v_and_b32_e32 v190, 0x3030303, v186
	v_bfe_u32 v186, v186, 24, 2
	v_and_b32_e32 v188, 0x4040404, v188
	v_ashrrev_i32_e32 v189, s17, v189
	v_sub_u16_e32 v191, v190, v188
	v_sub_u16_sdwa v192, v190, v188 dst_sel:BYTE_1 dst_unused:UNUSED_PAD src0_sel:BYTE_1 src1_sel:BYTE_1
	v_sub_u16_sdwa v186, v186, v188 dst_sel:BYTE_1 dst_unused:UNUSED_PAD src0_sel:DWORD src1_sel:BYTE_3
	v_sub_u16_sdwa v188, v190, v188 dst_sel:DWORD dst_unused:UNUSED_PAD src0_sel:WORD_1 src1_sel:WORD_1
	v_ashrrev_i32_e32 v187, s19, v187
	v_lshlrev_b32_e32 v189, 2, v189
	v_or_b32_sdwa v191, v191, v192 dst_sel:DWORD dst_unused:UNUSED_PAD src0_sel:BYTE_0 src1_sel:DWORD
	v_or_b32_sdwa v186, v188, v186 dst_sel:WORD_1 dst_unused:UNUSED_PAD src0_sel:BYTE_0 src1_sel:DWORD
	v_and_b32_e32 v188, 0x3030303, v187
	v_bfe_u32 v187, v187, 24, 2
	v_and_b32_e32 v189, 0x4040404, v189
	v_or_b32_sdwa v186, v191, v186 dst_sel:DWORD dst_unused:UNUSED_PAD src0_sel:WORD_0 src1_sel:DWORD
	v_sub_u16_e32 v190, v188, v189
	v_sub_u16_sdwa v191, v188, v189 dst_sel:BYTE_1 dst_unused:UNUSED_PAD src0_sel:BYTE_1 src1_sel:BYTE_1
	v_sub_u16_sdwa v187, v187, v189 dst_sel:BYTE_1 dst_unused:UNUSED_PAD src0_sel:DWORD src1_sel:BYTE_3
	v_sub_u16_sdwa v188, v188, v189 dst_sel:DWORD dst_unused:UNUSED_PAD src0_sel:WORD_1 src1_sel:WORD_1
	v_or_b32_sdwa v190, v190, v191 dst_sel:DWORD dst_unused:UNUSED_PAD src0_sel:BYTE_0 src1_sel:DWORD
	v_or_b32_sdwa v187, v188, v187 dst_sel:WORD_1 dst_unused:UNUSED_PAD src0_sel:BYTE_0 src1_sel:DWORD
	v_add_u32_e32 v188, 0x2110, v197
	v_or_b32_sdwa v187, v190, v187 dst_sel:DWORD dst_unused:UNUSED_PAD src0_sel:WORD_0 src1_sel:DWORD
	ds_read2_b32 v[189:190], v188 offset1:1
	ds_read2_b32 v[191:192], v193 offset0:4 offset1:5
	s_waitcnt lgkmcnt(1)
	v_ashrrev_i32_e32 v188, s19, v189
	s_waitcnt lgkmcnt(0)
	v_ashrrev_i32_e32 v191, s17, v191
	v_lshlrev_b32_e32 v191, 2, v191
	v_and_b32_e32 v189, 0x3030303, v188
	v_bfe_u32 v188, v188, 24, 2
	v_and_b32_e32 v191, 0x4040404, v191
	v_sub_u16_e32 v194, v189, v191
	v_sub_u16_sdwa v195, v189, v191 dst_sel:BYTE_1 dst_unused:UNUSED_PAD src0_sel:BYTE_1 src1_sel:BYTE_1
	v_sub_u16_sdwa v188, v188, v191 dst_sel:BYTE_1 dst_unused:UNUSED_PAD src0_sel:DWORD src1_sel:BYTE_3
	v_sub_u16_sdwa v189, v189, v191 dst_sel:DWORD dst_unused:UNUSED_PAD src0_sel:WORD_1 src1_sel:WORD_1
	v_or_b32_sdwa v194, v194, v195 dst_sel:DWORD dst_unused:UNUSED_PAD src0_sel:BYTE_0 src1_sel:DWORD
	v_or_b32_sdwa v188, v189, v188 dst_sel:WORD_1 dst_unused:UNUSED_PAD src0_sel:BYTE_0 src1_sel:DWORD
	v_ashrrev_i32_e32 v191, s17, v192
	v_or_b32_sdwa v189, v194, v188 dst_sel:DWORD dst_unused:UNUSED_PAD src0_sel:WORD_0 src1_sel:DWORD
	v_ashrrev_i32_e32 v188, s19, v190
	v_lshlrev_b32_e32 v191, 2, v191
	v_and_b32_e32 v190, 0x3030303, v188
	v_bfe_u32 v188, v188, 24, 2
	v_and_b32_e32 v191, 0x4040404, v191
	v_sub_u16_e32 v192, v190, v191
	v_sub_u16_sdwa v194, v190, v191 dst_sel:BYTE_1 dst_unused:UNUSED_PAD src0_sel:BYTE_1 src1_sel:BYTE_1
	v_sub_u16_sdwa v188, v188, v191 dst_sel:BYTE_1 dst_unused:UNUSED_PAD src0_sel:DWORD src1_sel:BYTE_3
	v_sub_u16_sdwa v190, v190, v191 dst_sel:DWORD dst_unused:UNUSED_PAD src0_sel:WORD_1 src1_sel:WORD_1
	v_or_b32_sdwa v192, v192, v194 dst_sel:DWORD dst_unused:UNUSED_PAD src0_sel:BYTE_0 src1_sel:DWORD
	v_or_b32_sdwa v188, v190, v188 dst_sel:WORD_1 dst_unused:UNUSED_PAD src0_sel:BYTE_0 src1_sel:DWORD
	v_or_b32_sdwa v190, v192, v188 dst_sel:DWORD dst_unused:UNUSED_PAD src0_sel:WORD_0 src1_sel:DWORD
	v_add_u32_e32 v188, 0x2118, v197
	ds_read2_b32 v[191:192], v188 offset1:1
	ds_read2_b32 v[193:194], v193 offset0:6 offset1:7
	s_waitcnt lgkmcnt(1)
	v_ashrrev_i32_e32 v188, s19, v191
	s_waitcnt lgkmcnt(0)
	v_ashrrev_i32_e32 v193, s17, v193
	v_lshlrev_b32_e32 v193, 2, v193
	v_and_b32_e32 v191, 0x3030303, v188
	v_bfe_u32 v188, v188, 24, 2
	v_and_b32_e32 v193, 0x4040404, v193
	v_sub_u16_e32 v195, v191, v193
	v_sub_u16_sdwa v196, v191, v193 dst_sel:BYTE_1 dst_unused:UNUSED_PAD src0_sel:BYTE_1 src1_sel:BYTE_1
	v_sub_u16_sdwa v188, v188, v193 dst_sel:BYTE_1 dst_unused:UNUSED_PAD src0_sel:DWORD src1_sel:BYTE_3
	v_sub_u16_sdwa v191, v191, v193 dst_sel:DWORD dst_unused:UNUSED_PAD src0_sel:WORD_1 src1_sel:WORD_1
	v_or_b32_sdwa v195, v195, v196 dst_sel:DWORD dst_unused:UNUSED_PAD src0_sel:BYTE_0 src1_sel:DWORD
	v_or_b32_sdwa v188, v191, v188 dst_sel:WORD_1 dst_unused:UNUSED_PAD src0_sel:BYTE_0 src1_sel:DWORD
	v_or_b32_sdwa v193, v195, v188 dst_sel:DWORD dst_unused:UNUSED_PAD src0_sel:WORD_0 src1_sel:DWORD
	v_ashrrev_i32_e32 v188, s19, v192
	v_ashrrev_i32_e32 v192, s17, v194
	v_lshlrev_b32_e32 v192, 2, v192
	v_and_b32_e32 v191, 0x3030303, v188
	v_bfe_u32 v188, v188, 24, 2
	v_and_b32_e32 v192, 0x4040404, v192
	v_sub_u16_e32 v194, v191, v192
	v_sub_u16_sdwa v195, v191, v192 dst_sel:BYTE_1 dst_unused:UNUSED_PAD src0_sel:BYTE_1 src1_sel:BYTE_1
	v_sub_u16_sdwa v188, v188, v192 dst_sel:BYTE_1 dst_unused:UNUSED_PAD src0_sel:DWORD src1_sel:BYTE_3
	v_sub_u16_sdwa v191, v191, v192 dst_sel:DWORD dst_unused:UNUSED_PAD src0_sel:WORD_1 src1_sel:WORD_1
	v_or_b32_sdwa v188, v191, v188 dst_sel:WORD_1 dst_unused:UNUSED_PAD src0_sel:BYTE_0 src1_sel:DWORD
	v_dot4_i32_i8 v191, v182, v6, 0
	v_dot4_i32_i8 v191, v183, v7, v191
	;; [unrolled: 1-line block ×5, first 2 shown]
	v_or_b32_sdwa v194, v194, v195 dst_sel:DWORD dst_unused:UNUSED_PAD src0_sel:BYTE_0 src1_sel:DWORD
	v_dot4_i32_i8 v191, v190, v3, v191
	v_or_b32_sdwa v194, v194, v188 dst_sel:DWORD dst_unused:UNUSED_PAD src0_sel:WORD_0 src1_sel:DWORD
	v_dot4_i32_i8 v191, v193, v4, v191
	v_add3_u32 v188, s22, v164, v124
	v_dot4_i32_i8 v217, v194, v5, v191
	v_add_u32_e32 v191, 0x3180, v197
	ds_read_b32 v188, v188
	ds_read2_b32 v[191:192], v191 offset1:1
	ds_read2_b32 v[195:196], v214 offset1:1
	s_waitcnt lgkmcnt(1)
	v_ashrrev_i32_e32 v191, s19, v191
	s_waitcnt lgkmcnt(0)
	v_ashrrev_i32_e32 v195, s17, v195
	v_lshlrev_b32_e32 v195, 2, v195
	v_and_b32_e32 v198, 0x3030303, v191
	v_bfe_u32 v191, v191, 24, 2
	v_and_b32_e32 v195, 0x4040404, v195
	v_ashrrev_i32_e32 v196, s17, v196
	v_sub_u16_e32 v199, v198, v195
	v_sub_u16_sdwa v200, v198, v195 dst_sel:BYTE_1 dst_unused:UNUSED_PAD src0_sel:BYTE_1 src1_sel:BYTE_1
	v_sub_u16_sdwa v191, v191, v195 dst_sel:BYTE_1 dst_unused:UNUSED_PAD src0_sel:DWORD src1_sel:BYTE_3
	v_sub_u16_sdwa v195, v198, v195 dst_sel:DWORD dst_unused:UNUSED_PAD src0_sel:WORD_1 src1_sel:WORD_1
	v_ashrrev_i32_e32 v192, s19, v192
	v_lshlrev_b32_e32 v196, 2, v196
	v_or_b32_sdwa v199, v199, v200 dst_sel:DWORD dst_unused:UNUSED_PAD src0_sel:BYTE_0 src1_sel:DWORD
	v_or_b32_sdwa v191, v195, v191 dst_sel:WORD_1 dst_unused:UNUSED_PAD src0_sel:BYTE_0 src1_sel:DWORD
	v_and_b32_e32 v195, 0x3030303, v192
	v_bfe_u32 v192, v192, 24, 2
	v_and_b32_e32 v196, 0x4040404, v196
	v_or_b32_sdwa v191, v199, v191 dst_sel:DWORD dst_unused:UNUSED_PAD src0_sel:WORD_0 src1_sel:DWORD
	v_sub_u16_e32 v198, v195, v196
	v_sub_u16_sdwa v199, v195, v196 dst_sel:BYTE_1 dst_unused:UNUSED_PAD src0_sel:BYTE_1 src1_sel:BYTE_1
	v_sub_u16_sdwa v192, v192, v196 dst_sel:BYTE_1 dst_unused:UNUSED_PAD src0_sel:DWORD src1_sel:BYTE_3
	v_sub_u16_sdwa v195, v195, v196 dst_sel:DWORD dst_unused:UNUSED_PAD src0_sel:WORD_1 src1_sel:WORD_1
	v_or_b32_sdwa v198, v198, v199 dst_sel:DWORD dst_unused:UNUSED_PAD src0_sel:BYTE_0 src1_sel:DWORD
	v_or_b32_sdwa v192, v195, v192 dst_sel:WORD_1 dst_unused:UNUSED_PAD src0_sel:BYTE_0 src1_sel:DWORD
	v_add_u32_e32 v195, 0x3188, v197
	v_or_b32_sdwa v192, v198, v192 dst_sel:DWORD dst_unused:UNUSED_PAD src0_sel:WORD_0 src1_sel:DWORD
	ds_read2_b32 v[195:196], v195 offset1:1
	ds_read2_b32 v[198:199], v214 offset0:2 offset1:3
	v_dot4_i32_i8 v6, v191, v6, 0
	v_dot4_i32_i8 v6, v192, v7, v6
	s_waitcnt lgkmcnt(1)
	v_ashrrev_i32_e32 v195, s19, v195
	s_waitcnt lgkmcnt(0)
	v_ashrrev_i32_e32 v198, s17, v198
	v_lshlrev_b32_e32 v198, 2, v198
	v_and_b32_e32 v200, 0x3030303, v195
	v_bfe_u32 v195, v195, 24, 2
	v_and_b32_e32 v198, 0x4040404, v198
	v_ashrrev_i32_e32 v199, s17, v199
	v_sub_u16_e32 v201, v200, v198
	v_sub_u16_sdwa v215, v200, v198 dst_sel:BYTE_1 dst_unused:UNUSED_PAD src0_sel:BYTE_1 src1_sel:BYTE_1
	v_sub_u16_sdwa v195, v195, v198 dst_sel:BYTE_1 dst_unused:UNUSED_PAD src0_sel:DWORD src1_sel:BYTE_3
	v_sub_u16_sdwa v198, v200, v198 dst_sel:DWORD dst_unused:UNUSED_PAD src0_sel:WORD_1 src1_sel:WORD_1
	v_ashrrev_i32_e32 v196, s19, v196
	v_lshlrev_b32_e32 v199, 2, v199
	v_or_b32_sdwa v201, v201, v215 dst_sel:DWORD dst_unused:UNUSED_PAD src0_sel:BYTE_0 src1_sel:DWORD
	v_or_b32_sdwa v195, v198, v195 dst_sel:WORD_1 dst_unused:UNUSED_PAD src0_sel:BYTE_0 src1_sel:DWORD
	v_and_b32_e32 v198, 0x3030303, v196
	v_bfe_u32 v196, v196, 24, 2
	v_and_b32_e32 v199, 0x4040404, v199
	v_or_b32_sdwa v195, v201, v195 dst_sel:DWORD dst_unused:UNUSED_PAD src0_sel:WORD_0 src1_sel:DWORD
	v_sub_u16_e32 v200, v198, v199
	v_sub_u16_sdwa v201, v198, v199 dst_sel:BYTE_1 dst_unused:UNUSED_PAD src0_sel:BYTE_1 src1_sel:BYTE_1
	v_sub_u16_sdwa v196, v196, v199 dst_sel:BYTE_1 dst_unused:UNUSED_PAD src0_sel:DWORD src1_sel:BYTE_3
	v_sub_u16_sdwa v198, v198, v199 dst_sel:DWORD dst_unused:UNUSED_PAD src0_sel:WORD_1 src1_sel:WORD_1
	v_or_b32_sdwa v200, v200, v201 dst_sel:DWORD dst_unused:UNUSED_PAD src0_sel:BYTE_0 src1_sel:DWORD
	v_or_b32_sdwa v196, v198, v196 dst_sel:WORD_1 dst_unused:UNUSED_PAD src0_sel:BYTE_0 src1_sel:DWORD
	v_add_u32_e32 v198, 0x3190, v197
	v_or_b32_sdwa v196, v200, v196 dst_sel:DWORD dst_unused:UNUSED_PAD src0_sel:WORD_0 src1_sel:DWORD
	ds_read2_b32 v[198:199], v198 offset1:1
	ds_read2_b32 v[200:201], v214 offset0:4 offset1:5
	v_add_u32_e32 v197, 0x3198, v197
	v_dot4_i32_i8 v6, v195, v8, v6
	v_dot4_i32_i8 v6, v196, v9, v6
	s_waitcnt lgkmcnt(1)
	v_ashrrev_i32_e32 v198, s19, v198
	s_waitcnt lgkmcnt(0)
	v_ashrrev_i32_e32 v200, s17, v200
	v_lshlrev_b32_e32 v200, 2, v200
	v_and_b32_e32 v215, 0x3030303, v198
	v_bfe_u32 v198, v198, 24, 2
	v_and_b32_e32 v200, 0x4040404, v200
	v_ashrrev_i32_e32 v201, s17, v201
	v_sub_u16_e32 v218, v215, v200
	v_sub_u16_sdwa v219, v215, v200 dst_sel:BYTE_1 dst_unused:UNUSED_PAD src0_sel:BYTE_1 src1_sel:BYTE_1
	v_sub_u16_sdwa v198, v198, v200 dst_sel:BYTE_1 dst_unused:UNUSED_PAD src0_sel:DWORD src1_sel:BYTE_3
	v_sub_u16_sdwa v200, v215, v200 dst_sel:DWORD dst_unused:UNUSED_PAD src0_sel:WORD_1 src1_sel:WORD_1
	v_ashrrev_i32_e32 v199, s19, v199
	v_lshlrev_b32_e32 v201, 2, v201
	v_or_b32_sdwa v218, v218, v219 dst_sel:DWORD dst_unused:UNUSED_PAD src0_sel:BYTE_0 src1_sel:DWORD
	v_or_b32_sdwa v198, v200, v198 dst_sel:WORD_1 dst_unused:UNUSED_PAD src0_sel:BYTE_0 src1_sel:DWORD
	v_and_b32_e32 v200, 0x3030303, v199
	v_bfe_u32 v199, v199, 24, 2
	v_and_b32_e32 v201, 0x4040404, v201
	v_or_b32_sdwa v198, v218, v198 dst_sel:DWORD dst_unused:UNUSED_PAD src0_sel:WORD_0 src1_sel:DWORD
	v_sub_u16_e32 v215, v200, v201
	v_sub_u16_sdwa v218, v200, v201 dst_sel:BYTE_1 dst_unused:UNUSED_PAD src0_sel:BYTE_1 src1_sel:BYTE_1
	v_sub_u16_sdwa v199, v199, v201 dst_sel:BYTE_1 dst_unused:UNUSED_PAD src0_sel:DWORD src1_sel:BYTE_3
	v_sub_u16_sdwa v200, v200, v201 dst_sel:DWORD dst_unused:UNUSED_PAD src0_sel:WORD_1 src1_sel:WORD_1
	v_or_b32_sdwa v215, v215, v218 dst_sel:DWORD dst_unused:UNUSED_PAD src0_sel:BYTE_0 src1_sel:DWORD
	v_or_b32_sdwa v199, v200, v199 dst_sel:WORD_1 dst_unused:UNUSED_PAD src0_sel:BYTE_0 src1_sel:DWORD
	v_or_b32_sdwa v199, v215, v199 dst_sel:DWORD dst_unused:UNUSED_PAD src0_sel:WORD_0 src1_sel:DWORD
	ds_read2_b32 v[200:201], v197 offset1:1
	ds_read2_b32 v[214:215], v214 offset0:6 offset1:7
	v_dot4_i32_i8 v2, v198, v2, 0
	v_dot4_i32_i8 v2, v199, v3, v2
	s_waitcnt lgkmcnt(1)
	v_ashrrev_i32_e32 v197, s19, v200
	s_waitcnt lgkmcnt(0)
	v_ashrrev_i32_e32 v214, s17, v214
	v_lshlrev_b32_e32 v214, 2, v214
	v_and_b32_e32 v200, 0x3030303, v197
	v_bfe_u32 v197, v197, 24, 2
	v_and_b32_e32 v214, 0x4040404, v214
	v_sub_u16_e32 v218, v200, v214
	v_sub_u16_sdwa v219, v200, v214 dst_sel:BYTE_1 dst_unused:UNUSED_PAD src0_sel:BYTE_1 src1_sel:BYTE_1
	v_sub_u16_sdwa v197, v197, v214 dst_sel:BYTE_1 dst_unused:UNUSED_PAD src0_sel:DWORD src1_sel:BYTE_3
	v_sub_u16_sdwa v200, v200, v214 dst_sel:DWORD dst_unused:UNUSED_PAD src0_sel:WORD_1 src1_sel:WORD_1
	v_or_b32_sdwa v218, v218, v219 dst_sel:DWORD dst_unused:UNUSED_PAD src0_sel:BYTE_0 src1_sel:DWORD
	v_or_b32_sdwa v197, v200, v197 dst_sel:WORD_1 dst_unused:UNUSED_PAD src0_sel:BYTE_0 src1_sel:DWORD
	v_ashrrev_i32_e32 v214, s17, v215
	v_or_b32_sdwa v200, v218, v197 dst_sel:DWORD dst_unused:UNUSED_PAD src0_sel:WORD_0 src1_sel:DWORD
	v_ashrrev_i32_e32 v197, s19, v201
	v_lshlrev_b32_e32 v214, 2, v214
	v_and_b32_e32 v201, 0x3030303, v197
	v_bfe_u32 v197, v197, 24, 2
	v_and_b32_e32 v214, 0x4040404, v214
	v_sub_u16_e32 v215, v201, v214
	v_sub_u16_sdwa v218, v201, v214 dst_sel:BYTE_1 dst_unused:UNUSED_PAD src0_sel:BYTE_1 src1_sel:BYTE_1
	v_sub_u16_sdwa v197, v197, v214 dst_sel:BYTE_1 dst_unused:UNUSED_PAD src0_sel:DWORD src1_sel:BYTE_3
	v_sub_u16_sdwa v201, v201, v214 dst_sel:DWORD dst_unused:UNUSED_PAD src0_sel:WORD_1 src1_sel:WORD_1
	v_or_b32_sdwa v215, v215, v218 dst_sel:DWORD dst_unused:UNUSED_PAD src0_sel:BYTE_0 src1_sel:DWORD
	v_or_b32_sdwa v197, v201, v197 dst_sel:WORD_1 dst_unused:UNUSED_PAD src0_sel:BYTE_0 src1_sel:DWORD
	v_or_b32_sdwa v201, v215, v197 dst_sel:DWORD dst_unused:UNUSED_PAD src0_sel:WORD_0 src1_sel:DWORD
	v_add3_u32 v197, s22, v166, v126
	ds_read_b32 v197, v197
	ds_read_b128 v[219:222], v172 offset:1024
	ds_read_b128 v[223:226], v172 offset:1040
	v_dot4_i32_i8 v2, v200, v4, v2
	v_dot4_i32_i8 v2, v201, v5, v2
	v_add_u32_e32 v218, s20, v137
	s_waitcnt lgkmcnt(1)
	v_dot4_i32_i8 v3, v63, v219, 0
	v_dot4_i32_i8 v3, v64, v220, v3
	;; [unrolled: 1-line block ×4, first 2 shown]
	s_waitcnt lgkmcnt(0)
	v_dot4_i32_i8 v3, v203, v223, 0
	v_dot4_i32_i8 v3, v204, v224, v3
	;; [unrolled: 1-line block ×4, first 2 shown]
	ds_read_u16 v3, v207 offset:2
	s_add_i32 s17, s17, 1
	s_cmp_lt_u32 s19, 6
	s_waitcnt lgkmcnt(0)
	v_bfe_i32 v214, v3, 0, 8
	v_mul_lo_u32 v4, v4, v214
	v_lshrrev_b16_e32 v7, 8, v3
	v_bfe_i32 v215, v7, 0, 8
	v_mul_lo_u32 v3, v209, v215
	v_mad_u64_u32 v[4:5], s[20:21], v5, v215, v[4:5]
	v_mul_f32_e32 v5, v174, v62
	v_mad_u64_u32 v[7:8], s[20:21], v208, v214, v[3:4]
	v_mul_f32_e32 v3, v174, v61
	v_cvt_f32_i32_e32 v4, v4
	v_cvt_f32_i32_e32 v7, v7
	v_fma_f32 v11, v5, v4, v11
	v_fmac_f32_e32 v10, v3, v7
	v_dot4_i32_i8 v3, v175, v219, 0
	v_dot4_i32_i8 v3, v176, v220, v3
	;; [unrolled: 1-line block ×8, first 2 shown]
	ds_read_u16 v3, v211 offset:2
	s_waitcnt lgkmcnt(0)
	v_bfe_i32 v207, v3, 0, 8
	v_mul_lo_u32 v4, v4, v207
	v_lshrrev_b16_e32 v7, 8, v3
	v_bfe_i32 v208, v7, 0, 8
	v_mul_lo_u32 v3, v213, v208
	v_mad_u64_u32 v[4:5], s[20:21], v5, v208, v[4:5]
	v_mul_f32_e32 v5, v179, v62
	v_mad_u64_u32 v[7:8], s[20:21], v210, v207, v[3:4]
	v_mul_f32_e32 v3, v179, v61
	v_cvt_f32_i32_e32 v4, v4
	v_cvt_f32_i32_e32 v7, v7
	v_fma_f32 v56, v5, v4, v56
	v_fmac_f32_e32 v55, v3, v7
	v_dot4_i32_i8 v3, v182, v219, 0
	v_dot4_i32_i8 v3, v183, v220, v3
	;; [unrolled: 1-line block ×8, first 2 shown]
	ds_read_u16 v3, v216 offset:2
	s_waitcnt lgkmcnt(0)
	v_bfe_i32 v209, v3, 0, 8
	v_mul_lo_u32 v4, v4, v209
	v_lshrrev_b16_e32 v7, 8, v3
	v_bfe_i32 v210, v7, 0, 8
	v_mul_lo_u32 v3, v217, v210
	v_mad_u64_u32 v[4:5], s[20:21], v5, v210, v[4:5]
	v_mul_f32_e32 v5, v188, v62
	v_mad_u64_u32 v[7:8], s[20:21], v212, v209, v[3:4]
	v_cvt_f32_i32_e32 v4, v4
	v_mul_f32_e32 v3, v188, v61
	v_cvt_f32_i32_e32 v7, v7
	v_fma_f32 v58, v5, v4, v58
	ds_read_u16 v5, v218 offset:2
	v_fmac_f32_e32 v57, v3, v7
	v_dot4_i32_i8 v3, v191, v219, 0
	v_dot4_i32_i8 v3, v192, v220, v3
	;; [unrolled: 1-line block ×4, first 2 shown]
	s_waitcnt lgkmcnt(0)
	v_bfe_i32 v211, v5, 0, 8
	v_dot4_i32_i8 v4, v198, v223, 0
	v_mul_lo_u32 v3, v3, v211
	v_dot4_i32_i8 v4, v199, v224, v4
	v_dot4_i32_i8 v4, v200, v225, v4
	v_lshrrev_b16_e32 v7, 8, v5
	v_dot4_i32_i8 v4, v201, v226, v4
	v_bfe_i32 v212, v7, 0, 8
	v_mul_lo_u32 v2, v2, v212
	v_mad_u64_u32 v[3:4], s[20:21], v4, v212, v[3:4]
	v_mad_u64_u32 v[4:5], s[20:21], v6, v211, v[2:3]
	v_cvt_f32_i32_e32 v3, v3
	v_mul_f32_e32 v2, v197, v61
	v_cvt_f32_i32_e32 v4, v4
	v_mul_f32_e32 v5, v197, v62
	v_fma_f32 v60, v5, v3, v60
	v_fmac_f32_e32 v59, v2, v4
	ds_read2_b32 v[61:62], v173 offset0:64 offset1:96
	ds_read_b128 v[2:5], v172 offset:2048
	ds_read_b128 v[6:9], v172 offset:2064
	s_waitcnt lgkmcnt(1)
	v_dot4_i32_i8 v216, v175, v2, 0
	v_dot4_i32_i8 v216, v176, v3, v216
	;; [unrolled: 1-line block ×4, first 2 shown]
	s_waitcnt lgkmcnt(0)
	v_dot4_i32_i8 v216, v180, v6, 0
	v_dot4_i32_i8 v216, v181, v7, v216
	;; [unrolled: 1-line block ×28, first 2 shown]
	ds_read_b128 v[2:5], v172 offset:3072
	ds_read_b128 v[6:9], v172 offset:3088
	v_mul_lo_u32 v213, v213, v215
	s_waitcnt lgkmcnt(1)
	v_dot4_i32_i8 v216, v63, v2, 0
	v_dot4_i32_i8 v216, v64, v3, v216
	;; [unrolled: 1-line block ×4, first 2 shown]
	s_waitcnt lgkmcnt(0)
	v_dot4_i32_i8 v217, v203, v6, 0
	v_mul_lo_u32 v216, v216, v214
	v_dot4_i32_i8 v217, v204, v7, v217
	v_dot4_i32_i8 v217, v205, v8, v217
	;; [unrolled: 1-line block ×3, first 2 shown]
	v_mad_u64_u32 v[216:217], s[20:21], v217, v215, v[216:217]
	v_mad_u64_u32 v[217:218], s[20:21], v218, v214, v[213:214]
	v_mul_f32_e32 v213, v174, v61
	v_cvt_f32_i32_e32 v216, v216
	v_cvt_f32_i32_e32 v217, v217
	v_mul_f32_e32 v218, v174, v62
	v_fma_f32 v48, v218, v216, v48
	v_fmac_f32_e32 v47, v213, v217
	v_dot4_i32_i8 v213, v175, v2, 0
	v_dot4_i32_i8 v213, v176, v3, v213
	;; [unrolled: 1-line block ×7, first 2 shown]
	v_mul_lo_u32 v216, v216, v207
	v_dot4_i32_i8 v217, v185, v9, v213
	v_mul_lo_u32 v213, v220, v208
	v_mad_u64_u32 v[216:217], s[20:21], v217, v208, v[216:217]
	v_mad_u64_u32 v[217:218], s[20:21], v219, v207, v[213:214]
	v_mul_f32_e32 v213, v179, v61
	v_cvt_f32_i32_e32 v216, v216
	v_cvt_f32_i32_e32 v217, v217
	v_mul_f32_e32 v218, v179, v62
	v_fma_f32 v50, v218, v216, v50
	v_fmac_f32_e32 v49, v213, v217
	v_dot4_i32_i8 v213, v182, v2, 0
	v_dot4_i32_i8 v2, v191, v2, 0
	;; [unrolled: 1-line block ×7, first 2 shown]
	v_mul_lo_u32 v3, v3, v211
	v_dot4_i32_i8 v2, v199, v7, v2
	v_dot4_i32_i8 v2, v200, v8, v2
	;; [unrolled: 1-line block ×4, first 2 shown]
	v_mul_lo_u32 v2, v224, v212
	v_mad_u64_u32 v[3:4], s[20:21], v4, v212, v[3:4]
	v_dot4_i32_i8 v216, v187, v5, v213
	v_dot4_i32_i8 v213, v189, v6, 0
	v_mul_lo_u32 v216, v216, v209
	v_mad_u64_u32 v[4:5], s[20:21], v223, v211, v[2:3]
	v_dot4_i32_i8 v213, v190, v7, v213
	v_dot4_i32_i8 v213, v193, v8, v213
	;; [unrolled: 1-line block ×3, first 2 shown]
	v_mul_lo_u32 v213, v222, v210
	v_mad_u64_u32 v[216:217], s[20:21], v217, v210, v[216:217]
	v_cvt_f32_i32_e32 v4, v4
	v_cvt_f32_i32_e32 v3, v3
	v_mad_u64_u32 v[217:218], s[20:21], v221, v209, v[213:214]
	v_mul_f32_e32 v2, v197, v61
	v_mul_f32_e32 v5, v197, v62
	;; [unrolled: 1-line block ×4, first 2 shown]
	v_cvt_f32_i32_e32 v216, v216
	v_fma_f32 v54, v5, v3, v54
	v_fmac_f32_e32 v53, v2, v4
	ds_read2_b32 v[61:62], v173 offset0:128 offset1:160
	ds_read_b128 v[2:5], v172 offset:4096
	ds_read_b128 v[6:9], v172 offset:4112
	v_fma_f32 v52, v218, v216, v52
	v_cvt_f32_i32_e32 v217, v217
	s_waitcnt lgkmcnt(1)
	v_dot4_i32_i8 v216, v175, v2, 0
	v_dot4_i32_i8 v216, v176, v3, v216
	;; [unrolled: 1-line block ×4, first 2 shown]
	s_waitcnt lgkmcnt(0)
	v_dot4_i32_i8 v216, v180, v6, 0
	v_dot4_i32_i8 v216, v181, v7, v216
	;; [unrolled: 1-line block ×3, first 2 shown]
	v_fmac_f32_e32 v51, v213, v217
	v_dot4_i32_i8 v213, v63, v2, 0
	v_dot4_i32_i8 v220, v185, v9, v216
	;; [unrolled: 1-line block ×25, first 2 shown]
	ds_read_b128 v[2:5], v172 offset:5120
	ds_read_b128 v[6:9], v172 offset:5136
	v_mul_lo_u32 v213, v213, v215
	s_waitcnt lgkmcnt(1)
	v_dot4_i32_i8 v216, v63, v2, 0
	v_dot4_i32_i8 v216, v64, v3, v216
	;; [unrolled: 1-line block ×4, first 2 shown]
	s_waitcnt lgkmcnt(0)
	v_dot4_i32_i8 v217, v203, v6, 0
	v_mul_lo_u32 v216, v216, v214
	v_dot4_i32_i8 v217, v204, v7, v217
	v_dot4_i32_i8 v217, v205, v8, v217
	;; [unrolled: 1-line block ×3, first 2 shown]
	v_mad_u64_u32 v[216:217], s[20:21], v217, v215, v[216:217]
	v_mad_u64_u32 v[217:218], s[20:21], v218, v214, v[213:214]
	v_mul_f32_e32 v213, v174, v61
	v_cvt_f32_i32_e32 v216, v216
	v_cvt_f32_i32_e32 v217, v217
	v_mul_f32_e32 v218, v174, v62
	v_fma_f32 v40, v218, v216, v40
	v_fmac_f32_e32 v39, v213, v217
	v_dot4_i32_i8 v213, v175, v2, 0
	v_dot4_i32_i8 v213, v176, v3, v213
	;; [unrolled: 1-line block ×7, first 2 shown]
	v_mul_lo_u32 v216, v216, v207
	v_dot4_i32_i8 v217, v185, v9, v213
	v_mul_lo_u32 v213, v220, v208
	v_mad_u64_u32 v[216:217], s[20:21], v217, v208, v[216:217]
	v_mad_u64_u32 v[217:218], s[20:21], v219, v207, v[213:214]
	v_mul_f32_e32 v213, v179, v61
	v_cvt_f32_i32_e32 v216, v216
	v_cvt_f32_i32_e32 v217, v217
	v_mul_f32_e32 v218, v179, v62
	v_fma_f32 v42, v218, v216, v42
	v_fmac_f32_e32 v41, v213, v217
	v_dot4_i32_i8 v213, v182, v2, 0
	v_dot4_i32_i8 v2, v191, v2, 0
	;; [unrolled: 1-line block ×7, first 2 shown]
	v_mul_lo_u32 v3, v3, v211
	v_dot4_i32_i8 v2, v199, v7, v2
	v_dot4_i32_i8 v2, v200, v8, v2
	;; [unrolled: 1-line block ×4, first 2 shown]
	v_mul_lo_u32 v2, v224, v212
	v_mad_u64_u32 v[3:4], s[20:21], v4, v212, v[3:4]
	v_dot4_i32_i8 v216, v187, v5, v213
	v_dot4_i32_i8 v213, v189, v6, 0
	;; [unrolled: 1-line block ×4, first 2 shown]
	v_mul_lo_u32 v216, v216, v209
	v_dot4_i32_i8 v217, v194, v9, v213
	v_mul_lo_u32 v213, v222, v210
	v_mad_u64_u32 v[4:5], s[20:21], v223, v211, v[2:3]
	v_mad_u64_u32 v[216:217], s[20:21], v217, v210, v[216:217]
	;; [unrolled: 1-line block ×3, first 2 shown]
	v_cvt_f32_i32_e32 v4, v4
	v_cvt_f32_i32_e32 v3, v3
	v_mul_f32_e32 v2, v197, v61
	v_mul_f32_e32 v5, v197, v62
	;; [unrolled: 1-line block ×4, first 2 shown]
	v_cvt_f32_i32_e32 v217, v217
	v_fma_f32 v46, v5, v3, v46
	v_fmac_f32_e32 v45, v2, v4
	ds_read2_b32 v[61:62], v173 offset0:192 offset1:224
	ds_read_b128 v[2:5], v172 offset:6144
	ds_read_b128 v[6:9], v172 offset:6160
	v_fmac_f32_e32 v43, v213, v217
	v_cvt_f32_i32_e32 v216, v216
	v_add_u32_e32 v173, 4, v173
	s_waitcnt lgkmcnt(1)
	v_dot4_i32_i8 v213, v63, v2, 0
	v_dot4_i32_i8 v213, v64, v3, v213
	;; [unrolled: 1-line block ×4, first 2 shown]
	s_waitcnt lgkmcnt(0)
	v_dot4_i32_i8 v213, v203, v6, 0
	v_dot4_i32_i8 v213, v204, v7, v213
	;; [unrolled: 1-line block ×22, first 2 shown]
	v_fma_f32 v44, v218, v216, v44
	v_dot4_i32_i8 v218, v194, v9, v213
	v_dot4_i32_i8 v213, v196, v5, v2
	;; [unrolled: 1-line block ×6, first 2 shown]
	ds_read_b128 v[6:9], v172 offset:7168
	ds_read_b128 v[2:5], v172 offset:7184
	v_add_u32_e32 v172, 32, v172
	s_waitcnt lgkmcnt(1)
	v_dot4_i32_i8 v63, v63, v6, 0
	v_dot4_i32_i8 v63, v64, v7, v63
	;; [unrolled: 1-line block ×4, first 2 shown]
	s_waitcnt lgkmcnt(0)
	v_dot4_i32_i8 v64, v203, v2, 0
	v_mul_lo_u32 v63, v63, v214
	v_dot4_i32_i8 v64, v204, v3, v64
	v_dot4_i32_i8 v64, v205, v4, v64
	;; [unrolled: 1-line block ×3, first 2 shown]
	v_mul_lo_u32 v65, v222, v215
	v_mad_u64_u32 v[63:64], s[20:21], v64, v215, v[63:64]
	v_mad_u64_u32 v[64:65], s[20:21], v221, v214, v[65:66]
	v_cvt_f32_i32_e32 v63, v63
	v_mul_f32_e32 v65, v174, v61
	v_mul_f32_e32 v174, v174, v62
	v_cvt_f32_i32_e32 v64, v64
	v_fma_f32 v32, v174, v63, v32
	v_dot4_i32_i8 v63, v175, v6, 0
	v_dot4_i32_i8 v63, v176, v7, v63
	v_dot4_i32_i8 v63, v177, v8, v63
	v_fmac_f32_e32 v31, v65, v64
	v_dot4_i32_i8 v64, v178, v9, v63
	v_dot4_i32_i8 v63, v180, v2, 0
	v_mul_lo_u32 v64, v64, v207
	v_dot4_i32_i8 v63, v181, v3, v63
	v_dot4_i32_i8 v63, v184, v4, v63
	;; [unrolled: 1-line block ×3, first 2 shown]
	v_mul_lo_u32 v63, v220, v208
	v_mad_u64_u32 v[64:65], s[20:21], v65, v208, v[64:65]
	v_mul_f32_e32 v65, v179, v62
	v_mad_u64_u32 v[174:175], s[20:21], v219, v207, v[63:64]
	v_mul_f32_e32 v63, v179, v61
	v_cvt_f32_i32_e32 v64, v64
	v_cvt_f32_i32_e32 v174, v174
	v_fma_f32 v34, v65, v64, v34
	v_fmac_f32_e32 v33, v63, v174
	v_dot4_i32_i8 v63, v182, v6, 0
	v_dot4_i32_i8 v6, v191, v6, 0
	;; [unrolled: 1-line block ×11, first 2 shown]
	v_mul_lo_u32 v64, v64, v209
	v_dot4_i32_i8 v2, v199, v3, v2
	v_mul_lo_u32 v3, v6, v211
	v_dot4_i32_i8 v63, v193, v4, v63
	v_dot4_i32_i8 v2, v200, v4, v2
	;; [unrolled: 1-line block ×4, first 2 shown]
	v_mul_lo_u32 v63, v218, v210
	v_mad_u64_u32 v[64:65], s[20:21], v65, v210, v[64:65]
	v_mul_lo_u32 v2, v216, v212
	v_mad_u64_u32 v[3:4], s[20:21], v4, v212, v[3:4]
	v_mad_u64_u32 v[174:175], s[20:21], v217, v209, v[63:64]
	;; [unrolled: 1-line block ×3, first 2 shown]
	v_cvt_f32_i32_e32 v174, v174
	v_cvt_f32_i32_e32 v64, v64
	;; [unrolled: 1-line block ×4, first 2 shown]
	v_mul_f32_e32 v63, v188, v61
	v_mul_f32_e32 v65, v188, v62
	;; [unrolled: 1-line block ×4, first 2 shown]
	v_fma_f32 v36, v65, v64, v36
	v_fmac_f32_e32 v35, v63, v174
	v_fma_f32 v38, v5, v3, v38
	v_fmac_f32_e32 v37, v2, v4
	s_mov_b32 s20, s19
	s_cbranch_scc1 .LBB150_7
; %bb.8:                                ;   in Loop: Header=BB150_6 Depth=1
	v_add_u32_e32 v65, s16, v127
	v_add_u32_e32 v174, 4, v170
	;; [unrolled: 1-line block ×3, first 2 shown]
	v_mad_u64_u32 v[174:175], s[18:19], v174, 36, s[2:3]
	v_mad_i64_i32 v[2:3], s[18:19], v2, 36, v[29:30]
	v_add_u32_e32 v4, v65, v112
	v_mad_i64_i32 v[4:5], s[18:19], v4, 36, v[29:30]
	v_add_u32_e32 v6, v65, v113
	v_add_u32_e32 v8, v65, v114
	v_mad_i64_i32 v[6:7], s[18:19], v6, 36, v[29:30]
	v_mad_i64_i32 v[8:9], s[18:19], v8, 36, v[29:30]
	v_add_u32_e32 v61, v65, v115
	v_add_u32_e32 v63, v65, v116
	;; [unrolled: 1-line block ×4, first 2 shown]
	s_barrier
	v_mad_i64_i32 v[61:62], s[18:19], v61, 36, v[29:30]
	v_mad_i64_i32 v[63:64], s[18:19], v63, 36, v[29:30]
	;; [unrolled: 1-line block ×4, first 2 shown]
	global_load_dword v65, v[174:175], off
	s_nop 0
	global_load_dword v2, v[2:3], off offset:4
	s_nop 0
	global_load_dword v3, v[4:5], off offset:4
	;; [unrolled: 2-line block ×3, first 2 shown]
	global_load_dword v5, v[8:9], off offset:4
	s_nop 0
	global_load_dword v6, v[61:62], off offset:4
	global_load_dword v7, v[63:64], off offset:4
	;; [unrolled: 1-line block ×4, first 2 shown]
	s_mov_b32 s17, 4
	s_mov_b32 s18, 8
	;; [unrolled: 1-line block ×3, first 2 shown]
	v_mov_b32_e32 v172, v139
	v_mov_b32_e32 v173, v138
	s_waitcnt vmcnt(8)
	v_cvt_f32_f16_e32 v61, v65
	s_waitcnt vmcnt(7)
	ds_write_b32 v171, v2
	s_waitcnt vmcnt(6)
	ds_write_b32 v154, v3
	;; [unrolled: 2-line block ×8, first 2 shown]
	ds_write_b32 v109, v61
	s_waitcnt lgkmcnt(0)
	s_barrier
.LBB150_9:                              ;   Parent Loop BB150_6 Depth=1
                                        ; =>  This Inner Loop Header: Depth=2
	s_add_i32 s19, s20, 2
	s_lshr_b32 s24, s19, 4
	s_and_b32 s22, s19, 0x3ffffff8
	v_lshl_add_u32 v216, s22, 2, v119
	s_lshl_b32 s22, s24, 5
	s_addk_i32 s22, 0x4200
	v_add3_u32 v178, s22, v167, v120
	ds_read2_b32 v[61:62], v173 offset1:32
	ds_read_b128 v[6:9], v172
	ds_read_b128 v[2:5], v172 offset:16
	ds_read2_b32 v[63:64], v216 offset1:1
	ds_read2_b32 v[174:175], v178 offset1:1
	s_add_i32 s21, s20, -6
	s_and_b32 s23, s18, -16
	s_add_i32 s20, s20, s23
	s_waitcnt lgkmcnt(1)
	v_ashrrev_i32_e32 v63, s21, v63
	s_waitcnt lgkmcnt(0)
	v_ashrrev_i32_e32 v174, s17, v174
	v_lshlrev_b32_e32 v174, 2, v174
	v_and_b32_e32 v65, 0x3030303, v63
	v_bfe_u32 v63, v63, 24, 2
	v_and_b32_e32 v174, 0x4040404, v174
	v_sub_u16_e32 v176, v65, v174
	v_sub_u16_sdwa v177, v65, v174 dst_sel:BYTE_1 dst_unused:UNUSED_PAD src0_sel:BYTE_1 src1_sel:BYTE_1
	v_sub_u16_sdwa v63, v63, v174 dst_sel:BYTE_1 dst_unused:UNUSED_PAD src0_sel:DWORD src1_sel:BYTE_3
	v_sub_u16_sdwa v65, v65, v174 dst_sel:DWORD dst_unused:UNUSED_PAD src0_sel:WORD_1 src1_sel:WORD_1
	v_ashrrev_i32_e32 v174, s17, v175
	v_ashrrev_i32_e32 v64, s21, v64
	v_lshlrev_b32_e32 v174, 2, v174
	v_or_b32_sdwa v176, v176, v177 dst_sel:DWORD dst_unused:UNUSED_PAD src0_sel:BYTE_0 src1_sel:DWORD
	v_or_b32_sdwa v63, v65, v63 dst_sel:WORD_1 dst_unused:UNUSED_PAD src0_sel:BYTE_0 src1_sel:DWORD
	v_and_b32_e32 v65, 0x3030303, v64
	v_bfe_u32 v64, v64, 24, 2
	v_and_b32_e32 v174, 0x4040404, v174
	v_or_b32_sdwa v63, v176, v63 dst_sel:DWORD dst_unused:UNUSED_PAD src0_sel:WORD_0 src1_sel:DWORD
	v_sub_u16_e32 v175, v65, v174
	v_sub_u16_sdwa v176, v65, v174 dst_sel:BYTE_1 dst_unused:UNUSED_PAD src0_sel:BYTE_1 src1_sel:BYTE_1
	v_sub_u16_sdwa v64, v64, v174 dst_sel:BYTE_1 dst_unused:UNUSED_PAD src0_sel:DWORD src1_sel:BYTE_3
	v_sub_u16_sdwa v65, v65, v174 dst_sel:DWORD dst_unused:UNUSED_PAD src0_sel:WORD_1 src1_sel:WORD_1
	v_or_b32_sdwa v175, v175, v176 dst_sel:DWORD dst_unused:UNUSED_PAD src0_sel:BYTE_0 src1_sel:DWORD
	v_or_b32_sdwa v64, v65, v64 dst_sel:WORD_1 dst_unused:UNUSED_PAD src0_sel:BYTE_0 src1_sel:DWORD
	v_or_b32_sdwa v64, v175, v64 dst_sel:DWORD dst_unused:UNUSED_PAD src0_sel:WORD_0 src1_sel:DWORD
	ds_read2_b32 v[174:175], v216 offset0:2 offset1:3
	ds_read2_b32 v[176:177], v178 offset0:2 offset1:3
	s_lshl_b32 s23, s24, 2
	s_add_i32 s23, s23, 0x9380
	v_add3_u32 v184, s22, v161, v121
	s_waitcnt lgkmcnt(1)
	v_ashrrev_i32_e32 v65, s21, v174
	s_waitcnt lgkmcnt(0)
	v_ashrrev_i32_e32 v176, s17, v176
	v_lshlrev_b32_e32 v176, 2, v176
	v_and_b32_e32 v174, 0x3030303, v65
	v_bfe_u32 v65, v65, 24, 2
	v_and_b32_e32 v176, 0x4040404, v176
	v_sub_u16_e32 v179, v174, v176
	v_sub_u16_sdwa v180, v174, v176 dst_sel:BYTE_1 dst_unused:UNUSED_PAD src0_sel:BYTE_1 src1_sel:BYTE_1
	v_sub_u16_sdwa v65, v65, v176 dst_sel:BYTE_1 dst_unused:UNUSED_PAD src0_sel:DWORD src1_sel:BYTE_3
	v_sub_u16_sdwa v174, v174, v176 dst_sel:DWORD dst_unused:UNUSED_PAD src0_sel:WORD_1 src1_sel:WORD_1
	v_ashrrev_i32_e32 v176, s17, v177
	v_or_b32_sdwa v65, v174, v65 dst_sel:WORD_1 dst_unused:UNUSED_PAD src0_sel:BYTE_0 src1_sel:DWORD
	v_ashrrev_i32_e32 v174, s21, v175
	v_lshlrev_b32_e32 v176, 2, v176
	v_or_b32_sdwa v179, v179, v180 dst_sel:DWORD dst_unused:UNUSED_PAD src0_sel:BYTE_0 src1_sel:DWORD
	v_and_b32_e32 v175, 0x3030303, v174
	v_bfe_u32 v174, v174, 24, 2
	v_and_b32_e32 v176, 0x4040404, v176
	v_or_b32_sdwa v65, v179, v65 dst_sel:DWORD dst_unused:UNUSED_PAD src0_sel:WORD_0 src1_sel:DWORD
	v_sub_u16_e32 v177, v175, v176
	v_sub_u16_sdwa v179, v175, v176 dst_sel:BYTE_1 dst_unused:UNUSED_PAD src0_sel:BYTE_1 src1_sel:BYTE_1
	v_sub_u16_sdwa v174, v174, v176 dst_sel:BYTE_1 dst_unused:UNUSED_PAD src0_sel:DWORD src1_sel:BYTE_3
	v_sub_u16_sdwa v175, v175, v176 dst_sel:DWORD dst_unused:UNUSED_PAD src0_sel:WORD_1 src1_sel:WORD_1
	v_or_b32_sdwa v177, v177, v179 dst_sel:DWORD dst_unused:UNUSED_PAD src0_sel:BYTE_0 src1_sel:DWORD
	v_or_b32_sdwa v174, v175, v174 dst_sel:WORD_1 dst_unused:UNUSED_PAD src0_sel:BYTE_0 src1_sel:DWORD
	v_or_b32_sdwa v202, v177, v174 dst_sel:DWORD dst_unused:UNUSED_PAD src0_sel:WORD_0 src1_sel:DWORD
	ds_read2_b32 v[174:175], v216 offset0:4 offset1:5
	ds_read2_b32 v[176:177], v178 offset0:4 offset1:5
	v_add3_u32 v193, s22, v163, v123
	v_add3_u32 v217, s22, v165, v125
	v_add_u32_e32 v208, s20, v130
	s_waitcnt lgkmcnt(1)
	v_ashrrev_i32_e32 v174, s21, v174
	s_waitcnt lgkmcnt(0)
	v_ashrrev_i32_e32 v176, s17, v176
	v_lshlrev_b32_e32 v176, 2, v176
	v_and_b32_e32 v179, 0x3030303, v174
	v_bfe_u32 v174, v174, 24, 2
	v_and_b32_e32 v176, 0x4040404, v176
	v_sub_u16_e32 v180, v179, v176
	v_sub_u16_sdwa v181, v179, v176 dst_sel:BYTE_1 dst_unused:UNUSED_PAD src0_sel:BYTE_1 src1_sel:BYTE_1
	v_sub_u16_sdwa v174, v174, v176 dst_sel:BYTE_1 dst_unused:UNUSED_PAD src0_sel:DWORD src1_sel:BYTE_3
	v_sub_u16_sdwa v176, v179, v176 dst_sel:DWORD dst_unused:UNUSED_PAD src0_sel:WORD_1 src1_sel:WORD_1
	v_or_b32_sdwa v180, v180, v181 dst_sel:DWORD dst_unused:UNUSED_PAD src0_sel:BYTE_0 src1_sel:DWORD
	v_or_b32_sdwa v174, v176, v174 dst_sel:WORD_1 dst_unused:UNUSED_PAD src0_sel:BYTE_0 src1_sel:DWORD
	v_ashrrev_i32_e32 v176, s17, v177
	v_or_b32_sdwa v203, v180, v174 dst_sel:DWORD dst_unused:UNUSED_PAD src0_sel:WORD_0 src1_sel:DWORD
	v_ashrrev_i32_e32 v174, s21, v175
	v_lshlrev_b32_e32 v176, 2, v176
	v_and_b32_e32 v175, 0x3030303, v174
	v_bfe_u32 v174, v174, 24, 2
	v_and_b32_e32 v176, 0x4040404, v176
	v_sub_u16_e32 v177, v175, v176
	v_sub_u16_sdwa v179, v175, v176 dst_sel:BYTE_1 dst_unused:UNUSED_PAD src0_sel:BYTE_1 src1_sel:BYTE_1
	v_sub_u16_sdwa v174, v174, v176 dst_sel:BYTE_1 dst_unused:UNUSED_PAD src0_sel:DWORD src1_sel:BYTE_3
	v_sub_u16_sdwa v175, v175, v176 dst_sel:DWORD dst_unused:UNUSED_PAD src0_sel:WORD_1 src1_sel:WORD_1
	v_or_b32_sdwa v177, v177, v179 dst_sel:DWORD dst_unused:UNUSED_PAD src0_sel:BYTE_0 src1_sel:DWORD
	v_or_b32_sdwa v174, v175, v174 dst_sel:WORD_1 dst_unused:UNUSED_PAD src0_sel:BYTE_0 src1_sel:DWORD
	v_or_b32_sdwa v204, v177, v174 dst_sel:DWORD dst_unused:UNUSED_PAD src0_sel:WORD_0 src1_sel:DWORD
	ds_read2_b32 v[174:175], v216 offset0:6 offset1:7
	ds_read2_b32 v[176:177], v178 offset0:6 offset1:7
	v_add_u32_e32 v211, s20, v132
	v_add_u32_e32 v214, s20, v134
	s_add_i32 s18, s18, 2
	s_waitcnt lgkmcnt(1)
	v_ashrrev_i32_e32 v174, s21, v174
	s_waitcnt lgkmcnt(0)
	v_ashrrev_i32_e32 v176, s17, v176
	v_lshlrev_b32_e32 v176, 2, v176
	v_and_b32_e32 v179, 0x3030303, v174
	v_bfe_u32 v174, v174, 24, 2
	v_and_b32_e32 v176, 0x4040404, v176
	v_sub_u16_e32 v178, v179, v176
	v_sub_u16_sdwa v180, v179, v176 dst_sel:BYTE_1 dst_unused:UNUSED_PAD src0_sel:BYTE_1 src1_sel:BYTE_1
	v_sub_u16_sdwa v174, v174, v176 dst_sel:BYTE_1 dst_unused:UNUSED_PAD src0_sel:DWORD src1_sel:BYTE_3
	v_sub_u16_sdwa v176, v179, v176 dst_sel:DWORD dst_unused:UNUSED_PAD src0_sel:WORD_1 src1_sel:WORD_1
	v_or_b32_sdwa v178, v178, v180 dst_sel:DWORD dst_unused:UNUSED_PAD src0_sel:BYTE_0 src1_sel:DWORD
	v_or_b32_sdwa v174, v176, v174 dst_sel:WORD_1 dst_unused:UNUSED_PAD src0_sel:BYTE_0 src1_sel:DWORD
	v_ashrrev_i32_e32 v176, s17, v177
	v_or_b32_sdwa v205, v178, v174 dst_sel:DWORD dst_unused:UNUSED_PAD src0_sel:WORD_0 src1_sel:DWORD
	v_ashrrev_i32_e32 v174, s21, v175
	v_lshlrev_b32_e32 v176, 2, v176
	v_and_b32_e32 v175, 0x3030303, v174
	v_bfe_u32 v174, v174, 24, 2
	v_and_b32_e32 v176, 0x4040404, v176
	v_sub_u16_e32 v177, v175, v176
	v_sub_u16_sdwa v178, v175, v176 dst_sel:BYTE_1 dst_unused:UNUSED_PAD src0_sel:BYTE_1 src1_sel:BYTE_1
	v_sub_u16_sdwa v174, v174, v176 dst_sel:BYTE_1 dst_unused:UNUSED_PAD src0_sel:DWORD src1_sel:BYTE_3
	v_sub_u16_sdwa v175, v175, v176 dst_sel:DWORD dst_unused:UNUSED_PAD src0_sel:WORD_1 src1_sel:WORD_1
	v_or_b32_sdwa v174, v175, v174 dst_sel:WORD_1 dst_unused:UNUSED_PAD src0_sel:BYTE_0 src1_sel:DWORD
	v_dot4_i32_i8 v175, v63, v6, 0
	v_dot4_i32_i8 v175, v64, v7, v175
	;; [unrolled: 1-line block ×5, first 2 shown]
	v_or_b32_sdwa v177, v177, v178 dst_sel:DWORD dst_unused:UNUSED_PAD src0_sel:BYTE_0 src1_sel:DWORD
	v_dot4_i32_i8 v175, v204, v3, v175
	v_or_b32_sdwa v206, v177, v174 dst_sel:DWORD dst_unused:UNUSED_PAD src0_sel:WORD_0 src1_sel:DWORD
	v_dot4_i32_i8 v175, v205, v4, v175
	v_add3_u32 v174, s23, v168, v169
	v_dot4_i32_i8 v209, v206, v5, v175
	v_add_u32_e32 v175, 0x1080, v216
	ds_read_b32 v174, v174
	ds_read2_b32 v[175:176], v175 offset1:1
	ds_read2_b32 v[177:178], v184 offset1:1
	s_waitcnt lgkmcnt(1)
	v_ashrrev_i32_e32 v175, s21, v175
	s_waitcnt lgkmcnt(0)
	v_ashrrev_i32_e32 v177, s17, v177
	v_lshlrev_b32_e32 v177, 2, v177
	v_and_b32_e32 v179, 0x3030303, v175
	v_bfe_u32 v175, v175, 24, 2
	v_and_b32_e32 v177, 0x4040404, v177
	v_ashrrev_i32_e32 v178, s17, v178
	v_sub_u16_e32 v180, v179, v177
	v_sub_u16_sdwa v181, v179, v177 dst_sel:BYTE_1 dst_unused:UNUSED_PAD src0_sel:BYTE_1 src1_sel:BYTE_1
	v_sub_u16_sdwa v175, v175, v177 dst_sel:BYTE_1 dst_unused:UNUSED_PAD src0_sel:DWORD src1_sel:BYTE_3
	v_sub_u16_sdwa v177, v179, v177 dst_sel:DWORD dst_unused:UNUSED_PAD src0_sel:WORD_1 src1_sel:WORD_1
	v_ashrrev_i32_e32 v176, s21, v176
	v_lshlrev_b32_e32 v178, 2, v178
	v_or_b32_sdwa v180, v180, v181 dst_sel:DWORD dst_unused:UNUSED_PAD src0_sel:BYTE_0 src1_sel:DWORD
	v_or_b32_sdwa v175, v177, v175 dst_sel:WORD_1 dst_unused:UNUSED_PAD src0_sel:BYTE_0 src1_sel:DWORD
	v_and_b32_e32 v177, 0x3030303, v176
	v_bfe_u32 v176, v176, 24, 2
	v_and_b32_e32 v178, 0x4040404, v178
	v_or_b32_sdwa v175, v180, v175 dst_sel:DWORD dst_unused:UNUSED_PAD src0_sel:WORD_0 src1_sel:DWORD
	v_sub_u16_e32 v179, v177, v178
	v_sub_u16_sdwa v180, v177, v178 dst_sel:BYTE_1 dst_unused:UNUSED_PAD src0_sel:BYTE_1 src1_sel:BYTE_1
	v_sub_u16_sdwa v176, v176, v178 dst_sel:BYTE_1 dst_unused:UNUSED_PAD src0_sel:DWORD src1_sel:BYTE_3
	v_sub_u16_sdwa v177, v177, v178 dst_sel:DWORD dst_unused:UNUSED_PAD src0_sel:WORD_1 src1_sel:WORD_1
	v_or_b32_sdwa v179, v179, v180 dst_sel:DWORD dst_unused:UNUSED_PAD src0_sel:BYTE_0 src1_sel:DWORD
	v_or_b32_sdwa v176, v177, v176 dst_sel:WORD_1 dst_unused:UNUSED_PAD src0_sel:BYTE_0 src1_sel:DWORD
	v_add_u32_e32 v177, 0x1088, v216
	v_or_b32_sdwa v176, v179, v176 dst_sel:DWORD dst_unused:UNUSED_PAD src0_sel:WORD_0 src1_sel:DWORD
	ds_read2_b32 v[177:178], v177 offset1:1
	ds_read2_b32 v[179:180], v184 offset0:2 offset1:3
	s_waitcnt lgkmcnt(1)
	v_ashrrev_i32_e32 v177, s21, v177
	s_waitcnt lgkmcnt(0)
	v_ashrrev_i32_e32 v179, s17, v179
	v_lshlrev_b32_e32 v179, 2, v179
	v_and_b32_e32 v181, 0x3030303, v177
	v_bfe_u32 v177, v177, 24, 2
	v_and_b32_e32 v179, 0x4040404, v179
	v_ashrrev_i32_e32 v180, s17, v180
	v_sub_u16_e32 v182, v181, v179
	v_sub_u16_sdwa v183, v181, v179 dst_sel:BYTE_1 dst_unused:UNUSED_PAD src0_sel:BYTE_1 src1_sel:BYTE_1
	v_sub_u16_sdwa v177, v177, v179 dst_sel:BYTE_1 dst_unused:UNUSED_PAD src0_sel:DWORD src1_sel:BYTE_3
	v_sub_u16_sdwa v179, v181, v179 dst_sel:DWORD dst_unused:UNUSED_PAD src0_sel:WORD_1 src1_sel:WORD_1
	v_ashrrev_i32_e32 v178, s21, v178
	v_lshlrev_b32_e32 v180, 2, v180
	v_or_b32_sdwa v182, v182, v183 dst_sel:DWORD dst_unused:UNUSED_PAD src0_sel:BYTE_0 src1_sel:DWORD
	v_or_b32_sdwa v177, v179, v177 dst_sel:WORD_1 dst_unused:UNUSED_PAD src0_sel:BYTE_0 src1_sel:DWORD
	v_and_b32_e32 v179, 0x3030303, v178
	v_bfe_u32 v178, v178, 24, 2
	v_and_b32_e32 v180, 0x4040404, v180
	v_or_b32_sdwa v177, v182, v177 dst_sel:DWORD dst_unused:UNUSED_PAD src0_sel:WORD_0 src1_sel:DWORD
	v_sub_u16_e32 v181, v179, v180
	v_sub_u16_sdwa v182, v179, v180 dst_sel:BYTE_1 dst_unused:UNUSED_PAD src0_sel:BYTE_1 src1_sel:BYTE_1
	v_sub_u16_sdwa v178, v178, v180 dst_sel:BYTE_1 dst_unused:UNUSED_PAD src0_sel:DWORD src1_sel:BYTE_3
	v_sub_u16_sdwa v179, v179, v180 dst_sel:DWORD dst_unused:UNUSED_PAD src0_sel:WORD_1 src1_sel:WORD_1
	v_or_b32_sdwa v181, v181, v182 dst_sel:DWORD dst_unused:UNUSED_PAD src0_sel:BYTE_0 src1_sel:DWORD
	v_or_b32_sdwa v178, v179, v178 dst_sel:WORD_1 dst_unused:UNUSED_PAD src0_sel:BYTE_0 src1_sel:DWORD
	v_add_u32_e32 v179, 0x1090, v216
	v_or_b32_sdwa v178, v181, v178 dst_sel:DWORD dst_unused:UNUSED_PAD src0_sel:WORD_0 src1_sel:DWORD
	ds_read2_b32 v[180:181], v179 offset1:1
	ds_read2_b32 v[182:183], v184 offset0:4 offset1:5
	s_waitcnt lgkmcnt(1)
	v_ashrrev_i32_e32 v179, s21, v180
	s_waitcnt lgkmcnt(0)
	v_ashrrev_i32_e32 v182, s17, v182
	v_lshlrev_b32_e32 v182, 2, v182
	v_and_b32_e32 v180, 0x3030303, v179
	v_bfe_u32 v179, v179, 24, 2
	v_and_b32_e32 v182, 0x4040404, v182
	v_sub_u16_e32 v185, v180, v182
	v_sub_u16_sdwa v186, v180, v182 dst_sel:BYTE_1 dst_unused:UNUSED_PAD src0_sel:BYTE_1 src1_sel:BYTE_1
	v_sub_u16_sdwa v179, v179, v182 dst_sel:BYTE_1 dst_unused:UNUSED_PAD src0_sel:DWORD src1_sel:BYTE_3
	v_sub_u16_sdwa v180, v180, v182 dst_sel:DWORD dst_unused:UNUSED_PAD src0_sel:WORD_1 src1_sel:WORD_1
	v_or_b32_sdwa v185, v185, v186 dst_sel:DWORD dst_unused:UNUSED_PAD src0_sel:BYTE_0 src1_sel:DWORD
	v_or_b32_sdwa v179, v180, v179 dst_sel:WORD_1 dst_unused:UNUSED_PAD src0_sel:BYTE_0 src1_sel:DWORD
	v_ashrrev_i32_e32 v182, s17, v183
	v_or_b32_sdwa v180, v185, v179 dst_sel:DWORD dst_unused:UNUSED_PAD src0_sel:WORD_0 src1_sel:DWORD
	v_ashrrev_i32_e32 v179, s21, v181
	v_lshlrev_b32_e32 v182, 2, v182
	v_and_b32_e32 v181, 0x3030303, v179
	v_bfe_u32 v179, v179, 24, 2
	v_and_b32_e32 v182, 0x4040404, v182
	v_sub_u16_e32 v183, v181, v182
	v_sub_u16_sdwa v185, v181, v182 dst_sel:BYTE_1 dst_unused:UNUSED_PAD src0_sel:BYTE_1 src1_sel:BYTE_1
	v_sub_u16_sdwa v179, v179, v182 dst_sel:BYTE_1 dst_unused:UNUSED_PAD src0_sel:DWORD src1_sel:BYTE_3
	v_sub_u16_sdwa v181, v181, v182 dst_sel:DWORD dst_unused:UNUSED_PAD src0_sel:WORD_1 src1_sel:WORD_1
	v_or_b32_sdwa v183, v183, v185 dst_sel:DWORD dst_unused:UNUSED_PAD src0_sel:BYTE_0 src1_sel:DWORD
	v_or_b32_sdwa v179, v181, v179 dst_sel:WORD_1 dst_unused:UNUSED_PAD src0_sel:BYTE_0 src1_sel:DWORD
	v_or_b32_sdwa v181, v183, v179 dst_sel:DWORD dst_unused:UNUSED_PAD src0_sel:WORD_0 src1_sel:DWORD
	v_add_u32_e32 v179, 0x1098, v216
	ds_read2_b32 v[182:183], v179 offset1:1
	ds_read2_b32 v[184:185], v184 offset0:6 offset1:7
	s_waitcnt lgkmcnt(1)
	v_ashrrev_i32_e32 v179, s21, v182
	s_waitcnt lgkmcnt(0)
	v_ashrrev_i32_e32 v184, s17, v184
	v_lshlrev_b32_e32 v184, 2, v184
	v_and_b32_e32 v182, 0x3030303, v179
	v_bfe_u32 v179, v179, 24, 2
	v_and_b32_e32 v184, 0x4040404, v184
	v_sub_u16_e32 v186, v182, v184
	v_sub_u16_sdwa v187, v182, v184 dst_sel:BYTE_1 dst_unused:UNUSED_PAD src0_sel:BYTE_1 src1_sel:BYTE_1
	v_sub_u16_sdwa v179, v179, v184 dst_sel:BYTE_1 dst_unused:UNUSED_PAD src0_sel:DWORD src1_sel:BYTE_3
	v_sub_u16_sdwa v182, v182, v184 dst_sel:DWORD dst_unused:UNUSED_PAD src0_sel:WORD_1 src1_sel:WORD_1
	v_or_b32_sdwa v186, v186, v187 dst_sel:DWORD dst_unused:UNUSED_PAD src0_sel:BYTE_0 src1_sel:DWORD
	v_or_b32_sdwa v179, v182, v179 dst_sel:WORD_1 dst_unused:UNUSED_PAD src0_sel:BYTE_0 src1_sel:DWORD
	v_or_b32_sdwa v184, v186, v179 dst_sel:DWORD dst_unused:UNUSED_PAD src0_sel:WORD_0 src1_sel:DWORD
	v_ashrrev_i32_e32 v179, s21, v183
	v_ashrrev_i32_e32 v183, s17, v185
	v_lshlrev_b32_e32 v183, 2, v183
	v_and_b32_e32 v182, 0x3030303, v179
	v_bfe_u32 v179, v179, 24, 2
	v_and_b32_e32 v183, 0x4040404, v183
	v_sub_u16_e32 v185, v182, v183
	v_sub_u16_sdwa v186, v182, v183 dst_sel:BYTE_1 dst_unused:UNUSED_PAD src0_sel:BYTE_1 src1_sel:BYTE_1
	v_sub_u16_sdwa v179, v179, v183 dst_sel:BYTE_1 dst_unused:UNUSED_PAD src0_sel:DWORD src1_sel:BYTE_3
	v_sub_u16_sdwa v182, v182, v183 dst_sel:DWORD dst_unused:UNUSED_PAD src0_sel:WORD_1 src1_sel:WORD_1
	v_or_b32_sdwa v179, v182, v179 dst_sel:WORD_1 dst_unused:UNUSED_PAD src0_sel:BYTE_0 src1_sel:DWORD
	v_dot4_i32_i8 v182, v175, v6, 0
	v_dot4_i32_i8 v182, v176, v7, v182
	;; [unrolled: 1-line block ×5, first 2 shown]
	v_or_b32_sdwa v185, v185, v186 dst_sel:DWORD dst_unused:UNUSED_PAD src0_sel:BYTE_0 src1_sel:DWORD
	v_dot4_i32_i8 v182, v181, v3, v182
	v_or_b32_sdwa v185, v185, v179 dst_sel:DWORD dst_unused:UNUSED_PAD src0_sel:WORD_0 src1_sel:DWORD
	v_dot4_i32_i8 v182, v184, v4, v182
	v_add3_u32 v179, s23, v162, v122
	v_dot4_i32_i8 v213, v185, v5, v182
	v_add_u32_e32 v182, 0x2100, v216
	ds_read_b32 v179, v179
	ds_read2_b32 v[182:183], v182 offset1:1
	ds_read2_b32 v[186:187], v193 offset1:1
	s_waitcnt lgkmcnt(1)
	v_ashrrev_i32_e32 v182, s21, v182
	s_waitcnt lgkmcnt(0)
	v_ashrrev_i32_e32 v186, s17, v186
	v_lshlrev_b32_e32 v186, 2, v186
	v_and_b32_e32 v188, 0x3030303, v182
	v_bfe_u32 v182, v182, 24, 2
	v_and_b32_e32 v186, 0x4040404, v186
	v_ashrrev_i32_e32 v187, s17, v187
	v_sub_u16_e32 v189, v188, v186
	v_sub_u16_sdwa v190, v188, v186 dst_sel:BYTE_1 dst_unused:UNUSED_PAD src0_sel:BYTE_1 src1_sel:BYTE_1
	v_sub_u16_sdwa v182, v182, v186 dst_sel:BYTE_1 dst_unused:UNUSED_PAD src0_sel:DWORD src1_sel:BYTE_3
	v_sub_u16_sdwa v186, v188, v186 dst_sel:DWORD dst_unused:UNUSED_PAD src0_sel:WORD_1 src1_sel:WORD_1
	v_ashrrev_i32_e32 v183, s21, v183
	v_lshlrev_b32_e32 v187, 2, v187
	v_or_b32_sdwa v189, v189, v190 dst_sel:DWORD dst_unused:UNUSED_PAD src0_sel:BYTE_0 src1_sel:DWORD
	v_or_b32_sdwa v182, v186, v182 dst_sel:WORD_1 dst_unused:UNUSED_PAD src0_sel:BYTE_0 src1_sel:DWORD
	v_and_b32_e32 v186, 0x3030303, v183
	v_bfe_u32 v183, v183, 24, 2
	v_and_b32_e32 v187, 0x4040404, v187
	v_or_b32_sdwa v182, v189, v182 dst_sel:DWORD dst_unused:UNUSED_PAD src0_sel:WORD_0 src1_sel:DWORD
	v_sub_u16_e32 v188, v186, v187
	v_sub_u16_sdwa v189, v186, v187 dst_sel:BYTE_1 dst_unused:UNUSED_PAD src0_sel:BYTE_1 src1_sel:BYTE_1
	v_sub_u16_sdwa v183, v183, v187 dst_sel:BYTE_1 dst_unused:UNUSED_PAD src0_sel:DWORD src1_sel:BYTE_3
	v_sub_u16_sdwa v186, v186, v187 dst_sel:DWORD dst_unused:UNUSED_PAD src0_sel:WORD_1 src1_sel:WORD_1
	v_or_b32_sdwa v188, v188, v189 dst_sel:DWORD dst_unused:UNUSED_PAD src0_sel:BYTE_0 src1_sel:DWORD
	v_or_b32_sdwa v183, v186, v183 dst_sel:WORD_1 dst_unused:UNUSED_PAD src0_sel:BYTE_0 src1_sel:DWORD
	v_add_u32_e32 v186, 0x2108, v216
	v_or_b32_sdwa v183, v188, v183 dst_sel:DWORD dst_unused:UNUSED_PAD src0_sel:WORD_0 src1_sel:DWORD
	ds_read2_b32 v[186:187], v186 offset1:1
	ds_read2_b32 v[188:189], v193 offset0:2 offset1:3
	s_waitcnt lgkmcnt(1)
	v_ashrrev_i32_e32 v186, s21, v186
	s_waitcnt lgkmcnt(0)
	v_ashrrev_i32_e32 v188, s17, v188
	v_lshlrev_b32_e32 v188, 2, v188
	v_and_b32_e32 v190, 0x3030303, v186
	v_bfe_u32 v186, v186, 24, 2
	v_and_b32_e32 v188, 0x4040404, v188
	v_ashrrev_i32_e32 v189, s17, v189
	v_sub_u16_e32 v191, v190, v188
	v_sub_u16_sdwa v192, v190, v188 dst_sel:BYTE_1 dst_unused:UNUSED_PAD src0_sel:BYTE_1 src1_sel:BYTE_1
	v_sub_u16_sdwa v186, v186, v188 dst_sel:BYTE_1 dst_unused:UNUSED_PAD src0_sel:DWORD src1_sel:BYTE_3
	v_sub_u16_sdwa v188, v190, v188 dst_sel:DWORD dst_unused:UNUSED_PAD src0_sel:WORD_1 src1_sel:WORD_1
	v_ashrrev_i32_e32 v187, s21, v187
	v_lshlrev_b32_e32 v189, 2, v189
	v_or_b32_sdwa v191, v191, v192 dst_sel:DWORD dst_unused:UNUSED_PAD src0_sel:BYTE_0 src1_sel:DWORD
	v_or_b32_sdwa v186, v188, v186 dst_sel:WORD_1 dst_unused:UNUSED_PAD src0_sel:BYTE_0 src1_sel:DWORD
	v_and_b32_e32 v188, 0x3030303, v187
	v_bfe_u32 v187, v187, 24, 2
	v_and_b32_e32 v189, 0x4040404, v189
	v_or_b32_sdwa v186, v191, v186 dst_sel:DWORD dst_unused:UNUSED_PAD src0_sel:WORD_0 src1_sel:DWORD
	v_sub_u16_e32 v190, v188, v189
	v_sub_u16_sdwa v191, v188, v189 dst_sel:BYTE_1 dst_unused:UNUSED_PAD src0_sel:BYTE_1 src1_sel:BYTE_1
	v_sub_u16_sdwa v187, v187, v189 dst_sel:BYTE_1 dst_unused:UNUSED_PAD src0_sel:DWORD src1_sel:BYTE_3
	v_sub_u16_sdwa v188, v188, v189 dst_sel:DWORD dst_unused:UNUSED_PAD src0_sel:WORD_1 src1_sel:WORD_1
	v_or_b32_sdwa v190, v190, v191 dst_sel:DWORD dst_unused:UNUSED_PAD src0_sel:BYTE_0 src1_sel:DWORD
	v_or_b32_sdwa v187, v188, v187 dst_sel:WORD_1 dst_unused:UNUSED_PAD src0_sel:BYTE_0 src1_sel:DWORD
	v_add_u32_e32 v188, 0x2110, v216
	v_or_b32_sdwa v187, v190, v187 dst_sel:DWORD dst_unused:UNUSED_PAD src0_sel:WORD_0 src1_sel:DWORD
	ds_read2_b32 v[189:190], v188 offset1:1
	ds_read2_b32 v[191:192], v193 offset0:4 offset1:5
	s_waitcnt lgkmcnt(1)
	v_ashrrev_i32_e32 v188, s21, v189
	s_waitcnt lgkmcnt(0)
	v_ashrrev_i32_e32 v191, s17, v191
	v_lshlrev_b32_e32 v191, 2, v191
	v_and_b32_e32 v189, 0x3030303, v188
	v_bfe_u32 v188, v188, 24, 2
	v_and_b32_e32 v191, 0x4040404, v191
	v_sub_u16_e32 v194, v189, v191
	v_sub_u16_sdwa v195, v189, v191 dst_sel:BYTE_1 dst_unused:UNUSED_PAD src0_sel:BYTE_1 src1_sel:BYTE_1
	v_sub_u16_sdwa v188, v188, v191 dst_sel:BYTE_1 dst_unused:UNUSED_PAD src0_sel:DWORD src1_sel:BYTE_3
	v_sub_u16_sdwa v189, v189, v191 dst_sel:DWORD dst_unused:UNUSED_PAD src0_sel:WORD_1 src1_sel:WORD_1
	v_or_b32_sdwa v194, v194, v195 dst_sel:DWORD dst_unused:UNUSED_PAD src0_sel:BYTE_0 src1_sel:DWORD
	v_or_b32_sdwa v188, v189, v188 dst_sel:WORD_1 dst_unused:UNUSED_PAD src0_sel:BYTE_0 src1_sel:DWORD
	v_ashrrev_i32_e32 v191, s17, v192
	v_or_b32_sdwa v189, v194, v188 dst_sel:DWORD dst_unused:UNUSED_PAD src0_sel:WORD_0 src1_sel:DWORD
	v_ashrrev_i32_e32 v188, s21, v190
	v_lshlrev_b32_e32 v191, 2, v191
	v_and_b32_e32 v190, 0x3030303, v188
	v_bfe_u32 v188, v188, 24, 2
	v_and_b32_e32 v191, 0x4040404, v191
	v_sub_u16_e32 v192, v190, v191
	v_sub_u16_sdwa v194, v190, v191 dst_sel:BYTE_1 dst_unused:UNUSED_PAD src0_sel:BYTE_1 src1_sel:BYTE_1
	v_sub_u16_sdwa v188, v188, v191 dst_sel:BYTE_1 dst_unused:UNUSED_PAD src0_sel:DWORD src1_sel:BYTE_3
	v_sub_u16_sdwa v190, v190, v191 dst_sel:DWORD dst_unused:UNUSED_PAD src0_sel:WORD_1 src1_sel:WORD_1
	v_or_b32_sdwa v192, v192, v194 dst_sel:DWORD dst_unused:UNUSED_PAD src0_sel:BYTE_0 src1_sel:DWORD
	v_or_b32_sdwa v188, v190, v188 dst_sel:WORD_1 dst_unused:UNUSED_PAD src0_sel:BYTE_0 src1_sel:DWORD
	v_or_b32_sdwa v190, v192, v188 dst_sel:DWORD dst_unused:UNUSED_PAD src0_sel:WORD_0 src1_sel:DWORD
	v_add_u32_e32 v188, 0x2118, v216
	ds_read2_b32 v[191:192], v188 offset1:1
	ds_read2_b32 v[193:194], v193 offset0:6 offset1:7
	s_waitcnt lgkmcnt(1)
	v_ashrrev_i32_e32 v188, s21, v191
	s_waitcnt lgkmcnt(0)
	v_ashrrev_i32_e32 v193, s17, v193
	v_lshlrev_b32_e32 v193, 2, v193
	v_and_b32_e32 v191, 0x3030303, v188
	v_bfe_u32 v188, v188, 24, 2
	v_and_b32_e32 v193, 0x4040404, v193
	v_sub_u16_e32 v195, v191, v193
	v_sub_u16_sdwa v196, v191, v193 dst_sel:BYTE_1 dst_unused:UNUSED_PAD src0_sel:BYTE_1 src1_sel:BYTE_1
	v_sub_u16_sdwa v188, v188, v193 dst_sel:BYTE_1 dst_unused:UNUSED_PAD src0_sel:DWORD src1_sel:BYTE_3
	v_sub_u16_sdwa v191, v191, v193 dst_sel:DWORD dst_unused:UNUSED_PAD src0_sel:WORD_1 src1_sel:WORD_1
	v_or_b32_sdwa v195, v195, v196 dst_sel:DWORD dst_unused:UNUSED_PAD src0_sel:BYTE_0 src1_sel:DWORD
	v_or_b32_sdwa v188, v191, v188 dst_sel:WORD_1 dst_unused:UNUSED_PAD src0_sel:BYTE_0 src1_sel:DWORD
	v_or_b32_sdwa v193, v195, v188 dst_sel:DWORD dst_unused:UNUSED_PAD src0_sel:WORD_0 src1_sel:DWORD
	v_ashrrev_i32_e32 v188, s21, v192
	v_ashrrev_i32_e32 v192, s17, v194
	v_lshlrev_b32_e32 v192, 2, v192
	v_and_b32_e32 v191, 0x3030303, v188
	v_bfe_u32 v188, v188, 24, 2
	v_and_b32_e32 v192, 0x4040404, v192
	v_sub_u16_e32 v194, v191, v192
	v_sub_u16_sdwa v195, v191, v192 dst_sel:BYTE_1 dst_unused:UNUSED_PAD src0_sel:BYTE_1 src1_sel:BYTE_1
	v_sub_u16_sdwa v188, v188, v192 dst_sel:BYTE_1 dst_unused:UNUSED_PAD src0_sel:DWORD src1_sel:BYTE_3
	v_sub_u16_sdwa v191, v191, v192 dst_sel:DWORD dst_unused:UNUSED_PAD src0_sel:WORD_1 src1_sel:WORD_1
	v_or_b32_sdwa v188, v191, v188 dst_sel:WORD_1 dst_unused:UNUSED_PAD src0_sel:BYTE_0 src1_sel:DWORD
	v_dot4_i32_i8 v191, v182, v6, 0
	v_dot4_i32_i8 v191, v183, v7, v191
	;; [unrolled: 1-line block ×5, first 2 shown]
	v_or_b32_sdwa v194, v194, v195 dst_sel:DWORD dst_unused:UNUSED_PAD src0_sel:BYTE_0 src1_sel:DWORD
	v_dot4_i32_i8 v191, v190, v3, v191
	v_or_b32_sdwa v194, v194, v188 dst_sel:DWORD dst_unused:UNUSED_PAD src0_sel:WORD_0 src1_sel:DWORD
	v_dot4_i32_i8 v191, v193, v4, v191
	v_add3_u32 v188, s23, v164, v124
	v_dot4_i32_i8 v215, v194, v5, v191
	v_add_u32_e32 v191, 0x3180, v216
	ds_read_b32 v188, v188
	ds_read2_b32 v[191:192], v191 offset1:1
	ds_read2_b32 v[195:196], v217 offset1:1
	s_waitcnt lgkmcnt(1)
	v_ashrrev_i32_e32 v191, s21, v191
	s_waitcnt lgkmcnt(0)
	v_ashrrev_i32_e32 v195, s17, v195
	v_lshlrev_b32_e32 v195, 2, v195
	v_and_b32_e32 v197, 0x3030303, v191
	v_bfe_u32 v191, v191, 24, 2
	v_and_b32_e32 v195, 0x4040404, v195
	v_ashrrev_i32_e32 v196, s17, v196
	v_sub_u16_e32 v198, v197, v195
	v_sub_u16_sdwa v199, v197, v195 dst_sel:BYTE_1 dst_unused:UNUSED_PAD src0_sel:BYTE_1 src1_sel:BYTE_1
	v_sub_u16_sdwa v191, v191, v195 dst_sel:BYTE_1 dst_unused:UNUSED_PAD src0_sel:DWORD src1_sel:BYTE_3
	v_sub_u16_sdwa v195, v197, v195 dst_sel:DWORD dst_unused:UNUSED_PAD src0_sel:WORD_1 src1_sel:WORD_1
	v_ashrrev_i32_e32 v192, s21, v192
	v_lshlrev_b32_e32 v196, 2, v196
	v_or_b32_sdwa v198, v198, v199 dst_sel:DWORD dst_unused:UNUSED_PAD src0_sel:BYTE_0 src1_sel:DWORD
	v_or_b32_sdwa v191, v195, v191 dst_sel:WORD_1 dst_unused:UNUSED_PAD src0_sel:BYTE_0 src1_sel:DWORD
	v_and_b32_e32 v195, 0x3030303, v192
	v_bfe_u32 v192, v192, 24, 2
	v_and_b32_e32 v196, 0x4040404, v196
	v_or_b32_sdwa v191, v198, v191 dst_sel:DWORD dst_unused:UNUSED_PAD src0_sel:WORD_0 src1_sel:DWORD
	v_sub_u16_e32 v197, v195, v196
	v_sub_u16_sdwa v198, v195, v196 dst_sel:BYTE_1 dst_unused:UNUSED_PAD src0_sel:BYTE_1 src1_sel:BYTE_1
	v_sub_u16_sdwa v192, v192, v196 dst_sel:BYTE_1 dst_unused:UNUSED_PAD src0_sel:DWORD src1_sel:BYTE_3
	v_sub_u16_sdwa v195, v195, v196 dst_sel:DWORD dst_unused:UNUSED_PAD src0_sel:WORD_1 src1_sel:WORD_1
	v_or_b32_sdwa v197, v197, v198 dst_sel:DWORD dst_unused:UNUSED_PAD src0_sel:BYTE_0 src1_sel:DWORD
	v_or_b32_sdwa v192, v195, v192 dst_sel:WORD_1 dst_unused:UNUSED_PAD src0_sel:BYTE_0 src1_sel:DWORD
	v_add_u32_e32 v195, 0x3188, v216
	v_or_b32_sdwa v192, v197, v192 dst_sel:DWORD dst_unused:UNUSED_PAD src0_sel:WORD_0 src1_sel:DWORD
	ds_read2_b32 v[195:196], v195 offset1:1
	ds_read2_b32 v[197:198], v217 offset0:2 offset1:3
	v_dot4_i32_i8 v6, v191, v6, 0
	v_dot4_i32_i8 v6, v192, v7, v6
	s_waitcnt lgkmcnt(1)
	v_ashrrev_i32_e32 v195, s21, v195
	s_waitcnt lgkmcnt(0)
	v_ashrrev_i32_e32 v197, s17, v197
	v_lshlrev_b32_e32 v197, 2, v197
	v_and_b32_e32 v199, 0x3030303, v195
	v_bfe_u32 v195, v195, 24, 2
	v_and_b32_e32 v197, 0x4040404, v197
	v_ashrrev_i32_e32 v198, s17, v198
	v_sub_u16_e32 v200, v199, v197
	v_sub_u16_sdwa v201, v199, v197 dst_sel:BYTE_1 dst_unused:UNUSED_PAD src0_sel:BYTE_1 src1_sel:BYTE_1
	v_sub_u16_sdwa v195, v195, v197 dst_sel:BYTE_1 dst_unused:UNUSED_PAD src0_sel:DWORD src1_sel:BYTE_3
	v_sub_u16_sdwa v197, v199, v197 dst_sel:DWORD dst_unused:UNUSED_PAD src0_sel:WORD_1 src1_sel:WORD_1
	v_ashrrev_i32_e32 v196, s21, v196
	v_lshlrev_b32_e32 v198, 2, v198
	v_or_b32_sdwa v200, v200, v201 dst_sel:DWORD dst_unused:UNUSED_PAD src0_sel:BYTE_0 src1_sel:DWORD
	v_or_b32_sdwa v195, v197, v195 dst_sel:WORD_1 dst_unused:UNUSED_PAD src0_sel:BYTE_0 src1_sel:DWORD
	v_and_b32_e32 v197, 0x3030303, v196
	v_bfe_u32 v196, v196, 24, 2
	v_and_b32_e32 v198, 0x4040404, v198
	v_or_b32_sdwa v195, v200, v195 dst_sel:DWORD dst_unused:UNUSED_PAD src0_sel:WORD_0 src1_sel:DWORD
	v_sub_u16_e32 v199, v197, v198
	v_sub_u16_sdwa v200, v197, v198 dst_sel:BYTE_1 dst_unused:UNUSED_PAD src0_sel:BYTE_1 src1_sel:BYTE_1
	v_sub_u16_sdwa v196, v196, v198 dst_sel:BYTE_1 dst_unused:UNUSED_PAD src0_sel:DWORD src1_sel:BYTE_3
	v_sub_u16_sdwa v197, v197, v198 dst_sel:DWORD dst_unused:UNUSED_PAD src0_sel:WORD_1 src1_sel:WORD_1
	v_or_b32_sdwa v199, v199, v200 dst_sel:DWORD dst_unused:UNUSED_PAD src0_sel:BYTE_0 src1_sel:DWORD
	v_or_b32_sdwa v196, v197, v196 dst_sel:WORD_1 dst_unused:UNUSED_PAD src0_sel:BYTE_0 src1_sel:DWORD
	v_add_u32_e32 v197, 0x3190, v216
	v_or_b32_sdwa v196, v199, v196 dst_sel:DWORD dst_unused:UNUSED_PAD src0_sel:WORD_0 src1_sel:DWORD
	ds_read2_b32 v[198:199], v197 offset1:1
	ds_read2_b32 v[200:201], v217 offset0:4 offset1:5
	v_dot4_i32_i8 v6, v195, v8, v6
	v_dot4_i32_i8 v6, v196, v9, v6
	s_waitcnt lgkmcnt(1)
	v_ashrrev_i32_e32 v197, s21, v198
	s_waitcnt lgkmcnt(0)
	v_ashrrev_i32_e32 v200, s17, v200
	v_lshlrev_b32_e32 v200, 2, v200
	v_and_b32_e32 v198, 0x3030303, v197
	v_bfe_u32 v197, v197, 24, 2
	v_and_b32_e32 v200, 0x4040404, v200
	v_sub_u16_e32 v218, v198, v200
	v_sub_u16_sdwa v219, v198, v200 dst_sel:BYTE_1 dst_unused:UNUSED_PAD src0_sel:BYTE_1 src1_sel:BYTE_1
	v_sub_u16_sdwa v197, v197, v200 dst_sel:BYTE_1 dst_unused:UNUSED_PAD src0_sel:DWORD src1_sel:BYTE_3
	v_sub_u16_sdwa v198, v198, v200 dst_sel:DWORD dst_unused:UNUSED_PAD src0_sel:WORD_1 src1_sel:WORD_1
	v_or_b32_sdwa v218, v218, v219 dst_sel:DWORD dst_unused:UNUSED_PAD src0_sel:BYTE_0 src1_sel:DWORD
	v_or_b32_sdwa v197, v198, v197 dst_sel:WORD_1 dst_unused:UNUSED_PAD src0_sel:BYTE_0 src1_sel:DWORD
	v_ashrrev_i32_e32 v200, s17, v201
	v_or_b32_sdwa v198, v218, v197 dst_sel:DWORD dst_unused:UNUSED_PAD src0_sel:WORD_0 src1_sel:DWORD
	v_ashrrev_i32_e32 v197, s21, v199
	v_lshlrev_b32_e32 v200, 2, v200
	v_and_b32_e32 v199, 0x3030303, v197
	v_bfe_u32 v197, v197, 24, 2
	v_and_b32_e32 v200, 0x4040404, v200
	v_sub_u16_e32 v201, v199, v200
	v_sub_u16_sdwa v218, v199, v200 dst_sel:BYTE_1 dst_unused:UNUSED_PAD src0_sel:BYTE_1 src1_sel:BYTE_1
	v_sub_u16_sdwa v197, v197, v200 dst_sel:BYTE_1 dst_unused:UNUSED_PAD src0_sel:DWORD src1_sel:BYTE_3
	v_sub_u16_sdwa v199, v199, v200 dst_sel:DWORD dst_unused:UNUSED_PAD src0_sel:WORD_1 src1_sel:WORD_1
	v_or_b32_sdwa v201, v201, v218 dst_sel:DWORD dst_unused:UNUSED_PAD src0_sel:BYTE_0 src1_sel:DWORD
	v_or_b32_sdwa v197, v199, v197 dst_sel:WORD_1 dst_unused:UNUSED_PAD src0_sel:BYTE_0 src1_sel:DWORD
	v_or_b32_sdwa v199, v201, v197 dst_sel:DWORD dst_unused:UNUSED_PAD src0_sel:WORD_0 src1_sel:DWORD
	v_add_u32_e32 v197, 0x3198, v216
	ds_read2_b32 v[200:201], v197 offset1:1
	ds_read2_b32 v[216:217], v217 offset0:6 offset1:7
	v_dot4_i32_i8 v2, v198, v2, 0
	v_dot4_i32_i8 v2, v199, v3, v2
	s_waitcnt lgkmcnt(1)
	v_ashrrev_i32_e32 v197, s21, v200
	s_waitcnt lgkmcnt(0)
	v_ashrrev_i32_e32 v216, s17, v216
	v_lshlrev_b32_e32 v216, 2, v216
	v_and_b32_e32 v200, 0x3030303, v197
	v_bfe_u32 v197, v197, 24, 2
	v_and_b32_e32 v216, 0x4040404, v216
	v_sub_u16_e32 v218, v200, v216
	v_sub_u16_sdwa v219, v200, v216 dst_sel:BYTE_1 dst_unused:UNUSED_PAD src0_sel:BYTE_1 src1_sel:BYTE_1
	v_sub_u16_sdwa v197, v197, v216 dst_sel:BYTE_1 dst_unused:UNUSED_PAD src0_sel:DWORD src1_sel:BYTE_3
	v_sub_u16_sdwa v200, v200, v216 dst_sel:DWORD dst_unused:UNUSED_PAD src0_sel:WORD_1 src1_sel:WORD_1
	v_or_b32_sdwa v218, v218, v219 dst_sel:DWORD dst_unused:UNUSED_PAD src0_sel:BYTE_0 src1_sel:DWORD
	v_or_b32_sdwa v197, v200, v197 dst_sel:WORD_1 dst_unused:UNUSED_PAD src0_sel:BYTE_0 src1_sel:DWORD
	v_ashrrev_i32_e32 v216, s17, v217
	v_or_b32_sdwa v200, v218, v197 dst_sel:DWORD dst_unused:UNUSED_PAD src0_sel:WORD_0 src1_sel:DWORD
	v_ashrrev_i32_e32 v197, s21, v201
	v_lshlrev_b32_e32 v216, 2, v216
	v_and_b32_e32 v201, 0x3030303, v197
	v_bfe_u32 v197, v197, 24, 2
	v_and_b32_e32 v216, 0x4040404, v216
	v_sub_u16_e32 v217, v201, v216
	v_sub_u16_sdwa v218, v201, v216 dst_sel:BYTE_1 dst_unused:UNUSED_PAD src0_sel:BYTE_1 src1_sel:BYTE_1
	v_sub_u16_sdwa v197, v197, v216 dst_sel:BYTE_1 dst_unused:UNUSED_PAD src0_sel:DWORD src1_sel:BYTE_3
	v_sub_u16_sdwa v201, v201, v216 dst_sel:DWORD dst_unused:UNUSED_PAD src0_sel:WORD_1 src1_sel:WORD_1
	v_or_b32_sdwa v217, v217, v218 dst_sel:DWORD dst_unused:UNUSED_PAD src0_sel:BYTE_0 src1_sel:DWORD
	v_or_b32_sdwa v197, v201, v197 dst_sel:WORD_1 dst_unused:UNUSED_PAD src0_sel:BYTE_0 src1_sel:DWORD
	v_or_b32_sdwa v201, v217, v197 dst_sel:DWORD dst_unused:UNUSED_PAD src0_sel:WORD_0 src1_sel:DWORD
	v_add3_u32 v197, s23, v166, v126
	ds_read_b32 v197, v197
	ds_read_b128 v[219:222], v172 offset:1024
	ds_read_b128 v[223:226], v172 offset:1040
	v_dot4_i32_i8 v2, v200, v4, v2
	v_dot4_i32_i8 v2, v201, v5, v2
	v_add_u32_e32 v216, s20, v136
	s_waitcnt lgkmcnt(1)
	v_dot4_i32_i8 v3, v63, v219, 0
	v_dot4_i32_i8 v3, v64, v220, v3
	;; [unrolled: 1-line block ×4, first 2 shown]
	s_waitcnt lgkmcnt(0)
	v_dot4_i32_i8 v3, v203, v223, 0
	v_dot4_i32_i8 v3, v204, v224, v3
	;; [unrolled: 1-line block ×4, first 2 shown]
	ds_read_u16 v3, v208 offset:33538
	s_add_i32 s17, s17, 1
	s_cmp_lt_u32 s19, 14
	s_waitcnt lgkmcnt(0)
	v_bfe_i32 v217, v3, 0, 8
	v_mul_lo_u32 v4, v4, v217
	v_lshrrev_b16_e32 v7, 8, v3
	v_bfe_i32 v218, v7, 0, 8
	v_mul_lo_u32 v3, v209, v218
	v_mad_u64_u32 v[4:5], s[20:21], v5, v218, v[4:5]
	v_mul_f32_e32 v5, v174, v62
	v_mad_u64_u32 v[7:8], s[20:21], v207, v217, v[3:4]
	v_mul_f32_e32 v3, v174, v61
	v_cvt_f32_i32_e32 v4, v4
	v_cvt_f32_i32_e32 v7, v7
	v_fma_f32 v11, v5, v4, v11
	v_fmac_f32_e32 v10, v3, v7
	v_dot4_i32_i8 v3, v175, v219, 0
	v_dot4_i32_i8 v3, v176, v220, v3
	;; [unrolled: 1-line block ×8, first 2 shown]
	ds_read_u16 v3, v211 offset:34562
	s_waitcnt lgkmcnt(0)
	v_bfe_i32 v207, v3, 0, 8
	v_mul_lo_u32 v4, v4, v207
	v_lshrrev_b16_e32 v7, 8, v3
	v_bfe_i32 v208, v7, 0, 8
	v_mul_lo_u32 v3, v213, v208
	v_mad_u64_u32 v[4:5], s[20:21], v5, v208, v[4:5]
	v_mul_f32_e32 v5, v179, v62
	v_mad_u64_u32 v[7:8], s[20:21], v210, v207, v[3:4]
	v_mul_f32_e32 v3, v179, v61
	v_cvt_f32_i32_e32 v4, v4
	v_cvt_f32_i32_e32 v7, v7
	v_fma_f32 v56, v5, v4, v56
	v_fmac_f32_e32 v55, v3, v7
	v_dot4_i32_i8 v3, v182, v219, 0
	v_dot4_i32_i8 v3, v183, v220, v3
	;; [unrolled: 1-line block ×8, first 2 shown]
	ds_read_u16 v3, v214 offset:35586
	s_waitcnt lgkmcnt(0)
	v_bfe_i32 v209, v3, 0, 8
	v_mul_lo_u32 v4, v4, v209
	v_lshrrev_b16_e32 v7, 8, v3
	v_bfe_i32 v210, v7, 0, 8
	v_mul_lo_u32 v3, v215, v210
	v_mad_u64_u32 v[4:5], s[20:21], v5, v210, v[4:5]
	v_mul_f32_e32 v5, v188, v62
	v_mad_u64_u32 v[7:8], s[20:21], v212, v209, v[3:4]
	v_cvt_f32_i32_e32 v4, v4
	v_mul_f32_e32 v3, v188, v61
	v_cvt_f32_i32_e32 v7, v7
	v_fma_f32 v58, v5, v4, v58
	ds_read_u16 v5, v216 offset:36610
	v_fmac_f32_e32 v57, v3, v7
	v_dot4_i32_i8 v3, v191, v219, 0
	v_dot4_i32_i8 v3, v192, v220, v3
	;; [unrolled: 1-line block ×4, first 2 shown]
	s_waitcnt lgkmcnt(0)
	v_bfe_i32 v211, v5, 0, 8
	v_dot4_i32_i8 v4, v198, v223, 0
	v_mul_lo_u32 v3, v3, v211
	v_dot4_i32_i8 v4, v199, v224, v4
	v_dot4_i32_i8 v4, v200, v225, v4
	v_lshrrev_b16_e32 v7, 8, v5
	v_dot4_i32_i8 v4, v201, v226, v4
	v_bfe_i32 v212, v7, 0, 8
	v_mul_lo_u32 v2, v2, v212
	v_mad_u64_u32 v[3:4], s[20:21], v4, v212, v[3:4]
	v_mad_u64_u32 v[4:5], s[20:21], v6, v211, v[2:3]
	v_cvt_f32_i32_e32 v3, v3
	v_mul_f32_e32 v2, v197, v61
	v_cvt_f32_i32_e32 v4, v4
	v_mul_f32_e32 v5, v197, v62
	v_fma_f32 v60, v5, v3, v60
	v_fmac_f32_e32 v59, v2, v4
	ds_read2_b32 v[61:62], v173 offset0:64 offset1:96
	ds_read_b128 v[2:5], v172 offset:2048
	ds_read_b128 v[6:9], v172 offset:2064
	s_waitcnt lgkmcnt(1)
	v_dot4_i32_i8 v214, v175, v2, 0
	v_dot4_i32_i8 v214, v176, v3, v214
	;; [unrolled: 1-line block ×4, first 2 shown]
	s_waitcnt lgkmcnt(0)
	v_dot4_i32_i8 v214, v180, v6, 0
	v_dot4_i32_i8 v214, v181, v7, v214
	;; [unrolled: 1-line block ×28, first 2 shown]
	ds_read_b128 v[2:5], v172 offset:3072
	ds_read_b128 v[6:9], v172 offset:3088
	v_mul_lo_u32 v213, v213, v218
	s_waitcnt lgkmcnt(1)
	v_dot4_i32_i8 v214, v63, v2, 0
	v_dot4_i32_i8 v214, v64, v3, v214
	;; [unrolled: 1-line block ×4, first 2 shown]
	s_waitcnt lgkmcnt(0)
	v_dot4_i32_i8 v215, v203, v6, 0
	v_mul_lo_u32 v214, v214, v217
	v_dot4_i32_i8 v215, v204, v7, v215
	v_dot4_i32_i8 v215, v205, v8, v215
	;; [unrolled: 1-line block ×3, first 2 shown]
	v_mad_u64_u32 v[214:215], s[20:21], v215, v218, v[214:215]
	v_mad_u64_u32 v[215:216], s[20:21], v216, v217, v[213:214]
	v_mul_f32_e32 v213, v174, v61
	v_cvt_f32_i32_e32 v214, v214
	v_cvt_f32_i32_e32 v215, v215
	v_mul_f32_e32 v216, v174, v62
	v_fma_f32 v48, v216, v214, v48
	v_fmac_f32_e32 v47, v213, v215
	v_dot4_i32_i8 v213, v175, v2, 0
	v_dot4_i32_i8 v213, v176, v3, v213
	;; [unrolled: 1-line block ×5, first 2 shown]
	v_mul_lo_u32 v214, v214, v207
	v_dot4_i32_i8 v213, v181, v7, v213
	v_dot4_i32_i8 v213, v184, v8, v213
	;; [unrolled: 1-line block ×3, first 2 shown]
	v_mul_lo_u32 v213, v220, v208
	v_mad_u64_u32 v[214:215], s[20:21], v215, v208, v[214:215]
	v_mad_u64_u32 v[215:216], s[20:21], v219, v207, v[213:214]
	v_mul_f32_e32 v213, v179, v61
	v_cvt_f32_i32_e32 v214, v214
	v_cvt_f32_i32_e32 v215, v215
	v_mul_f32_e32 v216, v179, v62
	v_fma_f32 v50, v216, v214, v50
	v_fmac_f32_e32 v49, v213, v215
	v_dot4_i32_i8 v213, v182, v2, 0
	v_dot4_i32_i8 v2, v191, v2, 0
	;; [unrolled: 1-line block ×7, first 2 shown]
	v_mul_lo_u32 v3, v3, v211
	v_dot4_i32_i8 v2, v199, v7, v2
	v_dot4_i32_i8 v2, v200, v8, v2
	;; [unrolled: 1-line block ×4, first 2 shown]
	v_mul_lo_u32 v2, v224, v212
	v_mad_u64_u32 v[3:4], s[20:21], v4, v212, v[3:4]
	v_dot4_i32_i8 v214, v187, v5, v213
	v_dot4_i32_i8 v213, v189, v6, 0
	v_mul_lo_u32 v214, v214, v209
	v_dot4_i32_i8 v213, v190, v7, v213
	v_mad_u64_u32 v[4:5], s[20:21], v223, v211, v[2:3]
	v_dot4_i32_i8 v213, v193, v8, v213
	v_dot4_i32_i8 v215, v194, v9, v213
	v_mul_lo_u32 v213, v222, v210
	v_mad_u64_u32 v[214:215], s[20:21], v215, v210, v[214:215]
	v_cvt_f32_i32_e32 v4, v4
	v_cvt_f32_i32_e32 v3, v3
	v_mad_u64_u32 v[215:216], s[20:21], v221, v209, v[213:214]
	v_mul_f32_e32 v2, v197, v61
	v_mul_f32_e32 v5, v197, v62
	;; [unrolled: 1-line block ×4, first 2 shown]
	v_cvt_f32_i32_e32 v214, v214
	v_fma_f32 v54, v5, v3, v54
	v_fmac_f32_e32 v53, v2, v4
	ds_read2_b32 v[61:62], v173 offset0:128 offset1:160
	ds_read_b128 v[2:5], v172 offset:4096
	ds_read_b128 v[6:9], v172 offset:4112
	v_fma_f32 v52, v216, v214, v52
	v_cvt_f32_i32_e32 v215, v215
	s_waitcnt lgkmcnt(1)
	v_dot4_i32_i8 v214, v175, v2, 0
	v_dot4_i32_i8 v214, v176, v3, v214
	;; [unrolled: 1-line block ×4, first 2 shown]
	s_waitcnt lgkmcnt(0)
	v_dot4_i32_i8 v214, v180, v6, 0
	v_dot4_i32_i8 v214, v181, v7, v214
	;; [unrolled: 1-line block ×3, first 2 shown]
	v_fmac_f32_e32 v51, v213, v215
	v_dot4_i32_i8 v213, v63, v2, 0
	v_dot4_i32_i8 v220, v185, v9, v214
	;; [unrolled: 1-line block ×25, first 2 shown]
	ds_read_b128 v[2:5], v172 offset:5120
	ds_read_b128 v[6:9], v172 offset:5136
	v_mul_lo_u32 v213, v213, v218
	s_waitcnt lgkmcnt(1)
	v_dot4_i32_i8 v214, v63, v2, 0
	v_dot4_i32_i8 v214, v64, v3, v214
	;; [unrolled: 1-line block ×4, first 2 shown]
	s_waitcnt lgkmcnt(0)
	v_dot4_i32_i8 v215, v203, v6, 0
	v_mul_lo_u32 v214, v214, v217
	v_dot4_i32_i8 v215, v204, v7, v215
	v_dot4_i32_i8 v215, v205, v8, v215
	;; [unrolled: 1-line block ×3, first 2 shown]
	v_mad_u64_u32 v[214:215], s[20:21], v215, v218, v[214:215]
	v_mad_u64_u32 v[215:216], s[20:21], v216, v217, v[213:214]
	v_mul_f32_e32 v213, v174, v61
	v_cvt_f32_i32_e32 v214, v214
	v_cvt_f32_i32_e32 v215, v215
	v_mul_f32_e32 v216, v174, v62
	v_fma_f32 v40, v216, v214, v40
	v_fmac_f32_e32 v39, v213, v215
	v_dot4_i32_i8 v213, v175, v2, 0
	v_dot4_i32_i8 v213, v176, v3, v213
	v_dot4_i32_i8 v213, v177, v4, v213
	v_dot4_i32_i8 v214, v178, v5, v213
	v_dot4_i32_i8 v213, v180, v6, 0
	v_mul_lo_u32 v214, v214, v207
	v_dot4_i32_i8 v213, v181, v7, v213
	v_dot4_i32_i8 v213, v184, v8, v213
	;; [unrolled: 1-line block ×3, first 2 shown]
	v_mul_lo_u32 v213, v220, v208
	v_mad_u64_u32 v[214:215], s[20:21], v215, v208, v[214:215]
	v_mad_u64_u32 v[215:216], s[20:21], v219, v207, v[213:214]
	v_mul_f32_e32 v213, v179, v61
	v_cvt_f32_i32_e32 v214, v214
	v_cvt_f32_i32_e32 v215, v215
	v_mul_f32_e32 v216, v179, v62
	v_fma_f32 v42, v216, v214, v42
	v_fmac_f32_e32 v41, v213, v215
	v_dot4_i32_i8 v213, v182, v2, 0
	v_dot4_i32_i8 v2, v191, v2, 0
	;; [unrolled: 1-line block ×7, first 2 shown]
	v_mul_lo_u32 v3, v3, v211
	v_dot4_i32_i8 v2, v199, v7, v2
	v_dot4_i32_i8 v213, v186, v4, v213
	;; [unrolled: 1-line block ×6, first 2 shown]
	v_mul_lo_u32 v214, v214, v209
	v_mul_lo_u32 v2, v224, v212
	v_mad_u64_u32 v[3:4], s[20:21], v4, v212, v[3:4]
	v_dot4_i32_i8 v213, v190, v7, v213
	v_dot4_i32_i8 v213, v193, v8, v213
	;; [unrolled: 1-line block ×3, first 2 shown]
	v_mul_lo_u32 v213, v222, v210
	v_mad_u64_u32 v[214:215], s[20:21], v215, v210, v[214:215]
	v_mad_u64_u32 v[4:5], s[20:21], v223, v211, v[2:3]
	;; [unrolled: 1-line block ×3, first 2 shown]
	v_cvt_f32_i32_e32 v4, v4
	v_cvt_f32_i32_e32 v3, v3
	v_mul_f32_e32 v2, v197, v61
	v_mul_f32_e32 v5, v197, v62
	;; [unrolled: 1-line block ×4, first 2 shown]
	v_cvt_f32_i32_e32 v215, v215
	v_fma_f32 v46, v5, v3, v46
	v_fmac_f32_e32 v45, v2, v4
	ds_read2_b32 v[61:62], v173 offset0:192 offset1:224
	ds_read_b128 v[2:5], v172 offset:6144
	ds_read_b128 v[6:9], v172 offset:6160
	v_fmac_f32_e32 v43, v213, v215
	v_cvt_f32_i32_e32 v214, v214
	v_add_u32_e32 v173, 4, v173
	s_waitcnt lgkmcnt(1)
	v_dot4_i32_i8 v213, v63, v2, 0
	v_dot4_i32_i8 v213, v64, v3, v213
	;; [unrolled: 1-line block ×4, first 2 shown]
	s_waitcnt lgkmcnt(0)
	v_dot4_i32_i8 v213, v203, v6, 0
	v_dot4_i32_i8 v213, v204, v7, v213
	;; [unrolled: 1-line block ×22, first 2 shown]
	v_fma_f32 v44, v216, v214, v44
	v_dot4_i32_i8 v216, v194, v9, v213
	v_dot4_i32_i8 v213, v196, v5, v2
	v_dot4_i32_i8 v2, v198, v6, 0
	v_dot4_i32_i8 v2, v199, v7, v2
	v_dot4_i32_i8 v2, v200, v8, v2
	v_dot4_i32_i8 v214, v201, v9, v2
	ds_read_b128 v[6:9], v172 offset:7168
	ds_read_b128 v[2:5], v172 offset:7184
	v_add_u32_e32 v172, 32, v172
	s_waitcnt lgkmcnt(1)
	v_dot4_i32_i8 v63, v63, v6, 0
	v_dot4_i32_i8 v63, v64, v7, v63
	;; [unrolled: 1-line block ×4, first 2 shown]
	s_waitcnt lgkmcnt(0)
	v_dot4_i32_i8 v64, v203, v2, 0
	v_mul_lo_u32 v63, v63, v217
	v_dot4_i32_i8 v64, v204, v3, v64
	v_dot4_i32_i8 v64, v205, v4, v64
	;; [unrolled: 1-line block ×3, first 2 shown]
	v_mul_lo_u32 v65, v222, v218
	v_mad_u64_u32 v[63:64], s[20:21], v64, v218, v[63:64]
	v_mad_u64_u32 v[64:65], s[20:21], v221, v217, v[65:66]
	v_cvt_f32_i32_e32 v63, v63
	v_mul_f32_e32 v65, v174, v61
	v_mul_f32_e32 v174, v174, v62
	v_cvt_f32_i32_e32 v64, v64
	v_fma_f32 v32, v174, v63, v32
	v_dot4_i32_i8 v63, v175, v6, 0
	v_dot4_i32_i8 v63, v176, v7, v63
	;; [unrolled: 1-line block ×3, first 2 shown]
	v_fmac_f32_e32 v31, v65, v64
	v_dot4_i32_i8 v64, v178, v9, v63
	v_dot4_i32_i8 v63, v180, v2, 0
	v_mul_lo_u32 v64, v64, v207
	v_dot4_i32_i8 v63, v181, v3, v63
	v_dot4_i32_i8 v63, v184, v4, v63
	;; [unrolled: 1-line block ×3, first 2 shown]
	v_mul_lo_u32 v63, v220, v208
	v_mad_u64_u32 v[64:65], s[20:21], v65, v208, v[64:65]
	v_mul_f32_e32 v65, v179, v62
	v_mad_u64_u32 v[174:175], s[20:21], v219, v207, v[63:64]
	v_mul_f32_e32 v63, v179, v61
	v_cvt_f32_i32_e32 v64, v64
	v_cvt_f32_i32_e32 v174, v174
	v_fma_f32 v34, v65, v64, v34
	v_fmac_f32_e32 v33, v63, v174
	v_dot4_i32_i8 v63, v182, v6, 0
	v_dot4_i32_i8 v6, v191, v6, 0
	;; [unrolled: 1-line block ×11, first 2 shown]
	v_mul_lo_u32 v64, v64, v209
	v_dot4_i32_i8 v2, v199, v3, v2
	v_mul_lo_u32 v3, v6, v211
	v_dot4_i32_i8 v63, v193, v4, v63
	v_dot4_i32_i8 v2, v200, v4, v2
	;; [unrolled: 1-line block ×4, first 2 shown]
	v_mul_lo_u32 v63, v216, v210
	v_mad_u64_u32 v[64:65], s[20:21], v65, v210, v[64:65]
	v_mul_lo_u32 v2, v214, v212
	v_mad_u64_u32 v[3:4], s[20:21], v4, v212, v[3:4]
	v_mad_u64_u32 v[174:175], s[20:21], v215, v209, v[63:64]
	;; [unrolled: 1-line block ×3, first 2 shown]
	v_cvt_f32_i32_e32 v174, v174
	v_cvt_f32_i32_e32 v64, v64
	;; [unrolled: 1-line block ×4, first 2 shown]
	v_mul_f32_e32 v63, v188, v61
	v_mul_f32_e32 v65, v188, v62
	;; [unrolled: 1-line block ×4, first 2 shown]
	v_fma_f32 v36, v65, v64, v36
	v_fmac_f32_e32 v35, v63, v174
	v_fma_f32 v38, v5, v3, v38
	v_fmac_f32_e32 v37, v2, v4
	s_mov_b32 s20, s19
	s_cbranch_scc1 .LBB150_9
; %bb.10:                               ;   in Loop: Header=BB150_6 Depth=1
	s_or_b32 s17, s7, 1
	s_cmp_ge_i32 s17, s4
	s_barrier
	s_cbranch_scc1 .LBB150_5
; %bb.11:                               ;   in Loop: Header=BB150_6 Depth=1
	v_add_u32_e32 v65, s16, v128
	v_add_u32_e32 v174, 8, v170
	;; [unrolled: 1-line block ×3, first 2 shown]
	v_mad_u64_u32 v[174:175], s[18:19], v174, 36, s[2:3]
	v_mad_i64_i32 v[2:3], s[18:19], v2, 36, v[29:30]
	v_add_u32_e32 v4, v65, v112
	v_mad_i64_i32 v[4:5], s[18:19], v4, 36, v[29:30]
	v_add_u32_e32 v6, v65, v113
	v_add_u32_e32 v8, v65, v114
	v_mad_i64_i32 v[6:7], s[18:19], v6, 36, v[29:30]
	v_mad_i64_i32 v[8:9], s[18:19], v8, 36, v[29:30]
	v_add_u32_e32 v61, v65, v115
	v_add_u32_e32 v63, v65, v116
	;; [unrolled: 1-line block ×4, first 2 shown]
	v_mad_i64_i32 v[61:62], s[18:19], v61, 36, v[29:30]
	v_mad_i64_i32 v[63:64], s[18:19], v63, 36, v[29:30]
	;; [unrolled: 1-line block ×4, first 2 shown]
	global_load_dword v65, v[174:175], off
	s_nop 0
	global_load_dword v2, v[2:3], off offset:4
	s_nop 0
	global_load_dword v3, v[4:5], off offset:4
	;; [unrolled: 2-line block ×3, first 2 shown]
	global_load_dword v5, v[8:9], off offset:4
	s_nop 0
	global_load_dword v6, v[61:62], off offset:4
	global_load_dword v7, v[63:64], off offset:4
	;; [unrolled: 1-line block ×4, first 2 shown]
	s_mov_b32 s17, 16
	s_mov_b32 s20, 14
	;; [unrolled: 1-line block ×3, first 2 shown]
	v_mov_b32_e32 v172, v139
	v_mov_b32_e32 v173, v138
	s_waitcnt vmcnt(8)
	v_cvt_f32_f16_e32 v61, v65
	s_waitcnt vmcnt(7)
	ds_write_b32 v171, v2
	s_waitcnt vmcnt(6)
	ds_write_b32 v154, v3
	;; [unrolled: 2-line block ×8, first 2 shown]
	ds_write_b32 v109, v61
	s_waitcnt lgkmcnt(0)
	s_barrier
.LBB150_12:                             ;   Parent Loop BB150_6 Depth=1
                                        ; =>  This Inner Loop Header: Depth=2
	s_add_i32 s19, s20, 2
	s_lshr_b32 s24, s19, 4
	s_and_b32 s22, s19, 0x3ffffff8
	v_lshl_add_u32 v216, s22, 2, v119
	s_lshl_b32 s22, s24, 5
	s_addk_i32 s22, 0x4200
	v_add3_u32 v178, s22, v167, v120
	ds_read2_b32 v[61:62], v173 offset1:32
	ds_read_b128 v[6:9], v172
	ds_read_b128 v[2:5], v172 offset:16
	ds_read2_b32 v[63:64], v216 offset1:1
	ds_read2_b32 v[174:175], v178 offset1:1
	s_add_i32 s21, s20, -14
	s_and_b32 s23, s17, -16
	s_add_i32 s20, s20, s23
	s_waitcnt lgkmcnt(1)
	v_ashrrev_i32_e32 v63, s21, v63
	s_waitcnt lgkmcnt(0)
	v_ashrrev_i32_e32 v174, s18, v174
	v_lshlrev_b32_e32 v174, 2, v174
	v_and_b32_e32 v65, 0x3030303, v63
	v_bfe_u32 v63, v63, 24, 2
	v_and_b32_e32 v174, 0x4040404, v174
	v_sub_u16_e32 v176, v65, v174
	v_sub_u16_sdwa v177, v65, v174 dst_sel:BYTE_1 dst_unused:UNUSED_PAD src0_sel:BYTE_1 src1_sel:BYTE_1
	v_sub_u16_sdwa v63, v63, v174 dst_sel:BYTE_1 dst_unused:UNUSED_PAD src0_sel:DWORD src1_sel:BYTE_3
	v_sub_u16_sdwa v65, v65, v174 dst_sel:DWORD dst_unused:UNUSED_PAD src0_sel:WORD_1 src1_sel:WORD_1
	v_ashrrev_i32_e32 v174, s18, v175
	v_ashrrev_i32_e32 v64, s21, v64
	v_lshlrev_b32_e32 v174, 2, v174
	v_or_b32_sdwa v176, v176, v177 dst_sel:DWORD dst_unused:UNUSED_PAD src0_sel:BYTE_0 src1_sel:DWORD
	v_or_b32_sdwa v63, v65, v63 dst_sel:WORD_1 dst_unused:UNUSED_PAD src0_sel:BYTE_0 src1_sel:DWORD
	v_and_b32_e32 v65, 0x3030303, v64
	v_bfe_u32 v64, v64, 24, 2
	v_and_b32_e32 v174, 0x4040404, v174
	v_or_b32_sdwa v63, v176, v63 dst_sel:DWORD dst_unused:UNUSED_PAD src0_sel:WORD_0 src1_sel:DWORD
	v_sub_u16_e32 v175, v65, v174
	v_sub_u16_sdwa v176, v65, v174 dst_sel:BYTE_1 dst_unused:UNUSED_PAD src0_sel:BYTE_1 src1_sel:BYTE_1
	v_sub_u16_sdwa v64, v64, v174 dst_sel:BYTE_1 dst_unused:UNUSED_PAD src0_sel:DWORD src1_sel:BYTE_3
	v_sub_u16_sdwa v65, v65, v174 dst_sel:DWORD dst_unused:UNUSED_PAD src0_sel:WORD_1 src1_sel:WORD_1
	v_or_b32_sdwa v175, v175, v176 dst_sel:DWORD dst_unused:UNUSED_PAD src0_sel:BYTE_0 src1_sel:DWORD
	v_or_b32_sdwa v64, v65, v64 dst_sel:WORD_1 dst_unused:UNUSED_PAD src0_sel:BYTE_0 src1_sel:DWORD
	v_or_b32_sdwa v64, v175, v64 dst_sel:DWORD dst_unused:UNUSED_PAD src0_sel:WORD_0 src1_sel:DWORD
	ds_read2_b32 v[174:175], v216 offset0:2 offset1:3
	ds_read2_b32 v[176:177], v178 offset0:2 offset1:3
	s_lshl_b32 s23, s24, 2
	s_add_i32 s23, s23, 0x9380
	v_add3_u32 v184, s22, v161, v121
	s_waitcnt lgkmcnt(1)
	v_ashrrev_i32_e32 v65, s21, v174
	s_waitcnt lgkmcnt(0)
	v_ashrrev_i32_e32 v176, s18, v176
	v_lshlrev_b32_e32 v176, 2, v176
	v_and_b32_e32 v174, 0x3030303, v65
	v_bfe_u32 v65, v65, 24, 2
	v_and_b32_e32 v176, 0x4040404, v176
	v_sub_u16_e32 v179, v174, v176
	v_sub_u16_sdwa v180, v174, v176 dst_sel:BYTE_1 dst_unused:UNUSED_PAD src0_sel:BYTE_1 src1_sel:BYTE_1
	v_sub_u16_sdwa v65, v65, v176 dst_sel:BYTE_1 dst_unused:UNUSED_PAD src0_sel:DWORD src1_sel:BYTE_3
	v_sub_u16_sdwa v174, v174, v176 dst_sel:DWORD dst_unused:UNUSED_PAD src0_sel:WORD_1 src1_sel:WORD_1
	v_ashrrev_i32_e32 v176, s18, v177
	v_or_b32_sdwa v65, v174, v65 dst_sel:WORD_1 dst_unused:UNUSED_PAD src0_sel:BYTE_0 src1_sel:DWORD
	v_ashrrev_i32_e32 v174, s21, v175
	v_lshlrev_b32_e32 v176, 2, v176
	v_or_b32_sdwa v179, v179, v180 dst_sel:DWORD dst_unused:UNUSED_PAD src0_sel:BYTE_0 src1_sel:DWORD
	v_and_b32_e32 v175, 0x3030303, v174
	v_bfe_u32 v174, v174, 24, 2
	v_and_b32_e32 v176, 0x4040404, v176
	v_or_b32_sdwa v65, v179, v65 dst_sel:DWORD dst_unused:UNUSED_PAD src0_sel:WORD_0 src1_sel:DWORD
	v_sub_u16_e32 v177, v175, v176
	v_sub_u16_sdwa v179, v175, v176 dst_sel:BYTE_1 dst_unused:UNUSED_PAD src0_sel:BYTE_1 src1_sel:BYTE_1
	v_sub_u16_sdwa v174, v174, v176 dst_sel:BYTE_1 dst_unused:UNUSED_PAD src0_sel:DWORD src1_sel:BYTE_3
	v_sub_u16_sdwa v175, v175, v176 dst_sel:DWORD dst_unused:UNUSED_PAD src0_sel:WORD_1 src1_sel:WORD_1
	v_or_b32_sdwa v177, v177, v179 dst_sel:DWORD dst_unused:UNUSED_PAD src0_sel:BYTE_0 src1_sel:DWORD
	v_or_b32_sdwa v174, v175, v174 dst_sel:WORD_1 dst_unused:UNUSED_PAD src0_sel:BYTE_0 src1_sel:DWORD
	v_or_b32_sdwa v202, v177, v174 dst_sel:DWORD dst_unused:UNUSED_PAD src0_sel:WORD_0 src1_sel:DWORD
	ds_read2_b32 v[174:175], v216 offset0:4 offset1:5
	ds_read2_b32 v[176:177], v178 offset0:4 offset1:5
	v_add3_u32 v193, s22, v163, v123
	v_add3_u32 v217, s22, v165, v125
	v_add_u32_e32 v208, s20, v130
	s_waitcnt lgkmcnt(1)
	v_ashrrev_i32_e32 v174, s21, v174
	s_waitcnt lgkmcnt(0)
	v_ashrrev_i32_e32 v176, s18, v176
	v_lshlrev_b32_e32 v176, 2, v176
	v_and_b32_e32 v179, 0x3030303, v174
	v_bfe_u32 v174, v174, 24, 2
	v_and_b32_e32 v176, 0x4040404, v176
	v_sub_u16_e32 v180, v179, v176
	v_sub_u16_sdwa v181, v179, v176 dst_sel:BYTE_1 dst_unused:UNUSED_PAD src0_sel:BYTE_1 src1_sel:BYTE_1
	v_sub_u16_sdwa v174, v174, v176 dst_sel:BYTE_1 dst_unused:UNUSED_PAD src0_sel:DWORD src1_sel:BYTE_3
	v_sub_u16_sdwa v176, v179, v176 dst_sel:DWORD dst_unused:UNUSED_PAD src0_sel:WORD_1 src1_sel:WORD_1
	v_or_b32_sdwa v180, v180, v181 dst_sel:DWORD dst_unused:UNUSED_PAD src0_sel:BYTE_0 src1_sel:DWORD
	v_or_b32_sdwa v174, v176, v174 dst_sel:WORD_1 dst_unused:UNUSED_PAD src0_sel:BYTE_0 src1_sel:DWORD
	v_ashrrev_i32_e32 v176, s18, v177
	v_or_b32_sdwa v203, v180, v174 dst_sel:DWORD dst_unused:UNUSED_PAD src0_sel:WORD_0 src1_sel:DWORD
	v_ashrrev_i32_e32 v174, s21, v175
	v_lshlrev_b32_e32 v176, 2, v176
	v_and_b32_e32 v175, 0x3030303, v174
	v_bfe_u32 v174, v174, 24, 2
	v_and_b32_e32 v176, 0x4040404, v176
	v_sub_u16_e32 v177, v175, v176
	v_sub_u16_sdwa v179, v175, v176 dst_sel:BYTE_1 dst_unused:UNUSED_PAD src0_sel:BYTE_1 src1_sel:BYTE_1
	v_sub_u16_sdwa v174, v174, v176 dst_sel:BYTE_1 dst_unused:UNUSED_PAD src0_sel:DWORD src1_sel:BYTE_3
	v_sub_u16_sdwa v175, v175, v176 dst_sel:DWORD dst_unused:UNUSED_PAD src0_sel:WORD_1 src1_sel:WORD_1
	v_or_b32_sdwa v177, v177, v179 dst_sel:DWORD dst_unused:UNUSED_PAD src0_sel:BYTE_0 src1_sel:DWORD
	v_or_b32_sdwa v174, v175, v174 dst_sel:WORD_1 dst_unused:UNUSED_PAD src0_sel:BYTE_0 src1_sel:DWORD
	v_or_b32_sdwa v204, v177, v174 dst_sel:DWORD dst_unused:UNUSED_PAD src0_sel:WORD_0 src1_sel:DWORD
	ds_read2_b32 v[174:175], v216 offset0:6 offset1:7
	ds_read2_b32 v[176:177], v178 offset0:6 offset1:7
	v_add_u32_e32 v211, s20, v132
	v_add_u32_e32 v214, s20, v134
	s_add_i32 s17, s17, 2
	s_waitcnt lgkmcnt(1)
	v_ashrrev_i32_e32 v174, s21, v174
	s_waitcnt lgkmcnt(0)
	v_ashrrev_i32_e32 v176, s18, v176
	v_lshlrev_b32_e32 v176, 2, v176
	v_and_b32_e32 v179, 0x3030303, v174
	v_bfe_u32 v174, v174, 24, 2
	v_and_b32_e32 v176, 0x4040404, v176
	v_sub_u16_e32 v178, v179, v176
	v_sub_u16_sdwa v180, v179, v176 dst_sel:BYTE_1 dst_unused:UNUSED_PAD src0_sel:BYTE_1 src1_sel:BYTE_1
	v_sub_u16_sdwa v174, v174, v176 dst_sel:BYTE_1 dst_unused:UNUSED_PAD src0_sel:DWORD src1_sel:BYTE_3
	v_sub_u16_sdwa v176, v179, v176 dst_sel:DWORD dst_unused:UNUSED_PAD src0_sel:WORD_1 src1_sel:WORD_1
	v_or_b32_sdwa v178, v178, v180 dst_sel:DWORD dst_unused:UNUSED_PAD src0_sel:BYTE_0 src1_sel:DWORD
	v_or_b32_sdwa v174, v176, v174 dst_sel:WORD_1 dst_unused:UNUSED_PAD src0_sel:BYTE_0 src1_sel:DWORD
	v_ashrrev_i32_e32 v176, s18, v177
	v_or_b32_sdwa v205, v178, v174 dst_sel:DWORD dst_unused:UNUSED_PAD src0_sel:WORD_0 src1_sel:DWORD
	v_ashrrev_i32_e32 v174, s21, v175
	v_lshlrev_b32_e32 v176, 2, v176
	v_and_b32_e32 v175, 0x3030303, v174
	v_bfe_u32 v174, v174, 24, 2
	v_and_b32_e32 v176, 0x4040404, v176
	v_sub_u16_e32 v177, v175, v176
	v_sub_u16_sdwa v178, v175, v176 dst_sel:BYTE_1 dst_unused:UNUSED_PAD src0_sel:BYTE_1 src1_sel:BYTE_1
	v_sub_u16_sdwa v174, v174, v176 dst_sel:BYTE_1 dst_unused:UNUSED_PAD src0_sel:DWORD src1_sel:BYTE_3
	v_sub_u16_sdwa v175, v175, v176 dst_sel:DWORD dst_unused:UNUSED_PAD src0_sel:WORD_1 src1_sel:WORD_1
	v_or_b32_sdwa v174, v175, v174 dst_sel:WORD_1 dst_unused:UNUSED_PAD src0_sel:BYTE_0 src1_sel:DWORD
	v_dot4_i32_i8 v175, v63, v6, 0
	v_dot4_i32_i8 v175, v64, v7, v175
	;; [unrolled: 1-line block ×5, first 2 shown]
	v_or_b32_sdwa v177, v177, v178 dst_sel:DWORD dst_unused:UNUSED_PAD src0_sel:BYTE_0 src1_sel:DWORD
	v_dot4_i32_i8 v175, v204, v3, v175
	v_or_b32_sdwa v206, v177, v174 dst_sel:DWORD dst_unused:UNUSED_PAD src0_sel:WORD_0 src1_sel:DWORD
	v_dot4_i32_i8 v175, v205, v4, v175
	v_add3_u32 v174, s23, v168, v169
	v_dot4_i32_i8 v209, v206, v5, v175
	v_add_u32_e32 v175, 0x1080, v216
	ds_read_b32 v174, v174
	ds_read2_b32 v[175:176], v175 offset1:1
	ds_read2_b32 v[177:178], v184 offset1:1
	s_waitcnt lgkmcnt(1)
	v_ashrrev_i32_e32 v175, s21, v175
	s_waitcnt lgkmcnt(0)
	v_ashrrev_i32_e32 v177, s18, v177
	v_lshlrev_b32_e32 v177, 2, v177
	v_and_b32_e32 v179, 0x3030303, v175
	v_bfe_u32 v175, v175, 24, 2
	v_and_b32_e32 v177, 0x4040404, v177
	v_ashrrev_i32_e32 v178, s18, v178
	v_sub_u16_e32 v180, v179, v177
	v_sub_u16_sdwa v181, v179, v177 dst_sel:BYTE_1 dst_unused:UNUSED_PAD src0_sel:BYTE_1 src1_sel:BYTE_1
	v_sub_u16_sdwa v175, v175, v177 dst_sel:BYTE_1 dst_unused:UNUSED_PAD src0_sel:DWORD src1_sel:BYTE_3
	v_sub_u16_sdwa v177, v179, v177 dst_sel:DWORD dst_unused:UNUSED_PAD src0_sel:WORD_1 src1_sel:WORD_1
	v_ashrrev_i32_e32 v176, s21, v176
	v_lshlrev_b32_e32 v178, 2, v178
	v_or_b32_sdwa v180, v180, v181 dst_sel:DWORD dst_unused:UNUSED_PAD src0_sel:BYTE_0 src1_sel:DWORD
	v_or_b32_sdwa v175, v177, v175 dst_sel:WORD_1 dst_unused:UNUSED_PAD src0_sel:BYTE_0 src1_sel:DWORD
	v_and_b32_e32 v177, 0x3030303, v176
	v_bfe_u32 v176, v176, 24, 2
	v_and_b32_e32 v178, 0x4040404, v178
	v_or_b32_sdwa v175, v180, v175 dst_sel:DWORD dst_unused:UNUSED_PAD src0_sel:WORD_0 src1_sel:DWORD
	v_sub_u16_e32 v179, v177, v178
	v_sub_u16_sdwa v180, v177, v178 dst_sel:BYTE_1 dst_unused:UNUSED_PAD src0_sel:BYTE_1 src1_sel:BYTE_1
	v_sub_u16_sdwa v176, v176, v178 dst_sel:BYTE_1 dst_unused:UNUSED_PAD src0_sel:DWORD src1_sel:BYTE_3
	v_sub_u16_sdwa v177, v177, v178 dst_sel:DWORD dst_unused:UNUSED_PAD src0_sel:WORD_1 src1_sel:WORD_1
	v_or_b32_sdwa v179, v179, v180 dst_sel:DWORD dst_unused:UNUSED_PAD src0_sel:BYTE_0 src1_sel:DWORD
	v_or_b32_sdwa v176, v177, v176 dst_sel:WORD_1 dst_unused:UNUSED_PAD src0_sel:BYTE_0 src1_sel:DWORD
	v_add_u32_e32 v177, 0x1088, v216
	v_or_b32_sdwa v176, v179, v176 dst_sel:DWORD dst_unused:UNUSED_PAD src0_sel:WORD_0 src1_sel:DWORD
	ds_read2_b32 v[177:178], v177 offset1:1
	ds_read2_b32 v[179:180], v184 offset0:2 offset1:3
	s_waitcnt lgkmcnt(1)
	v_ashrrev_i32_e32 v177, s21, v177
	s_waitcnt lgkmcnt(0)
	v_ashrrev_i32_e32 v179, s18, v179
	v_lshlrev_b32_e32 v179, 2, v179
	v_and_b32_e32 v181, 0x3030303, v177
	v_bfe_u32 v177, v177, 24, 2
	v_and_b32_e32 v179, 0x4040404, v179
	v_ashrrev_i32_e32 v180, s18, v180
	v_sub_u16_e32 v182, v181, v179
	v_sub_u16_sdwa v183, v181, v179 dst_sel:BYTE_1 dst_unused:UNUSED_PAD src0_sel:BYTE_1 src1_sel:BYTE_1
	v_sub_u16_sdwa v177, v177, v179 dst_sel:BYTE_1 dst_unused:UNUSED_PAD src0_sel:DWORD src1_sel:BYTE_3
	v_sub_u16_sdwa v179, v181, v179 dst_sel:DWORD dst_unused:UNUSED_PAD src0_sel:WORD_1 src1_sel:WORD_1
	v_ashrrev_i32_e32 v178, s21, v178
	v_lshlrev_b32_e32 v180, 2, v180
	v_or_b32_sdwa v182, v182, v183 dst_sel:DWORD dst_unused:UNUSED_PAD src0_sel:BYTE_0 src1_sel:DWORD
	v_or_b32_sdwa v177, v179, v177 dst_sel:WORD_1 dst_unused:UNUSED_PAD src0_sel:BYTE_0 src1_sel:DWORD
	v_and_b32_e32 v179, 0x3030303, v178
	v_bfe_u32 v178, v178, 24, 2
	v_and_b32_e32 v180, 0x4040404, v180
	v_or_b32_sdwa v177, v182, v177 dst_sel:DWORD dst_unused:UNUSED_PAD src0_sel:WORD_0 src1_sel:DWORD
	v_sub_u16_e32 v181, v179, v180
	v_sub_u16_sdwa v182, v179, v180 dst_sel:BYTE_1 dst_unused:UNUSED_PAD src0_sel:BYTE_1 src1_sel:BYTE_1
	v_sub_u16_sdwa v178, v178, v180 dst_sel:BYTE_1 dst_unused:UNUSED_PAD src0_sel:DWORD src1_sel:BYTE_3
	v_sub_u16_sdwa v179, v179, v180 dst_sel:DWORD dst_unused:UNUSED_PAD src0_sel:WORD_1 src1_sel:WORD_1
	v_or_b32_sdwa v181, v181, v182 dst_sel:DWORD dst_unused:UNUSED_PAD src0_sel:BYTE_0 src1_sel:DWORD
	v_or_b32_sdwa v178, v179, v178 dst_sel:WORD_1 dst_unused:UNUSED_PAD src0_sel:BYTE_0 src1_sel:DWORD
	v_add_u32_e32 v179, 0x1090, v216
	v_or_b32_sdwa v178, v181, v178 dst_sel:DWORD dst_unused:UNUSED_PAD src0_sel:WORD_0 src1_sel:DWORD
	ds_read2_b32 v[180:181], v179 offset1:1
	ds_read2_b32 v[182:183], v184 offset0:4 offset1:5
	s_waitcnt lgkmcnt(1)
	v_ashrrev_i32_e32 v179, s21, v180
	s_waitcnt lgkmcnt(0)
	v_ashrrev_i32_e32 v182, s18, v182
	v_lshlrev_b32_e32 v182, 2, v182
	v_and_b32_e32 v180, 0x3030303, v179
	v_bfe_u32 v179, v179, 24, 2
	v_and_b32_e32 v182, 0x4040404, v182
	v_sub_u16_e32 v185, v180, v182
	v_sub_u16_sdwa v186, v180, v182 dst_sel:BYTE_1 dst_unused:UNUSED_PAD src0_sel:BYTE_1 src1_sel:BYTE_1
	v_sub_u16_sdwa v179, v179, v182 dst_sel:BYTE_1 dst_unused:UNUSED_PAD src0_sel:DWORD src1_sel:BYTE_3
	v_sub_u16_sdwa v180, v180, v182 dst_sel:DWORD dst_unused:UNUSED_PAD src0_sel:WORD_1 src1_sel:WORD_1
	v_or_b32_sdwa v185, v185, v186 dst_sel:DWORD dst_unused:UNUSED_PAD src0_sel:BYTE_0 src1_sel:DWORD
	v_or_b32_sdwa v179, v180, v179 dst_sel:WORD_1 dst_unused:UNUSED_PAD src0_sel:BYTE_0 src1_sel:DWORD
	v_ashrrev_i32_e32 v182, s18, v183
	v_or_b32_sdwa v180, v185, v179 dst_sel:DWORD dst_unused:UNUSED_PAD src0_sel:WORD_0 src1_sel:DWORD
	v_ashrrev_i32_e32 v179, s21, v181
	v_lshlrev_b32_e32 v182, 2, v182
	v_and_b32_e32 v181, 0x3030303, v179
	v_bfe_u32 v179, v179, 24, 2
	v_and_b32_e32 v182, 0x4040404, v182
	v_sub_u16_e32 v183, v181, v182
	v_sub_u16_sdwa v185, v181, v182 dst_sel:BYTE_1 dst_unused:UNUSED_PAD src0_sel:BYTE_1 src1_sel:BYTE_1
	v_sub_u16_sdwa v179, v179, v182 dst_sel:BYTE_1 dst_unused:UNUSED_PAD src0_sel:DWORD src1_sel:BYTE_3
	v_sub_u16_sdwa v181, v181, v182 dst_sel:DWORD dst_unused:UNUSED_PAD src0_sel:WORD_1 src1_sel:WORD_1
	v_or_b32_sdwa v183, v183, v185 dst_sel:DWORD dst_unused:UNUSED_PAD src0_sel:BYTE_0 src1_sel:DWORD
	v_or_b32_sdwa v179, v181, v179 dst_sel:WORD_1 dst_unused:UNUSED_PAD src0_sel:BYTE_0 src1_sel:DWORD
	v_or_b32_sdwa v181, v183, v179 dst_sel:DWORD dst_unused:UNUSED_PAD src0_sel:WORD_0 src1_sel:DWORD
	v_add_u32_e32 v179, 0x1098, v216
	ds_read2_b32 v[182:183], v179 offset1:1
	ds_read2_b32 v[184:185], v184 offset0:6 offset1:7
	s_waitcnt lgkmcnt(1)
	v_ashrrev_i32_e32 v179, s21, v182
	s_waitcnt lgkmcnt(0)
	v_ashrrev_i32_e32 v184, s18, v184
	v_lshlrev_b32_e32 v184, 2, v184
	v_and_b32_e32 v182, 0x3030303, v179
	v_bfe_u32 v179, v179, 24, 2
	v_and_b32_e32 v184, 0x4040404, v184
	v_sub_u16_e32 v186, v182, v184
	v_sub_u16_sdwa v187, v182, v184 dst_sel:BYTE_1 dst_unused:UNUSED_PAD src0_sel:BYTE_1 src1_sel:BYTE_1
	v_sub_u16_sdwa v179, v179, v184 dst_sel:BYTE_1 dst_unused:UNUSED_PAD src0_sel:DWORD src1_sel:BYTE_3
	v_sub_u16_sdwa v182, v182, v184 dst_sel:DWORD dst_unused:UNUSED_PAD src0_sel:WORD_1 src1_sel:WORD_1
	v_or_b32_sdwa v186, v186, v187 dst_sel:DWORD dst_unused:UNUSED_PAD src0_sel:BYTE_0 src1_sel:DWORD
	v_or_b32_sdwa v179, v182, v179 dst_sel:WORD_1 dst_unused:UNUSED_PAD src0_sel:BYTE_0 src1_sel:DWORD
	v_or_b32_sdwa v184, v186, v179 dst_sel:DWORD dst_unused:UNUSED_PAD src0_sel:WORD_0 src1_sel:DWORD
	v_ashrrev_i32_e32 v179, s21, v183
	v_ashrrev_i32_e32 v183, s18, v185
	v_lshlrev_b32_e32 v183, 2, v183
	v_and_b32_e32 v182, 0x3030303, v179
	v_bfe_u32 v179, v179, 24, 2
	v_and_b32_e32 v183, 0x4040404, v183
	v_sub_u16_e32 v185, v182, v183
	v_sub_u16_sdwa v186, v182, v183 dst_sel:BYTE_1 dst_unused:UNUSED_PAD src0_sel:BYTE_1 src1_sel:BYTE_1
	v_sub_u16_sdwa v179, v179, v183 dst_sel:BYTE_1 dst_unused:UNUSED_PAD src0_sel:DWORD src1_sel:BYTE_3
	v_sub_u16_sdwa v182, v182, v183 dst_sel:DWORD dst_unused:UNUSED_PAD src0_sel:WORD_1 src1_sel:WORD_1
	v_or_b32_sdwa v179, v182, v179 dst_sel:WORD_1 dst_unused:UNUSED_PAD src0_sel:BYTE_0 src1_sel:DWORD
	v_dot4_i32_i8 v182, v175, v6, 0
	v_dot4_i32_i8 v182, v176, v7, v182
	;; [unrolled: 1-line block ×5, first 2 shown]
	v_or_b32_sdwa v185, v185, v186 dst_sel:DWORD dst_unused:UNUSED_PAD src0_sel:BYTE_0 src1_sel:DWORD
	v_dot4_i32_i8 v182, v181, v3, v182
	v_or_b32_sdwa v185, v185, v179 dst_sel:DWORD dst_unused:UNUSED_PAD src0_sel:WORD_0 src1_sel:DWORD
	v_dot4_i32_i8 v182, v184, v4, v182
	v_add3_u32 v179, s23, v162, v122
	v_dot4_i32_i8 v213, v185, v5, v182
	v_add_u32_e32 v182, 0x2100, v216
	ds_read_b32 v179, v179
	ds_read2_b32 v[182:183], v182 offset1:1
	ds_read2_b32 v[186:187], v193 offset1:1
	s_waitcnt lgkmcnt(1)
	v_ashrrev_i32_e32 v182, s21, v182
	s_waitcnt lgkmcnt(0)
	v_ashrrev_i32_e32 v186, s18, v186
	v_lshlrev_b32_e32 v186, 2, v186
	v_and_b32_e32 v188, 0x3030303, v182
	v_bfe_u32 v182, v182, 24, 2
	v_and_b32_e32 v186, 0x4040404, v186
	v_ashrrev_i32_e32 v187, s18, v187
	v_sub_u16_e32 v189, v188, v186
	v_sub_u16_sdwa v190, v188, v186 dst_sel:BYTE_1 dst_unused:UNUSED_PAD src0_sel:BYTE_1 src1_sel:BYTE_1
	v_sub_u16_sdwa v182, v182, v186 dst_sel:BYTE_1 dst_unused:UNUSED_PAD src0_sel:DWORD src1_sel:BYTE_3
	v_sub_u16_sdwa v186, v188, v186 dst_sel:DWORD dst_unused:UNUSED_PAD src0_sel:WORD_1 src1_sel:WORD_1
	v_ashrrev_i32_e32 v183, s21, v183
	v_lshlrev_b32_e32 v187, 2, v187
	v_or_b32_sdwa v189, v189, v190 dst_sel:DWORD dst_unused:UNUSED_PAD src0_sel:BYTE_0 src1_sel:DWORD
	v_or_b32_sdwa v182, v186, v182 dst_sel:WORD_1 dst_unused:UNUSED_PAD src0_sel:BYTE_0 src1_sel:DWORD
	v_and_b32_e32 v186, 0x3030303, v183
	v_bfe_u32 v183, v183, 24, 2
	v_and_b32_e32 v187, 0x4040404, v187
	v_or_b32_sdwa v182, v189, v182 dst_sel:DWORD dst_unused:UNUSED_PAD src0_sel:WORD_0 src1_sel:DWORD
	v_sub_u16_e32 v188, v186, v187
	v_sub_u16_sdwa v189, v186, v187 dst_sel:BYTE_1 dst_unused:UNUSED_PAD src0_sel:BYTE_1 src1_sel:BYTE_1
	v_sub_u16_sdwa v183, v183, v187 dst_sel:BYTE_1 dst_unused:UNUSED_PAD src0_sel:DWORD src1_sel:BYTE_3
	v_sub_u16_sdwa v186, v186, v187 dst_sel:DWORD dst_unused:UNUSED_PAD src0_sel:WORD_1 src1_sel:WORD_1
	v_or_b32_sdwa v188, v188, v189 dst_sel:DWORD dst_unused:UNUSED_PAD src0_sel:BYTE_0 src1_sel:DWORD
	v_or_b32_sdwa v183, v186, v183 dst_sel:WORD_1 dst_unused:UNUSED_PAD src0_sel:BYTE_0 src1_sel:DWORD
	v_add_u32_e32 v186, 0x2108, v216
	v_or_b32_sdwa v183, v188, v183 dst_sel:DWORD dst_unused:UNUSED_PAD src0_sel:WORD_0 src1_sel:DWORD
	ds_read2_b32 v[186:187], v186 offset1:1
	ds_read2_b32 v[188:189], v193 offset0:2 offset1:3
	s_waitcnt lgkmcnt(1)
	v_ashrrev_i32_e32 v186, s21, v186
	s_waitcnt lgkmcnt(0)
	v_ashrrev_i32_e32 v188, s18, v188
	v_lshlrev_b32_e32 v188, 2, v188
	v_and_b32_e32 v190, 0x3030303, v186
	v_bfe_u32 v186, v186, 24, 2
	v_and_b32_e32 v188, 0x4040404, v188
	v_ashrrev_i32_e32 v189, s18, v189
	v_sub_u16_e32 v191, v190, v188
	v_sub_u16_sdwa v192, v190, v188 dst_sel:BYTE_1 dst_unused:UNUSED_PAD src0_sel:BYTE_1 src1_sel:BYTE_1
	v_sub_u16_sdwa v186, v186, v188 dst_sel:BYTE_1 dst_unused:UNUSED_PAD src0_sel:DWORD src1_sel:BYTE_3
	v_sub_u16_sdwa v188, v190, v188 dst_sel:DWORD dst_unused:UNUSED_PAD src0_sel:WORD_1 src1_sel:WORD_1
	v_ashrrev_i32_e32 v187, s21, v187
	v_lshlrev_b32_e32 v189, 2, v189
	v_or_b32_sdwa v191, v191, v192 dst_sel:DWORD dst_unused:UNUSED_PAD src0_sel:BYTE_0 src1_sel:DWORD
	v_or_b32_sdwa v186, v188, v186 dst_sel:WORD_1 dst_unused:UNUSED_PAD src0_sel:BYTE_0 src1_sel:DWORD
	v_and_b32_e32 v188, 0x3030303, v187
	v_bfe_u32 v187, v187, 24, 2
	v_and_b32_e32 v189, 0x4040404, v189
	v_or_b32_sdwa v186, v191, v186 dst_sel:DWORD dst_unused:UNUSED_PAD src0_sel:WORD_0 src1_sel:DWORD
	v_sub_u16_e32 v190, v188, v189
	v_sub_u16_sdwa v191, v188, v189 dst_sel:BYTE_1 dst_unused:UNUSED_PAD src0_sel:BYTE_1 src1_sel:BYTE_1
	v_sub_u16_sdwa v187, v187, v189 dst_sel:BYTE_1 dst_unused:UNUSED_PAD src0_sel:DWORD src1_sel:BYTE_3
	v_sub_u16_sdwa v188, v188, v189 dst_sel:DWORD dst_unused:UNUSED_PAD src0_sel:WORD_1 src1_sel:WORD_1
	v_or_b32_sdwa v190, v190, v191 dst_sel:DWORD dst_unused:UNUSED_PAD src0_sel:BYTE_0 src1_sel:DWORD
	v_or_b32_sdwa v187, v188, v187 dst_sel:WORD_1 dst_unused:UNUSED_PAD src0_sel:BYTE_0 src1_sel:DWORD
	v_add_u32_e32 v188, 0x2110, v216
	v_or_b32_sdwa v187, v190, v187 dst_sel:DWORD dst_unused:UNUSED_PAD src0_sel:WORD_0 src1_sel:DWORD
	ds_read2_b32 v[189:190], v188 offset1:1
	ds_read2_b32 v[191:192], v193 offset0:4 offset1:5
	s_waitcnt lgkmcnt(1)
	v_ashrrev_i32_e32 v188, s21, v189
	s_waitcnt lgkmcnt(0)
	v_ashrrev_i32_e32 v191, s18, v191
	v_lshlrev_b32_e32 v191, 2, v191
	v_and_b32_e32 v189, 0x3030303, v188
	v_bfe_u32 v188, v188, 24, 2
	v_and_b32_e32 v191, 0x4040404, v191
	v_sub_u16_e32 v194, v189, v191
	v_sub_u16_sdwa v195, v189, v191 dst_sel:BYTE_1 dst_unused:UNUSED_PAD src0_sel:BYTE_1 src1_sel:BYTE_1
	v_sub_u16_sdwa v188, v188, v191 dst_sel:BYTE_1 dst_unused:UNUSED_PAD src0_sel:DWORD src1_sel:BYTE_3
	v_sub_u16_sdwa v189, v189, v191 dst_sel:DWORD dst_unused:UNUSED_PAD src0_sel:WORD_1 src1_sel:WORD_1
	v_or_b32_sdwa v194, v194, v195 dst_sel:DWORD dst_unused:UNUSED_PAD src0_sel:BYTE_0 src1_sel:DWORD
	v_or_b32_sdwa v188, v189, v188 dst_sel:WORD_1 dst_unused:UNUSED_PAD src0_sel:BYTE_0 src1_sel:DWORD
	v_ashrrev_i32_e32 v191, s18, v192
	v_or_b32_sdwa v189, v194, v188 dst_sel:DWORD dst_unused:UNUSED_PAD src0_sel:WORD_0 src1_sel:DWORD
	v_ashrrev_i32_e32 v188, s21, v190
	v_lshlrev_b32_e32 v191, 2, v191
	v_and_b32_e32 v190, 0x3030303, v188
	v_bfe_u32 v188, v188, 24, 2
	v_and_b32_e32 v191, 0x4040404, v191
	v_sub_u16_e32 v192, v190, v191
	v_sub_u16_sdwa v194, v190, v191 dst_sel:BYTE_1 dst_unused:UNUSED_PAD src0_sel:BYTE_1 src1_sel:BYTE_1
	v_sub_u16_sdwa v188, v188, v191 dst_sel:BYTE_1 dst_unused:UNUSED_PAD src0_sel:DWORD src1_sel:BYTE_3
	v_sub_u16_sdwa v190, v190, v191 dst_sel:DWORD dst_unused:UNUSED_PAD src0_sel:WORD_1 src1_sel:WORD_1
	v_or_b32_sdwa v192, v192, v194 dst_sel:DWORD dst_unused:UNUSED_PAD src0_sel:BYTE_0 src1_sel:DWORD
	v_or_b32_sdwa v188, v190, v188 dst_sel:WORD_1 dst_unused:UNUSED_PAD src0_sel:BYTE_0 src1_sel:DWORD
	v_or_b32_sdwa v190, v192, v188 dst_sel:DWORD dst_unused:UNUSED_PAD src0_sel:WORD_0 src1_sel:DWORD
	v_add_u32_e32 v188, 0x2118, v216
	ds_read2_b32 v[191:192], v188 offset1:1
	ds_read2_b32 v[193:194], v193 offset0:6 offset1:7
	s_waitcnt lgkmcnt(1)
	v_ashrrev_i32_e32 v188, s21, v191
	s_waitcnt lgkmcnt(0)
	v_ashrrev_i32_e32 v193, s18, v193
	v_lshlrev_b32_e32 v193, 2, v193
	v_and_b32_e32 v191, 0x3030303, v188
	v_bfe_u32 v188, v188, 24, 2
	v_and_b32_e32 v193, 0x4040404, v193
	v_sub_u16_e32 v195, v191, v193
	v_sub_u16_sdwa v196, v191, v193 dst_sel:BYTE_1 dst_unused:UNUSED_PAD src0_sel:BYTE_1 src1_sel:BYTE_1
	v_sub_u16_sdwa v188, v188, v193 dst_sel:BYTE_1 dst_unused:UNUSED_PAD src0_sel:DWORD src1_sel:BYTE_3
	v_sub_u16_sdwa v191, v191, v193 dst_sel:DWORD dst_unused:UNUSED_PAD src0_sel:WORD_1 src1_sel:WORD_1
	v_or_b32_sdwa v195, v195, v196 dst_sel:DWORD dst_unused:UNUSED_PAD src0_sel:BYTE_0 src1_sel:DWORD
	v_or_b32_sdwa v188, v191, v188 dst_sel:WORD_1 dst_unused:UNUSED_PAD src0_sel:BYTE_0 src1_sel:DWORD
	v_or_b32_sdwa v193, v195, v188 dst_sel:DWORD dst_unused:UNUSED_PAD src0_sel:WORD_0 src1_sel:DWORD
	v_ashrrev_i32_e32 v188, s21, v192
	v_ashrrev_i32_e32 v192, s18, v194
	v_lshlrev_b32_e32 v192, 2, v192
	v_and_b32_e32 v191, 0x3030303, v188
	v_bfe_u32 v188, v188, 24, 2
	v_and_b32_e32 v192, 0x4040404, v192
	v_sub_u16_e32 v194, v191, v192
	v_sub_u16_sdwa v195, v191, v192 dst_sel:BYTE_1 dst_unused:UNUSED_PAD src0_sel:BYTE_1 src1_sel:BYTE_1
	v_sub_u16_sdwa v188, v188, v192 dst_sel:BYTE_1 dst_unused:UNUSED_PAD src0_sel:DWORD src1_sel:BYTE_3
	v_sub_u16_sdwa v191, v191, v192 dst_sel:DWORD dst_unused:UNUSED_PAD src0_sel:WORD_1 src1_sel:WORD_1
	v_or_b32_sdwa v188, v191, v188 dst_sel:WORD_1 dst_unused:UNUSED_PAD src0_sel:BYTE_0 src1_sel:DWORD
	v_dot4_i32_i8 v191, v182, v6, 0
	v_dot4_i32_i8 v191, v183, v7, v191
	;; [unrolled: 1-line block ×5, first 2 shown]
	v_or_b32_sdwa v194, v194, v195 dst_sel:DWORD dst_unused:UNUSED_PAD src0_sel:BYTE_0 src1_sel:DWORD
	v_dot4_i32_i8 v191, v190, v3, v191
	v_or_b32_sdwa v194, v194, v188 dst_sel:DWORD dst_unused:UNUSED_PAD src0_sel:WORD_0 src1_sel:DWORD
	v_dot4_i32_i8 v191, v193, v4, v191
	v_add3_u32 v188, s23, v164, v124
	v_dot4_i32_i8 v215, v194, v5, v191
	v_add_u32_e32 v191, 0x3180, v216
	ds_read_b32 v188, v188
	ds_read2_b32 v[191:192], v191 offset1:1
	ds_read2_b32 v[195:196], v217 offset1:1
	s_waitcnt lgkmcnt(1)
	v_ashrrev_i32_e32 v191, s21, v191
	s_waitcnt lgkmcnt(0)
	v_ashrrev_i32_e32 v195, s18, v195
	v_lshlrev_b32_e32 v195, 2, v195
	v_and_b32_e32 v197, 0x3030303, v191
	v_bfe_u32 v191, v191, 24, 2
	v_and_b32_e32 v195, 0x4040404, v195
	v_ashrrev_i32_e32 v196, s18, v196
	v_sub_u16_e32 v198, v197, v195
	v_sub_u16_sdwa v199, v197, v195 dst_sel:BYTE_1 dst_unused:UNUSED_PAD src0_sel:BYTE_1 src1_sel:BYTE_1
	v_sub_u16_sdwa v191, v191, v195 dst_sel:BYTE_1 dst_unused:UNUSED_PAD src0_sel:DWORD src1_sel:BYTE_3
	v_sub_u16_sdwa v195, v197, v195 dst_sel:DWORD dst_unused:UNUSED_PAD src0_sel:WORD_1 src1_sel:WORD_1
	v_ashrrev_i32_e32 v192, s21, v192
	v_lshlrev_b32_e32 v196, 2, v196
	v_or_b32_sdwa v198, v198, v199 dst_sel:DWORD dst_unused:UNUSED_PAD src0_sel:BYTE_0 src1_sel:DWORD
	v_or_b32_sdwa v191, v195, v191 dst_sel:WORD_1 dst_unused:UNUSED_PAD src0_sel:BYTE_0 src1_sel:DWORD
	v_and_b32_e32 v195, 0x3030303, v192
	v_bfe_u32 v192, v192, 24, 2
	v_and_b32_e32 v196, 0x4040404, v196
	v_or_b32_sdwa v191, v198, v191 dst_sel:DWORD dst_unused:UNUSED_PAD src0_sel:WORD_0 src1_sel:DWORD
	v_sub_u16_e32 v197, v195, v196
	v_sub_u16_sdwa v198, v195, v196 dst_sel:BYTE_1 dst_unused:UNUSED_PAD src0_sel:BYTE_1 src1_sel:BYTE_1
	v_sub_u16_sdwa v192, v192, v196 dst_sel:BYTE_1 dst_unused:UNUSED_PAD src0_sel:DWORD src1_sel:BYTE_3
	v_sub_u16_sdwa v195, v195, v196 dst_sel:DWORD dst_unused:UNUSED_PAD src0_sel:WORD_1 src1_sel:WORD_1
	v_or_b32_sdwa v197, v197, v198 dst_sel:DWORD dst_unused:UNUSED_PAD src0_sel:BYTE_0 src1_sel:DWORD
	v_or_b32_sdwa v192, v195, v192 dst_sel:WORD_1 dst_unused:UNUSED_PAD src0_sel:BYTE_0 src1_sel:DWORD
	v_add_u32_e32 v195, 0x3188, v216
	v_or_b32_sdwa v192, v197, v192 dst_sel:DWORD dst_unused:UNUSED_PAD src0_sel:WORD_0 src1_sel:DWORD
	ds_read2_b32 v[195:196], v195 offset1:1
	ds_read2_b32 v[197:198], v217 offset0:2 offset1:3
	v_dot4_i32_i8 v6, v191, v6, 0
	v_dot4_i32_i8 v6, v192, v7, v6
	s_waitcnt lgkmcnt(1)
	v_ashrrev_i32_e32 v195, s21, v195
	s_waitcnt lgkmcnt(0)
	v_ashrrev_i32_e32 v197, s18, v197
	v_lshlrev_b32_e32 v197, 2, v197
	v_and_b32_e32 v199, 0x3030303, v195
	v_bfe_u32 v195, v195, 24, 2
	v_and_b32_e32 v197, 0x4040404, v197
	v_ashrrev_i32_e32 v198, s18, v198
	v_sub_u16_e32 v200, v199, v197
	v_sub_u16_sdwa v201, v199, v197 dst_sel:BYTE_1 dst_unused:UNUSED_PAD src0_sel:BYTE_1 src1_sel:BYTE_1
	v_sub_u16_sdwa v195, v195, v197 dst_sel:BYTE_1 dst_unused:UNUSED_PAD src0_sel:DWORD src1_sel:BYTE_3
	v_sub_u16_sdwa v197, v199, v197 dst_sel:DWORD dst_unused:UNUSED_PAD src0_sel:WORD_1 src1_sel:WORD_1
	v_ashrrev_i32_e32 v196, s21, v196
	v_lshlrev_b32_e32 v198, 2, v198
	v_or_b32_sdwa v200, v200, v201 dst_sel:DWORD dst_unused:UNUSED_PAD src0_sel:BYTE_0 src1_sel:DWORD
	v_or_b32_sdwa v195, v197, v195 dst_sel:WORD_1 dst_unused:UNUSED_PAD src0_sel:BYTE_0 src1_sel:DWORD
	v_and_b32_e32 v197, 0x3030303, v196
	v_bfe_u32 v196, v196, 24, 2
	v_and_b32_e32 v198, 0x4040404, v198
	v_or_b32_sdwa v195, v200, v195 dst_sel:DWORD dst_unused:UNUSED_PAD src0_sel:WORD_0 src1_sel:DWORD
	v_sub_u16_e32 v199, v197, v198
	v_sub_u16_sdwa v200, v197, v198 dst_sel:BYTE_1 dst_unused:UNUSED_PAD src0_sel:BYTE_1 src1_sel:BYTE_1
	v_sub_u16_sdwa v196, v196, v198 dst_sel:BYTE_1 dst_unused:UNUSED_PAD src0_sel:DWORD src1_sel:BYTE_3
	v_sub_u16_sdwa v197, v197, v198 dst_sel:DWORD dst_unused:UNUSED_PAD src0_sel:WORD_1 src1_sel:WORD_1
	v_or_b32_sdwa v199, v199, v200 dst_sel:DWORD dst_unused:UNUSED_PAD src0_sel:BYTE_0 src1_sel:DWORD
	v_or_b32_sdwa v196, v197, v196 dst_sel:WORD_1 dst_unused:UNUSED_PAD src0_sel:BYTE_0 src1_sel:DWORD
	v_add_u32_e32 v197, 0x3190, v216
	v_or_b32_sdwa v196, v199, v196 dst_sel:DWORD dst_unused:UNUSED_PAD src0_sel:WORD_0 src1_sel:DWORD
	ds_read2_b32 v[198:199], v197 offset1:1
	ds_read2_b32 v[200:201], v217 offset0:4 offset1:5
	v_dot4_i32_i8 v6, v195, v8, v6
	v_dot4_i32_i8 v6, v196, v9, v6
	s_waitcnt lgkmcnt(1)
	v_ashrrev_i32_e32 v197, s21, v198
	s_waitcnt lgkmcnt(0)
	v_ashrrev_i32_e32 v200, s18, v200
	v_lshlrev_b32_e32 v200, 2, v200
	v_and_b32_e32 v198, 0x3030303, v197
	v_bfe_u32 v197, v197, 24, 2
	v_and_b32_e32 v200, 0x4040404, v200
	v_sub_u16_e32 v218, v198, v200
	v_sub_u16_sdwa v219, v198, v200 dst_sel:BYTE_1 dst_unused:UNUSED_PAD src0_sel:BYTE_1 src1_sel:BYTE_1
	v_sub_u16_sdwa v197, v197, v200 dst_sel:BYTE_1 dst_unused:UNUSED_PAD src0_sel:DWORD src1_sel:BYTE_3
	v_sub_u16_sdwa v198, v198, v200 dst_sel:DWORD dst_unused:UNUSED_PAD src0_sel:WORD_1 src1_sel:WORD_1
	v_or_b32_sdwa v218, v218, v219 dst_sel:DWORD dst_unused:UNUSED_PAD src0_sel:BYTE_0 src1_sel:DWORD
	v_or_b32_sdwa v197, v198, v197 dst_sel:WORD_1 dst_unused:UNUSED_PAD src0_sel:BYTE_0 src1_sel:DWORD
	v_ashrrev_i32_e32 v200, s18, v201
	v_or_b32_sdwa v198, v218, v197 dst_sel:DWORD dst_unused:UNUSED_PAD src0_sel:WORD_0 src1_sel:DWORD
	v_ashrrev_i32_e32 v197, s21, v199
	v_lshlrev_b32_e32 v200, 2, v200
	v_and_b32_e32 v199, 0x3030303, v197
	v_bfe_u32 v197, v197, 24, 2
	v_and_b32_e32 v200, 0x4040404, v200
	v_sub_u16_e32 v201, v199, v200
	v_sub_u16_sdwa v218, v199, v200 dst_sel:BYTE_1 dst_unused:UNUSED_PAD src0_sel:BYTE_1 src1_sel:BYTE_1
	v_sub_u16_sdwa v197, v197, v200 dst_sel:BYTE_1 dst_unused:UNUSED_PAD src0_sel:DWORD src1_sel:BYTE_3
	v_sub_u16_sdwa v199, v199, v200 dst_sel:DWORD dst_unused:UNUSED_PAD src0_sel:WORD_1 src1_sel:WORD_1
	v_or_b32_sdwa v201, v201, v218 dst_sel:DWORD dst_unused:UNUSED_PAD src0_sel:BYTE_0 src1_sel:DWORD
	v_or_b32_sdwa v197, v199, v197 dst_sel:WORD_1 dst_unused:UNUSED_PAD src0_sel:BYTE_0 src1_sel:DWORD
	v_or_b32_sdwa v199, v201, v197 dst_sel:DWORD dst_unused:UNUSED_PAD src0_sel:WORD_0 src1_sel:DWORD
	v_add_u32_e32 v197, 0x3198, v216
	ds_read2_b32 v[200:201], v197 offset1:1
	ds_read2_b32 v[216:217], v217 offset0:6 offset1:7
	v_dot4_i32_i8 v2, v198, v2, 0
	v_dot4_i32_i8 v2, v199, v3, v2
	s_waitcnt lgkmcnt(1)
	v_ashrrev_i32_e32 v197, s21, v200
	s_waitcnt lgkmcnt(0)
	v_ashrrev_i32_e32 v216, s18, v216
	v_lshlrev_b32_e32 v216, 2, v216
	v_and_b32_e32 v200, 0x3030303, v197
	v_bfe_u32 v197, v197, 24, 2
	v_and_b32_e32 v216, 0x4040404, v216
	v_sub_u16_e32 v218, v200, v216
	v_sub_u16_sdwa v219, v200, v216 dst_sel:BYTE_1 dst_unused:UNUSED_PAD src0_sel:BYTE_1 src1_sel:BYTE_1
	v_sub_u16_sdwa v197, v197, v216 dst_sel:BYTE_1 dst_unused:UNUSED_PAD src0_sel:DWORD src1_sel:BYTE_3
	v_sub_u16_sdwa v200, v200, v216 dst_sel:DWORD dst_unused:UNUSED_PAD src0_sel:WORD_1 src1_sel:WORD_1
	v_or_b32_sdwa v218, v218, v219 dst_sel:DWORD dst_unused:UNUSED_PAD src0_sel:BYTE_0 src1_sel:DWORD
	v_or_b32_sdwa v197, v200, v197 dst_sel:WORD_1 dst_unused:UNUSED_PAD src0_sel:BYTE_0 src1_sel:DWORD
	v_ashrrev_i32_e32 v216, s18, v217
	v_or_b32_sdwa v200, v218, v197 dst_sel:DWORD dst_unused:UNUSED_PAD src0_sel:WORD_0 src1_sel:DWORD
	v_ashrrev_i32_e32 v197, s21, v201
	v_lshlrev_b32_e32 v216, 2, v216
	v_and_b32_e32 v201, 0x3030303, v197
	v_bfe_u32 v197, v197, 24, 2
	v_and_b32_e32 v216, 0x4040404, v216
	v_sub_u16_e32 v217, v201, v216
	v_sub_u16_sdwa v218, v201, v216 dst_sel:BYTE_1 dst_unused:UNUSED_PAD src0_sel:BYTE_1 src1_sel:BYTE_1
	v_sub_u16_sdwa v197, v197, v216 dst_sel:BYTE_1 dst_unused:UNUSED_PAD src0_sel:DWORD src1_sel:BYTE_3
	v_sub_u16_sdwa v201, v201, v216 dst_sel:DWORD dst_unused:UNUSED_PAD src0_sel:WORD_1 src1_sel:WORD_1
	v_or_b32_sdwa v217, v217, v218 dst_sel:DWORD dst_unused:UNUSED_PAD src0_sel:BYTE_0 src1_sel:DWORD
	v_or_b32_sdwa v197, v201, v197 dst_sel:WORD_1 dst_unused:UNUSED_PAD src0_sel:BYTE_0 src1_sel:DWORD
	v_or_b32_sdwa v201, v217, v197 dst_sel:DWORD dst_unused:UNUSED_PAD src0_sel:WORD_0 src1_sel:DWORD
	v_add3_u32 v197, s23, v166, v126
	ds_read_b32 v197, v197
	ds_read_b128 v[219:222], v172 offset:1024
	ds_read_b128 v[223:226], v172 offset:1040
	v_dot4_i32_i8 v2, v200, v4, v2
	v_dot4_i32_i8 v2, v201, v5, v2
	v_add_u32_e32 v216, s20, v136
	s_waitcnt lgkmcnt(1)
	v_dot4_i32_i8 v3, v63, v219, 0
	v_dot4_i32_i8 v3, v64, v220, v3
	;; [unrolled: 1-line block ×4, first 2 shown]
	s_waitcnt lgkmcnt(0)
	v_dot4_i32_i8 v3, v203, v223, 0
	v_dot4_i32_i8 v3, v204, v224, v3
	;; [unrolled: 1-line block ×4, first 2 shown]
	ds_read_u16 v3, v208 offset:33522
	s_add_i32 s18, s18, 1
	s_cmp_lt_u32 s19, 22
	s_waitcnt lgkmcnt(0)
	v_bfe_i32 v217, v3, 0, 8
	v_mul_lo_u32 v4, v4, v217
	v_lshrrev_b16_e32 v7, 8, v3
	v_bfe_i32 v218, v7, 0, 8
	v_mul_lo_u32 v3, v209, v218
	v_mad_u64_u32 v[4:5], s[20:21], v5, v218, v[4:5]
	v_mul_f32_e32 v5, v174, v62
	v_mad_u64_u32 v[7:8], s[20:21], v207, v217, v[3:4]
	v_mul_f32_e32 v3, v174, v61
	v_cvt_f32_i32_e32 v4, v4
	v_cvt_f32_i32_e32 v7, v7
	v_fma_f32 v11, v5, v4, v11
	v_fmac_f32_e32 v10, v3, v7
	v_dot4_i32_i8 v3, v175, v219, 0
	v_dot4_i32_i8 v3, v176, v220, v3
	;; [unrolled: 1-line block ×8, first 2 shown]
	ds_read_u16 v3, v211 offset:34546
	s_waitcnt lgkmcnt(0)
	v_bfe_i32 v207, v3, 0, 8
	v_mul_lo_u32 v4, v4, v207
	v_lshrrev_b16_e32 v7, 8, v3
	v_bfe_i32 v208, v7, 0, 8
	v_mul_lo_u32 v3, v213, v208
	v_mad_u64_u32 v[4:5], s[20:21], v5, v208, v[4:5]
	v_mul_f32_e32 v5, v179, v62
	v_mad_u64_u32 v[7:8], s[20:21], v210, v207, v[3:4]
	v_mul_f32_e32 v3, v179, v61
	v_cvt_f32_i32_e32 v4, v4
	v_cvt_f32_i32_e32 v7, v7
	v_fma_f32 v56, v5, v4, v56
	v_fmac_f32_e32 v55, v3, v7
	v_dot4_i32_i8 v3, v182, v219, 0
	v_dot4_i32_i8 v3, v183, v220, v3
	;; [unrolled: 1-line block ×8, first 2 shown]
	ds_read_u16 v3, v214 offset:35570
	s_waitcnt lgkmcnt(0)
	v_bfe_i32 v209, v3, 0, 8
	v_mul_lo_u32 v4, v4, v209
	v_lshrrev_b16_e32 v7, 8, v3
	v_bfe_i32 v210, v7, 0, 8
	v_mul_lo_u32 v3, v215, v210
	v_mad_u64_u32 v[4:5], s[20:21], v5, v210, v[4:5]
	v_mul_f32_e32 v5, v188, v62
	v_mad_u64_u32 v[7:8], s[20:21], v212, v209, v[3:4]
	v_cvt_f32_i32_e32 v4, v4
	v_mul_f32_e32 v3, v188, v61
	v_cvt_f32_i32_e32 v7, v7
	v_fma_f32 v58, v5, v4, v58
	ds_read_u16 v5, v216 offset:36594
	v_fmac_f32_e32 v57, v3, v7
	v_dot4_i32_i8 v3, v191, v219, 0
	v_dot4_i32_i8 v3, v192, v220, v3
	;; [unrolled: 1-line block ×4, first 2 shown]
	s_waitcnt lgkmcnt(0)
	v_bfe_i32 v211, v5, 0, 8
	v_dot4_i32_i8 v4, v198, v223, 0
	v_mul_lo_u32 v3, v3, v211
	v_dot4_i32_i8 v4, v199, v224, v4
	v_dot4_i32_i8 v4, v200, v225, v4
	v_lshrrev_b16_e32 v7, 8, v5
	v_dot4_i32_i8 v4, v201, v226, v4
	v_bfe_i32 v212, v7, 0, 8
	v_mul_lo_u32 v2, v2, v212
	v_mad_u64_u32 v[3:4], s[20:21], v4, v212, v[3:4]
	v_mad_u64_u32 v[4:5], s[20:21], v6, v211, v[2:3]
	v_cvt_f32_i32_e32 v3, v3
	v_mul_f32_e32 v2, v197, v61
	v_cvt_f32_i32_e32 v4, v4
	v_mul_f32_e32 v5, v197, v62
	v_fma_f32 v60, v5, v3, v60
	v_fmac_f32_e32 v59, v2, v4
	ds_read2_b32 v[61:62], v173 offset0:64 offset1:96
	ds_read_b128 v[2:5], v172 offset:2048
	ds_read_b128 v[6:9], v172 offset:2064
	s_waitcnt lgkmcnt(1)
	v_dot4_i32_i8 v214, v175, v2, 0
	v_dot4_i32_i8 v214, v176, v3, v214
	;; [unrolled: 1-line block ×4, first 2 shown]
	s_waitcnt lgkmcnt(0)
	v_dot4_i32_i8 v214, v180, v6, 0
	v_dot4_i32_i8 v214, v181, v7, v214
	;; [unrolled: 1-line block ×28, first 2 shown]
	ds_read_b128 v[2:5], v172 offset:3072
	ds_read_b128 v[6:9], v172 offset:3088
	v_mul_lo_u32 v213, v213, v218
	s_waitcnt lgkmcnt(1)
	v_dot4_i32_i8 v214, v63, v2, 0
	v_dot4_i32_i8 v214, v64, v3, v214
	;; [unrolled: 1-line block ×4, first 2 shown]
	s_waitcnt lgkmcnt(0)
	v_dot4_i32_i8 v215, v203, v6, 0
	v_mul_lo_u32 v214, v214, v217
	v_dot4_i32_i8 v215, v204, v7, v215
	v_dot4_i32_i8 v215, v205, v8, v215
	;; [unrolled: 1-line block ×3, first 2 shown]
	v_mad_u64_u32 v[214:215], s[20:21], v215, v218, v[214:215]
	v_mad_u64_u32 v[215:216], s[20:21], v216, v217, v[213:214]
	v_mul_f32_e32 v213, v174, v61
	v_cvt_f32_i32_e32 v214, v214
	v_cvt_f32_i32_e32 v215, v215
	v_mul_f32_e32 v216, v174, v62
	v_fma_f32 v48, v216, v214, v48
	v_fmac_f32_e32 v47, v213, v215
	v_dot4_i32_i8 v213, v175, v2, 0
	v_dot4_i32_i8 v213, v176, v3, v213
	;; [unrolled: 1-line block ×5, first 2 shown]
	v_mul_lo_u32 v214, v214, v207
	v_dot4_i32_i8 v213, v181, v7, v213
	v_dot4_i32_i8 v213, v184, v8, v213
	;; [unrolled: 1-line block ×3, first 2 shown]
	v_mul_lo_u32 v213, v220, v208
	v_mad_u64_u32 v[214:215], s[20:21], v215, v208, v[214:215]
	v_mad_u64_u32 v[215:216], s[20:21], v219, v207, v[213:214]
	v_mul_f32_e32 v213, v179, v61
	v_cvt_f32_i32_e32 v214, v214
	v_cvt_f32_i32_e32 v215, v215
	v_mul_f32_e32 v216, v179, v62
	v_fma_f32 v50, v216, v214, v50
	v_fmac_f32_e32 v49, v213, v215
	v_dot4_i32_i8 v213, v182, v2, 0
	v_dot4_i32_i8 v2, v191, v2, 0
	;; [unrolled: 1-line block ×7, first 2 shown]
	v_mul_lo_u32 v3, v3, v211
	v_dot4_i32_i8 v2, v199, v7, v2
	v_dot4_i32_i8 v2, v200, v8, v2
	;; [unrolled: 1-line block ×4, first 2 shown]
	v_mul_lo_u32 v2, v224, v212
	v_mad_u64_u32 v[3:4], s[20:21], v4, v212, v[3:4]
	v_dot4_i32_i8 v214, v187, v5, v213
	v_dot4_i32_i8 v213, v189, v6, 0
	v_mul_lo_u32 v214, v214, v209
	v_dot4_i32_i8 v213, v190, v7, v213
	v_mad_u64_u32 v[4:5], s[20:21], v223, v211, v[2:3]
	v_dot4_i32_i8 v213, v193, v8, v213
	v_dot4_i32_i8 v215, v194, v9, v213
	v_mul_lo_u32 v213, v222, v210
	v_mad_u64_u32 v[214:215], s[20:21], v215, v210, v[214:215]
	v_cvt_f32_i32_e32 v4, v4
	v_cvt_f32_i32_e32 v3, v3
	v_mad_u64_u32 v[215:216], s[20:21], v221, v209, v[213:214]
	v_mul_f32_e32 v2, v197, v61
	v_mul_f32_e32 v5, v197, v62
	;; [unrolled: 1-line block ×4, first 2 shown]
	v_cvt_f32_i32_e32 v214, v214
	v_fma_f32 v54, v5, v3, v54
	v_fmac_f32_e32 v53, v2, v4
	ds_read2_b32 v[61:62], v173 offset0:128 offset1:160
	ds_read_b128 v[2:5], v172 offset:4096
	ds_read_b128 v[6:9], v172 offset:4112
	v_fma_f32 v52, v216, v214, v52
	v_cvt_f32_i32_e32 v215, v215
	s_waitcnt lgkmcnt(1)
	v_dot4_i32_i8 v214, v175, v2, 0
	v_dot4_i32_i8 v214, v176, v3, v214
	;; [unrolled: 1-line block ×4, first 2 shown]
	s_waitcnt lgkmcnt(0)
	v_dot4_i32_i8 v214, v180, v6, 0
	v_dot4_i32_i8 v214, v181, v7, v214
	;; [unrolled: 1-line block ×3, first 2 shown]
	v_fmac_f32_e32 v51, v213, v215
	v_dot4_i32_i8 v213, v63, v2, 0
	v_dot4_i32_i8 v220, v185, v9, v214
	;; [unrolled: 1-line block ×25, first 2 shown]
	ds_read_b128 v[2:5], v172 offset:5120
	ds_read_b128 v[6:9], v172 offset:5136
	v_mul_lo_u32 v213, v213, v218
	s_waitcnt lgkmcnt(1)
	v_dot4_i32_i8 v214, v63, v2, 0
	v_dot4_i32_i8 v214, v64, v3, v214
	;; [unrolled: 1-line block ×4, first 2 shown]
	s_waitcnt lgkmcnt(0)
	v_dot4_i32_i8 v215, v203, v6, 0
	v_mul_lo_u32 v214, v214, v217
	v_dot4_i32_i8 v215, v204, v7, v215
	v_dot4_i32_i8 v215, v205, v8, v215
	;; [unrolled: 1-line block ×3, first 2 shown]
	v_mad_u64_u32 v[214:215], s[20:21], v215, v218, v[214:215]
	v_mad_u64_u32 v[215:216], s[20:21], v216, v217, v[213:214]
	v_mul_f32_e32 v213, v174, v61
	v_cvt_f32_i32_e32 v214, v214
	v_cvt_f32_i32_e32 v215, v215
	v_mul_f32_e32 v216, v174, v62
	v_fma_f32 v40, v216, v214, v40
	v_fmac_f32_e32 v39, v213, v215
	v_dot4_i32_i8 v213, v175, v2, 0
	v_dot4_i32_i8 v213, v176, v3, v213
	;; [unrolled: 1-line block ×5, first 2 shown]
	v_mul_lo_u32 v214, v214, v207
	v_dot4_i32_i8 v213, v181, v7, v213
	v_dot4_i32_i8 v213, v184, v8, v213
	;; [unrolled: 1-line block ×3, first 2 shown]
	v_mul_lo_u32 v213, v220, v208
	v_mad_u64_u32 v[214:215], s[20:21], v215, v208, v[214:215]
	v_mad_u64_u32 v[215:216], s[20:21], v219, v207, v[213:214]
	v_mul_f32_e32 v213, v179, v61
	v_cvt_f32_i32_e32 v214, v214
	v_cvt_f32_i32_e32 v215, v215
	v_mul_f32_e32 v216, v179, v62
	v_fma_f32 v42, v216, v214, v42
	v_fmac_f32_e32 v41, v213, v215
	v_dot4_i32_i8 v213, v182, v2, 0
	v_dot4_i32_i8 v2, v191, v2, 0
	;; [unrolled: 1-line block ×7, first 2 shown]
	v_mul_lo_u32 v3, v3, v211
	v_dot4_i32_i8 v2, v199, v7, v2
	v_dot4_i32_i8 v213, v186, v4, v213
	;; [unrolled: 1-line block ×6, first 2 shown]
	v_mul_lo_u32 v214, v214, v209
	v_mul_lo_u32 v2, v224, v212
	v_mad_u64_u32 v[3:4], s[20:21], v4, v212, v[3:4]
	v_dot4_i32_i8 v213, v190, v7, v213
	v_dot4_i32_i8 v213, v193, v8, v213
	;; [unrolled: 1-line block ×3, first 2 shown]
	v_mul_lo_u32 v213, v222, v210
	v_mad_u64_u32 v[214:215], s[20:21], v215, v210, v[214:215]
	v_mad_u64_u32 v[4:5], s[20:21], v223, v211, v[2:3]
	v_mad_u64_u32 v[215:216], s[20:21], v221, v209, v[213:214]
	v_cvt_f32_i32_e32 v4, v4
	v_cvt_f32_i32_e32 v3, v3
	v_mul_f32_e32 v2, v197, v61
	v_mul_f32_e32 v5, v197, v62
	;; [unrolled: 1-line block ×4, first 2 shown]
	v_cvt_f32_i32_e32 v215, v215
	v_fma_f32 v46, v5, v3, v46
	v_fmac_f32_e32 v45, v2, v4
	ds_read2_b32 v[61:62], v173 offset0:192 offset1:224
	ds_read_b128 v[2:5], v172 offset:6144
	ds_read_b128 v[6:9], v172 offset:6160
	v_fmac_f32_e32 v43, v213, v215
	v_cvt_f32_i32_e32 v214, v214
	v_add_u32_e32 v173, 4, v173
	s_waitcnt lgkmcnt(1)
	v_dot4_i32_i8 v213, v63, v2, 0
	v_dot4_i32_i8 v213, v64, v3, v213
	;; [unrolled: 1-line block ×4, first 2 shown]
	s_waitcnt lgkmcnt(0)
	v_dot4_i32_i8 v213, v203, v6, 0
	v_dot4_i32_i8 v213, v204, v7, v213
	;; [unrolled: 1-line block ×22, first 2 shown]
	v_fma_f32 v44, v216, v214, v44
	v_dot4_i32_i8 v216, v194, v9, v213
	v_dot4_i32_i8 v213, v196, v5, v2
	;; [unrolled: 1-line block ×6, first 2 shown]
	ds_read_b128 v[6:9], v172 offset:7168
	ds_read_b128 v[2:5], v172 offset:7184
	v_add_u32_e32 v172, 32, v172
	s_waitcnt lgkmcnt(1)
	v_dot4_i32_i8 v63, v63, v6, 0
	v_dot4_i32_i8 v63, v64, v7, v63
	v_dot4_i32_i8 v63, v65, v8, v63
	v_dot4_i32_i8 v63, v202, v9, v63
	s_waitcnt lgkmcnt(0)
	v_dot4_i32_i8 v64, v203, v2, 0
	v_mul_lo_u32 v63, v63, v217
	v_dot4_i32_i8 v64, v204, v3, v64
	v_dot4_i32_i8 v64, v205, v4, v64
	;; [unrolled: 1-line block ×3, first 2 shown]
	v_mul_lo_u32 v65, v222, v218
	v_mad_u64_u32 v[63:64], s[20:21], v64, v218, v[63:64]
	v_mad_u64_u32 v[64:65], s[20:21], v221, v217, v[65:66]
	v_cvt_f32_i32_e32 v63, v63
	v_mul_f32_e32 v65, v174, v61
	v_mul_f32_e32 v174, v174, v62
	v_cvt_f32_i32_e32 v64, v64
	v_fma_f32 v32, v174, v63, v32
	v_dot4_i32_i8 v63, v175, v6, 0
	v_dot4_i32_i8 v63, v176, v7, v63
	;; [unrolled: 1-line block ×3, first 2 shown]
	v_fmac_f32_e32 v31, v65, v64
	v_dot4_i32_i8 v64, v178, v9, v63
	v_dot4_i32_i8 v63, v180, v2, 0
	v_mul_lo_u32 v64, v64, v207
	v_dot4_i32_i8 v63, v181, v3, v63
	v_dot4_i32_i8 v63, v184, v4, v63
	v_dot4_i32_i8 v65, v185, v5, v63
	v_mul_lo_u32 v63, v220, v208
	v_mad_u64_u32 v[64:65], s[20:21], v65, v208, v[64:65]
	v_mul_f32_e32 v65, v179, v62
	v_mad_u64_u32 v[174:175], s[20:21], v219, v207, v[63:64]
	v_mul_f32_e32 v63, v179, v61
	v_cvt_f32_i32_e32 v64, v64
	v_cvt_f32_i32_e32 v174, v174
	v_fma_f32 v34, v65, v64, v34
	v_fmac_f32_e32 v33, v63, v174
	v_dot4_i32_i8 v63, v182, v6, 0
	v_dot4_i32_i8 v6, v191, v6, 0
	;; [unrolled: 1-line block ×11, first 2 shown]
	v_mul_lo_u32 v64, v64, v209
	v_dot4_i32_i8 v2, v199, v3, v2
	v_mul_lo_u32 v3, v6, v211
	v_dot4_i32_i8 v63, v193, v4, v63
	v_dot4_i32_i8 v2, v200, v4, v2
	;; [unrolled: 1-line block ×4, first 2 shown]
	v_mul_lo_u32 v63, v216, v210
	v_mad_u64_u32 v[64:65], s[20:21], v65, v210, v[64:65]
	v_mul_lo_u32 v2, v214, v212
	v_mad_u64_u32 v[3:4], s[20:21], v4, v212, v[3:4]
	v_mad_u64_u32 v[174:175], s[20:21], v215, v209, v[63:64]
	;; [unrolled: 1-line block ×3, first 2 shown]
	v_cvt_f32_i32_e32 v174, v174
	v_cvt_f32_i32_e32 v64, v64
	;; [unrolled: 1-line block ×4, first 2 shown]
	v_mul_f32_e32 v63, v188, v61
	v_mul_f32_e32 v65, v188, v62
	;; [unrolled: 1-line block ×4, first 2 shown]
	v_fma_f32 v36, v65, v64, v36
	v_fmac_f32_e32 v35, v63, v174
	v_fma_f32 v38, v5, v3, v38
	v_fmac_f32_e32 v37, v2, v4
	s_mov_b32 s20, s19
	s_cbranch_scc1 .LBB150_12
; %bb.13:                               ;   in Loop: Header=BB150_6 Depth=1
	v_add_u32_e32 v65, s16, v129
	v_add_u32_e32 v170, 12, v170
	;; [unrolled: 1-line block ×3, first 2 shown]
	v_mad_u64_u32 v[174:175], s[16:17], v170, 36, s[2:3]
	v_mad_i64_i32 v[2:3], s[16:17], v2, 36, v[29:30]
	v_add_u32_e32 v4, v65, v112
	v_mad_i64_i32 v[4:5], s[16:17], v4, 36, v[29:30]
	v_add_u32_e32 v6, v65, v113
	v_add_u32_e32 v8, v65, v114
	v_mad_i64_i32 v[6:7], s[16:17], v6, 36, v[29:30]
	v_mad_i64_i32 v[8:9], s[16:17], v8, 36, v[29:30]
	v_add_u32_e32 v61, v65, v115
	v_add_u32_e32 v63, v65, v116
	;; [unrolled: 1-line block ×4, first 2 shown]
	s_barrier
	v_mad_i64_i32 v[61:62], s[16:17], v61, 36, v[29:30]
	v_mad_i64_i32 v[63:64], s[16:17], v63, 36, v[29:30]
	;; [unrolled: 1-line block ×4, first 2 shown]
	global_load_dword v65, v[174:175], off
	s_nop 0
	global_load_dword v2, v[2:3], off offset:4
	s_nop 0
	global_load_dword v3, v[4:5], off offset:4
	;; [unrolled: 2-line block ×3, first 2 shown]
	global_load_dword v5, v[8:9], off offset:4
	s_nop 0
	global_load_dword v6, v[61:62], off offset:4
	global_load_dword v7, v[63:64], off offset:4
	;; [unrolled: 1-line block ×4, first 2 shown]
	s_mov_b32 s16, 24
	s_mov_b32 s19, 22
	;; [unrolled: 1-line block ×3, first 2 shown]
	v_mov_b32_e32 v170, v139
	s_waitcnt vmcnt(8)
	v_cvt_f32_f16_e32 v61, v65
	s_waitcnt vmcnt(7)
	ds_write_b32 v171, v2
	s_waitcnt vmcnt(6)
	ds_write_b32 v154, v3
	;; [unrolled: 2-line block ×8, first 2 shown]
	ds_write_b32 v109, v61
	v_mov_b32_e32 v171, v138
	s_waitcnt lgkmcnt(0)
	s_barrier
.LBB150_14:                             ;   Parent Loop BB150_6 Depth=1
                                        ; =>  This Inner Loop Header: Depth=2
	s_add_i32 s18, s19, 2
	s_lshr_b32 s23, s18, 4
	s_and_b32 s21, s18, 0x3ffffff8
	v_lshl_add_u32 v214, s21, 2, v119
	s_lshl_b32 s21, s23, 5
	s_addk_i32 s21, 0x4200
	v_add3_u32 v176, s21, v167, v120
	ds_read2_b32 v[61:62], v171 offset1:32
	ds_read_b128 v[6:9], v170
	ds_read_b128 v[2:5], v170 offset:16
	ds_read2_b32 v[63:64], v214 offset1:1
	ds_read2_b32 v[172:173], v176 offset1:1
	s_sub_i32 s20, s19, 22
	s_and_b32 s22, s16, -16
	s_add_i32 s19, s19, s22
	s_waitcnt lgkmcnt(1)
	v_ashrrev_i32_e32 v63, s20, v63
	s_waitcnt lgkmcnt(0)
	v_ashrrev_i32_e32 v172, s17, v172
	v_lshlrev_b32_e32 v172, 2, v172
	v_and_b32_e32 v65, 0x3030303, v63
	v_bfe_u32 v63, v63, 24, 2
	v_and_b32_e32 v172, 0x4040404, v172
	v_sub_u16_e32 v174, v65, v172
	v_sub_u16_sdwa v175, v65, v172 dst_sel:BYTE_1 dst_unused:UNUSED_PAD src0_sel:BYTE_1 src1_sel:BYTE_1
	v_sub_u16_sdwa v63, v63, v172 dst_sel:BYTE_1 dst_unused:UNUSED_PAD src0_sel:DWORD src1_sel:BYTE_3
	v_sub_u16_sdwa v65, v65, v172 dst_sel:DWORD dst_unused:UNUSED_PAD src0_sel:WORD_1 src1_sel:WORD_1
	v_ashrrev_i32_e32 v172, s17, v173
	v_ashrrev_i32_e32 v64, s20, v64
	v_lshlrev_b32_e32 v172, 2, v172
	v_or_b32_sdwa v174, v174, v175 dst_sel:DWORD dst_unused:UNUSED_PAD src0_sel:BYTE_0 src1_sel:DWORD
	v_or_b32_sdwa v63, v65, v63 dst_sel:WORD_1 dst_unused:UNUSED_PAD src0_sel:BYTE_0 src1_sel:DWORD
	v_and_b32_e32 v65, 0x3030303, v64
	v_bfe_u32 v64, v64, 24, 2
	v_and_b32_e32 v172, 0x4040404, v172
	v_or_b32_sdwa v63, v174, v63 dst_sel:DWORD dst_unused:UNUSED_PAD src0_sel:WORD_0 src1_sel:DWORD
	v_sub_u16_e32 v173, v65, v172
	v_sub_u16_sdwa v174, v65, v172 dst_sel:BYTE_1 dst_unused:UNUSED_PAD src0_sel:BYTE_1 src1_sel:BYTE_1
	v_sub_u16_sdwa v64, v64, v172 dst_sel:BYTE_1 dst_unused:UNUSED_PAD src0_sel:DWORD src1_sel:BYTE_3
	v_sub_u16_sdwa v65, v65, v172 dst_sel:DWORD dst_unused:UNUSED_PAD src0_sel:WORD_1 src1_sel:WORD_1
	v_or_b32_sdwa v173, v173, v174 dst_sel:DWORD dst_unused:UNUSED_PAD src0_sel:BYTE_0 src1_sel:DWORD
	v_or_b32_sdwa v64, v65, v64 dst_sel:WORD_1 dst_unused:UNUSED_PAD src0_sel:BYTE_0 src1_sel:DWORD
	v_or_b32_sdwa v64, v173, v64 dst_sel:DWORD dst_unused:UNUSED_PAD src0_sel:WORD_0 src1_sel:DWORD
	ds_read2_b32 v[172:173], v214 offset0:2 offset1:3
	ds_read2_b32 v[174:175], v176 offset0:2 offset1:3
	s_lshl_b32 s22, s23, 2
	s_add_i32 s22, s22, 0x9380
	v_add3_u32 v182, s21, v161, v121
	s_waitcnt lgkmcnt(1)
	v_ashrrev_i32_e32 v65, s20, v172
	s_waitcnt lgkmcnt(0)
	v_ashrrev_i32_e32 v174, s17, v174
	v_lshlrev_b32_e32 v174, 2, v174
	v_and_b32_e32 v172, 0x3030303, v65
	v_bfe_u32 v65, v65, 24, 2
	v_and_b32_e32 v174, 0x4040404, v174
	v_sub_u16_e32 v177, v172, v174
	v_sub_u16_sdwa v178, v172, v174 dst_sel:BYTE_1 dst_unused:UNUSED_PAD src0_sel:BYTE_1 src1_sel:BYTE_1
	v_sub_u16_sdwa v65, v65, v174 dst_sel:BYTE_1 dst_unused:UNUSED_PAD src0_sel:DWORD src1_sel:BYTE_3
	v_sub_u16_sdwa v172, v172, v174 dst_sel:DWORD dst_unused:UNUSED_PAD src0_sel:WORD_1 src1_sel:WORD_1
	v_ashrrev_i32_e32 v174, s17, v175
	v_or_b32_sdwa v65, v172, v65 dst_sel:WORD_1 dst_unused:UNUSED_PAD src0_sel:BYTE_0 src1_sel:DWORD
	v_ashrrev_i32_e32 v172, s20, v173
	v_lshlrev_b32_e32 v174, 2, v174
	v_or_b32_sdwa v177, v177, v178 dst_sel:DWORD dst_unused:UNUSED_PAD src0_sel:BYTE_0 src1_sel:DWORD
	v_and_b32_e32 v173, 0x3030303, v172
	v_bfe_u32 v172, v172, 24, 2
	v_and_b32_e32 v174, 0x4040404, v174
	v_or_b32_sdwa v65, v177, v65 dst_sel:DWORD dst_unused:UNUSED_PAD src0_sel:WORD_0 src1_sel:DWORD
	v_sub_u16_e32 v175, v173, v174
	v_sub_u16_sdwa v177, v173, v174 dst_sel:BYTE_1 dst_unused:UNUSED_PAD src0_sel:BYTE_1 src1_sel:BYTE_1
	v_sub_u16_sdwa v172, v172, v174 dst_sel:BYTE_1 dst_unused:UNUSED_PAD src0_sel:DWORD src1_sel:BYTE_3
	v_sub_u16_sdwa v173, v173, v174 dst_sel:DWORD dst_unused:UNUSED_PAD src0_sel:WORD_1 src1_sel:WORD_1
	v_or_b32_sdwa v175, v175, v177 dst_sel:DWORD dst_unused:UNUSED_PAD src0_sel:BYTE_0 src1_sel:DWORD
	v_or_b32_sdwa v172, v173, v172 dst_sel:WORD_1 dst_unused:UNUSED_PAD src0_sel:BYTE_0 src1_sel:DWORD
	v_or_b32_sdwa v200, v175, v172 dst_sel:DWORD dst_unused:UNUSED_PAD src0_sel:WORD_0 src1_sel:DWORD
	ds_read2_b32 v[172:173], v214 offset0:4 offset1:5
	ds_read2_b32 v[174:175], v176 offset0:4 offset1:5
	v_add3_u32 v191, s21, v163, v123
	v_add3_u32 v215, s21, v165, v125
	v_add_u32_e32 v206, s19, v130
	s_waitcnt lgkmcnt(1)
	v_ashrrev_i32_e32 v172, s20, v172
	s_waitcnt lgkmcnt(0)
	v_ashrrev_i32_e32 v174, s17, v174
	v_lshlrev_b32_e32 v174, 2, v174
	v_and_b32_e32 v177, 0x3030303, v172
	v_bfe_u32 v172, v172, 24, 2
	v_and_b32_e32 v174, 0x4040404, v174
	v_sub_u16_e32 v178, v177, v174
	v_sub_u16_sdwa v179, v177, v174 dst_sel:BYTE_1 dst_unused:UNUSED_PAD src0_sel:BYTE_1 src1_sel:BYTE_1
	v_sub_u16_sdwa v172, v172, v174 dst_sel:BYTE_1 dst_unused:UNUSED_PAD src0_sel:DWORD src1_sel:BYTE_3
	v_sub_u16_sdwa v174, v177, v174 dst_sel:DWORD dst_unused:UNUSED_PAD src0_sel:WORD_1 src1_sel:WORD_1
	v_or_b32_sdwa v178, v178, v179 dst_sel:DWORD dst_unused:UNUSED_PAD src0_sel:BYTE_0 src1_sel:DWORD
	v_or_b32_sdwa v172, v174, v172 dst_sel:WORD_1 dst_unused:UNUSED_PAD src0_sel:BYTE_0 src1_sel:DWORD
	v_ashrrev_i32_e32 v174, s17, v175
	v_or_b32_sdwa v201, v178, v172 dst_sel:DWORD dst_unused:UNUSED_PAD src0_sel:WORD_0 src1_sel:DWORD
	v_ashrrev_i32_e32 v172, s20, v173
	v_lshlrev_b32_e32 v174, 2, v174
	v_and_b32_e32 v173, 0x3030303, v172
	v_bfe_u32 v172, v172, 24, 2
	v_and_b32_e32 v174, 0x4040404, v174
	v_sub_u16_e32 v175, v173, v174
	v_sub_u16_sdwa v177, v173, v174 dst_sel:BYTE_1 dst_unused:UNUSED_PAD src0_sel:BYTE_1 src1_sel:BYTE_1
	v_sub_u16_sdwa v172, v172, v174 dst_sel:BYTE_1 dst_unused:UNUSED_PAD src0_sel:DWORD src1_sel:BYTE_3
	v_sub_u16_sdwa v173, v173, v174 dst_sel:DWORD dst_unused:UNUSED_PAD src0_sel:WORD_1 src1_sel:WORD_1
	v_or_b32_sdwa v175, v175, v177 dst_sel:DWORD dst_unused:UNUSED_PAD src0_sel:BYTE_0 src1_sel:DWORD
	v_or_b32_sdwa v172, v173, v172 dst_sel:WORD_1 dst_unused:UNUSED_PAD src0_sel:BYTE_0 src1_sel:DWORD
	v_or_b32_sdwa v202, v175, v172 dst_sel:DWORD dst_unused:UNUSED_PAD src0_sel:WORD_0 src1_sel:DWORD
	ds_read2_b32 v[172:173], v214 offset0:6 offset1:7
	ds_read2_b32 v[174:175], v176 offset0:6 offset1:7
	v_add_u32_e32 v209, s19, v132
	v_add_u32_e32 v212, s19, v134
	s_add_i32 s16, s16, 2
	s_waitcnt lgkmcnt(1)
	v_ashrrev_i32_e32 v172, s20, v172
	s_waitcnt lgkmcnt(0)
	v_ashrrev_i32_e32 v174, s17, v174
	v_lshlrev_b32_e32 v174, 2, v174
	v_and_b32_e32 v177, 0x3030303, v172
	v_bfe_u32 v172, v172, 24, 2
	v_and_b32_e32 v174, 0x4040404, v174
	v_sub_u16_e32 v176, v177, v174
	v_sub_u16_sdwa v178, v177, v174 dst_sel:BYTE_1 dst_unused:UNUSED_PAD src0_sel:BYTE_1 src1_sel:BYTE_1
	v_sub_u16_sdwa v172, v172, v174 dst_sel:BYTE_1 dst_unused:UNUSED_PAD src0_sel:DWORD src1_sel:BYTE_3
	v_sub_u16_sdwa v174, v177, v174 dst_sel:DWORD dst_unused:UNUSED_PAD src0_sel:WORD_1 src1_sel:WORD_1
	v_or_b32_sdwa v176, v176, v178 dst_sel:DWORD dst_unused:UNUSED_PAD src0_sel:BYTE_0 src1_sel:DWORD
	v_or_b32_sdwa v172, v174, v172 dst_sel:WORD_1 dst_unused:UNUSED_PAD src0_sel:BYTE_0 src1_sel:DWORD
	v_ashrrev_i32_e32 v174, s17, v175
	v_or_b32_sdwa v203, v176, v172 dst_sel:DWORD dst_unused:UNUSED_PAD src0_sel:WORD_0 src1_sel:DWORD
	v_ashrrev_i32_e32 v172, s20, v173
	v_lshlrev_b32_e32 v174, 2, v174
	v_and_b32_e32 v173, 0x3030303, v172
	v_bfe_u32 v172, v172, 24, 2
	v_and_b32_e32 v174, 0x4040404, v174
	v_sub_u16_e32 v175, v173, v174
	v_sub_u16_sdwa v176, v173, v174 dst_sel:BYTE_1 dst_unused:UNUSED_PAD src0_sel:BYTE_1 src1_sel:BYTE_1
	v_sub_u16_sdwa v172, v172, v174 dst_sel:BYTE_1 dst_unused:UNUSED_PAD src0_sel:DWORD src1_sel:BYTE_3
	v_sub_u16_sdwa v173, v173, v174 dst_sel:DWORD dst_unused:UNUSED_PAD src0_sel:WORD_1 src1_sel:WORD_1
	v_or_b32_sdwa v172, v173, v172 dst_sel:WORD_1 dst_unused:UNUSED_PAD src0_sel:BYTE_0 src1_sel:DWORD
	v_dot4_i32_i8 v173, v63, v6, 0
	v_dot4_i32_i8 v173, v64, v7, v173
	;; [unrolled: 1-line block ×5, first 2 shown]
	v_or_b32_sdwa v175, v175, v176 dst_sel:DWORD dst_unused:UNUSED_PAD src0_sel:BYTE_0 src1_sel:DWORD
	v_dot4_i32_i8 v173, v202, v3, v173
	v_or_b32_sdwa v204, v175, v172 dst_sel:DWORD dst_unused:UNUSED_PAD src0_sel:WORD_0 src1_sel:DWORD
	v_dot4_i32_i8 v173, v203, v4, v173
	v_add3_u32 v172, s22, v168, v169
	v_dot4_i32_i8 v207, v204, v5, v173
	v_add_u32_e32 v173, 0x1080, v214
	ds_read_b32 v172, v172
	ds_read2_b32 v[173:174], v173 offset1:1
	ds_read2_b32 v[175:176], v182 offset1:1
	s_waitcnt lgkmcnt(1)
	v_ashrrev_i32_e32 v173, s20, v173
	s_waitcnt lgkmcnt(0)
	v_ashrrev_i32_e32 v175, s17, v175
	v_lshlrev_b32_e32 v175, 2, v175
	v_and_b32_e32 v177, 0x3030303, v173
	v_bfe_u32 v173, v173, 24, 2
	v_and_b32_e32 v175, 0x4040404, v175
	v_ashrrev_i32_e32 v176, s17, v176
	v_sub_u16_e32 v178, v177, v175
	v_sub_u16_sdwa v179, v177, v175 dst_sel:BYTE_1 dst_unused:UNUSED_PAD src0_sel:BYTE_1 src1_sel:BYTE_1
	v_sub_u16_sdwa v173, v173, v175 dst_sel:BYTE_1 dst_unused:UNUSED_PAD src0_sel:DWORD src1_sel:BYTE_3
	v_sub_u16_sdwa v175, v177, v175 dst_sel:DWORD dst_unused:UNUSED_PAD src0_sel:WORD_1 src1_sel:WORD_1
	v_ashrrev_i32_e32 v174, s20, v174
	v_lshlrev_b32_e32 v176, 2, v176
	v_or_b32_sdwa v178, v178, v179 dst_sel:DWORD dst_unused:UNUSED_PAD src0_sel:BYTE_0 src1_sel:DWORD
	v_or_b32_sdwa v173, v175, v173 dst_sel:WORD_1 dst_unused:UNUSED_PAD src0_sel:BYTE_0 src1_sel:DWORD
	v_and_b32_e32 v175, 0x3030303, v174
	v_bfe_u32 v174, v174, 24, 2
	v_and_b32_e32 v176, 0x4040404, v176
	v_or_b32_sdwa v173, v178, v173 dst_sel:DWORD dst_unused:UNUSED_PAD src0_sel:WORD_0 src1_sel:DWORD
	v_sub_u16_e32 v177, v175, v176
	v_sub_u16_sdwa v178, v175, v176 dst_sel:BYTE_1 dst_unused:UNUSED_PAD src0_sel:BYTE_1 src1_sel:BYTE_1
	v_sub_u16_sdwa v174, v174, v176 dst_sel:BYTE_1 dst_unused:UNUSED_PAD src0_sel:DWORD src1_sel:BYTE_3
	v_sub_u16_sdwa v175, v175, v176 dst_sel:DWORD dst_unused:UNUSED_PAD src0_sel:WORD_1 src1_sel:WORD_1
	v_or_b32_sdwa v177, v177, v178 dst_sel:DWORD dst_unused:UNUSED_PAD src0_sel:BYTE_0 src1_sel:DWORD
	v_or_b32_sdwa v174, v175, v174 dst_sel:WORD_1 dst_unused:UNUSED_PAD src0_sel:BYTE_0 src1_sel:DWORD
	v_add_u32_e32 v175, 0x1088, v214
	v_or_b32_sdwa v174, v177, v174 dst_sel:DWORD dst_unused:UNUSED_PAD src0_sel:WORD_0 src1_sel:DWORD
	ds_read2_b32 v[175:176], v175 offset1:1
	ds_read2_b32 v[177:178], v182 offset0:2 offset1:3
	s_waitcnt lgkmcnt(1)
	v_ashrrev_i32_e32 v175, s20, v175
	s_waitcnt lgkmcnt(0)
	v_ashrrev_i32_e32 v177, s17, v177
	v_lshlrev_b32_e32 v177, 2, v177
	v_and_b32_e32 v179, 0x3030303, v175
	v_bfe_u32 v175, v175, 24, 2
	v_and_b32_e32 v177, 0x4040404, v177
	v_ashrrev_i32_e32 v178, s17, v178
	v_sub_u16_e32 v180, v179, v177
	v_sub_u16_sdwa v181, v179, v177 dst_sel:BYTE_1 dst_unused:UNUSED_PAD src0_sel:BYTE_1 src1_sel:BYTE_1
	v_sub_u16_sdwa v175, v175, v177 dst_sel:BYTE_1 dst_unused:UNUSED_PAD src0_sel:DWORD src1_sel:BYTE_3
	v_sub_u16_sdwa v177, v179, v177 dst_sel:DWORD dst_unused:UNUSED_PAD src0_sel:WORD_1 src1_sel:WORD_1
	v_ashrrev_i32_e32 v176, s20, v176
	v_lshlrev_b32_e32 v178, 2, v178
	v_or_b32_sdwa v180, v180, v181 dst_sel:DWORD dst_unused:UNUSED_PAD src0_sel:BYTE_0 src1_sel:DWORD
	v_or_b32_sdwa v175, v177, v175 dst_sel:WORD_1 dst_unused:UNUSED_PAD src0_sel:BYTE_0 src1_sel:DWORD
	v_and_b32_e32 v177, 0x3030303, v176
	v_bfe_u32 v176, v176, 24, 2
	v_and_b32_e32 v178, 0x4040404, v178
	v_or_b32_sdwa v175, v180, v175 dst_sel:DWORD dst_unused:UNUSED_PAD src0_sel:WORD_0 src1_sel:DWORD
	v_sub_u16_e32 v179, v177, v178
	v_sub_u16_sdwa v180, v177, v178 dst_sel:BYTE_1 dst_unused:UNUSED_PAD src0_sel:BYTE_1 src1_sel:BYTE_1
	v_sub_u16_sdwa v176, v176, v178 dst_sel:BYTE_1 dst_unused:UNUSED_PAD src0_sel:DWORD src1_sel:BYTE_3
	v_sub_u16_sdwa v177, v177, v178 dst_sel:DWORD dst_unused:UNUSED_PAD src0_sel:WORD_1 src1_sel:WORD_1
	v_or_b32_sdwa v179, v179, v180 dst_sel:DWORD dst_unused:UNUSED_PAD src0_sel:BYTE_0 src1_sel:DWORD
	v_or_b32_sdwa v176, v177, v176 dst_sel:WORD_1 dst_unused:UNUSED_PAD src0_sel:BYTE_0 src1_sel:DWORD
	v_add_u32_e32 v177, 0x1090, v214
	v_or_b32_sdwa v176, v179, v176 dst_sel:DWORD dst_unused:UNUSED_PAD src0_sel:WORD_0 src1_sel:DWORD
	ds_read2_b32 v[178:179], v177 offset1:1
	ds_read2_b32 v[180:181], v182 offset0:4 offset1:5
	s_waitcnt lgkmcnt(1)
	v_ashrrev_i32_e32 v177, s20, v178
	s_waitcnt lgkmcnt(0)
	v_ashrrev_i32_e32 v180, s17, v180
	v_lshlrev_b32_e32 v180, 2, v180
	v_and_b32_e32 v178, 0x3030303, v177
	v_bfe_u32 v177, v177, 24, 2
	v_and_b32_e32 v180, 0x4040404, v180
	v_sub_u16_e32 v183, v178, v180
	v_sub_u16_sdwa v184, v178, v180 dst_sel:BYTE_1 dst_unused:UNUSED_PAD src0_sel:BYTE_1 src1_sel:BYTE_1
	v_sub_u16_sdwa v177, v177, v180 dst_sel:BYTE_1 dst_unused:UNUSED_PAD src0_sel:DWORD src1_sel:BYTE_3
	v_sub_u16_sdwa v178, v178, v180 dst_sel:DWORD dst_unused:UNUSED_PAD src0_sel:WORD_1 src1_sel:WORD_1
	v_or_b32_sdwa v183, v183, v184 dst_sel:DWORD dst_unused:UNUSED_PAD src0_sel:BYTE_0 src1_sel:DWORD
	v_or_b32_sdwa v177, v178, v177 dst_sel:WORD_1 dst_unused:UNUSED_PAD src0_sel:BYTE_0 src1_sel:DWORD
	v_ashrrev_i32_e32 v180, s17, v181
	v_or_b32_sdwa v178, v183, v177 dst_sel:DWORD dst_unused:UNUSED_PAD src0_sel:WORD_0 src1_sel:DWORD
	v_ashrrev_i32_e32 v177, s20, v179
	v_lshlrev_b32_e32 v180, 2, v180
	v_and_b32_e32 v179, 0x3030303, v177
	v_bfe_u32 v177, v177, 24, 2
	v_and_b32_e32 v180, 0x4040404, v180
	v_sub_u16_e32 v181, v179, v180
	v_sub_u16_sdwa v183, v179, v180 dst_sel:BYTE_1 dst_unused:UNUSED_PAD src0_sel:BYTE_1 src1_sel:BYTE_1
	v_sub_u16_sdwa v177, v177, v180 dst_sel:BYTE_1 dst_unused:UNUSED_PAD src0_sel:DWORD src1_sel:BYTE_3
	v_sub_u16_sdwa v179, v179, v180 dst_sel:DWORD dst_unused:UNUSED_PAD src0_sel:WORD_1 src1_sel:WORD_1
	v_or_b32_sdwa v181, v181, v183 dst_sel:DWORD dst_unused:UNUSED_PAD src0_sel:BYTE_0 src1_sel:DWORD
	v_or_b32_sdwa v177, v179, v177 dst_sel:WORD_1 dst_unused:UNUSED_PAD src0_sel:BYTE_0 src1_sel:DWORD
	v_or_b32_sdwa v179, v181, v177 dst_sel:DWORD dst_unused:UNUSED_PAD src0_sel:WORD_0 src1_sel:DWORD
	v_add_u32_e32 v177, 0x1098, v214
	ds_read2_b32 v[180:181], v177 offset1:1
	ds_read2_b32 v[182:183], v182 offset0:6 offset1:7
	s_waitcnt lgkmcnt(1)
	v_ashrrev_i32_e32 v177, s20, v180
	s_waitcnt lgkmcnt(0)
	v_ashrrev_i32_e32 v182, s17, v182
	v_lshlrev_b32_e32 v182, 2, v182
	v_and_b32_e32 v180, 0x3030303, v177
	v_bfe_u32 v177, v177, 24, 2
	v_and_b32_e32 v182, 0x4040404, v182
	v_sub_u16_e32 v184, v180, v182
	v_sub_u16_sdwa v185, v180, v182 dst_sel:BYTE_1 dst_unused:UNUSED_PAD src0_sel:BYTE_1 src1_sel:BYTE_1
	v_sub_u16_sdwa v177, v177, v182 dst_sel:BYTE_1 dst_unused:UNUSED_PAD src0_sel:DWORD src1_sel:BYTE_3
	v_sub_u16_sdwa v180, v180, v182 dst_sel:DWORD dst_unused:UNUSED_PAD src0_sel:WORD_1 src1_sel:WORD_1
	v_or_b32_sdwa v184, v184, v185 dst_sel:DWORD dst_unused:UNUSED_PAD src0_sel:BYTE_0 src1_sel:DWORD
	v_or_b32_sdwa v177, v180, v177 dst_sel:WORD_1 dst_unused:UNUSED_PAD src0_sel:BYTE_0 src1_sel:DWORD
	v_or_b32_sdwa v182, v184, v177 dst_sel:DWORD dst_unused:UNUSED_PAD src0_sel:WORD_0 src1_sel:DWORD
	v_ashrrev_i32_e32 v177, s20, v181
	v_ashrrev_i32_e32 v181, s17, v183
	v_lshlrev_b32_e32 v181, 2, v181
	v_and_b32_e32 v180, 0x3030303, v177
	v_bfe_u32 v177, v177, 24, 2
	v_and_b32_e32 v181, 0x4040404, v181
	v_sub_u16_e32 v183, v180, v181
	v_sub_u16_sdwa v184, v180, v181 dst_sel:BYTE_1 dst_unused:UNUSED_PAD src0_sel:BYTE_1 src1_sel:BYTE_1
	v_sub_u16_sdwa v177, v177, v181 dst_sel:BYTE_1 dst_unused:UNUSED_PAD src0_sel:DWORD src1_sel:BYTE_3
	v_sub_u16_sdwa v180, v180, v181 dst_sel:DWORD dst_unused:UNUSED_PAD src0_sel:WORD_1 src1_sel:WORD_1
	v_or_b32_sdwa v177, v180, v177 dst_sel:WORD_1 dst_unused:UNUSED_PAD src0_sel:BYTE_0 src1_sel:DWORD
	v_dot4_i32_i8 v180, v173, v6, 0
	v_dot4_i32_i8 v180, v174, v7, v180
	;; [unrolled: 1-line block ×5, first 2 shown]
	v_or_b32_sdwa v183, v183, v184 dst_sel:DWORD dst_unused:UNUSED_PAD src0_sel:BYTE_0 src1_sel:DWORD
	v_dot4_i32_i8 v180, v179, v3, v180
	v_or_b32_sdwa v183, v183, v177 dst_sel:DWORD dst_unused:UNUSED_PAD src0_sel:WORD_0 src1_sel:DWORD
	v_dot4_i32_i8 v180, v182, v4, v180
	v_add3_u32 v177, s22, v162, v122
	v_dot4_i32_i8 v211, v183, v5, v180
	v_add_u32_e32 v180, 0x2100, v214
	ds_read_b32 v177, v177
	ds_read2_b32 v[180:181], v180 offset1:1
	ds_read2_b32 v[184:185], v191 offset1:1
	s_waitcnt lgkmcnt(1)
	v_ashrrev_i32_e32 v180, s20, v180
	s_waitcnt lgkmcnt(0)
	v_ashrrev_i32_e32 v184, s17, v184
	v_lshlrev_b32_e32 v184, 2, v184
	v_and_b32_e32 v186, 0x3030303, v180
	v_bfe_u32 v180, v180, 24, 2
	v_and_b32_e32 v184, 0x4040404, v184
	v_ashrrev_i32_e32 v185, s17, v185
	v_sub_u16_e32 v187, v186, v184
	v_sub_u16_sdwa v188, v186, v184 dst_sel:BYTE_1 dst_unused:UNUSED_PAD src0_sel:BYTE_1 src1_sel:BYTE_1
	v_sub_u16_sdwa v180, v180, v184 dst_sel:BYTE_1 dst_unused:UNUSED_PAD src0_sel:DWORD src1_sel:BYTE_3
	v_sub_u16_sdwa v184, v186, v184 dst_sel:DWORD dst_unused:UNUSED_PAD src0_sel:WORD_1 src1_sel:WORD_1
	v_ashrrev_i32_e32 v181, s20, v181
	v_lshlrev_b32_e32 v185, 2, v185
	v_or_b32_sdwa v187, v187, v188 dst_sel:DWORD dst_unused:UNUSED_PAD src0_sel:BYTE_0 src1_sel:DWORD
	v_or_b32_sdwa v180, v184, v180 dst_sel:WORD_1 dst_unused:UNUSED_PAD src0_sel:BYTE_0 src1_sel:DWORD
	v_and_b32_e32 v184, 0x3030303, v181
	v_bfe_u32 v181, v181, 24, 2
	v_and_b32_e32 v185, 0x4040404, v185
	v_or_b32_sdwa v180, v187, v180 dst_sel:DWORD dst_unused:UNUSED_PAD src0_sel:WORD_0 src1_sel:DWORD
	v_sub_u16_e32 v186, v184, v185
	v_sub_u16_sdwa v187, v184, v185 dst_sel:BYTE_1 dst_unused:UNUSED_PAD src0_sel:BYTE_1 src1_sel:BYTE_1
	v_sub_u16_sdwa v181, v181, v185 dst_sel:BYTE_1 dst_unused:UNUSED_PAD src0_sel:DWORD src1_sel:BYTE_3
	v_sub_u16_sdwa v184, v184, v185 dst_sel:DWORD dst_unused:UNUSED_PAD src0_sel:WORD_1 src1_sel:WORD_1
	v_or_b32_sdwa v186, v186, v187 dst_sel:DWORD dst_unused:UNUSED_PAD src0_sel:BYTE_0 src1_sel:DWORD
	v_or_b32_sdwa v181, v184, v181 dst_sel:WORD_1 dst_unused:UNUSED_PAD src0_sel:BYTE_0 src1_sel:DWORD
	v_add_u32_e32 v184, 0x2108, v214
	v_or_b32_sdwa v181, v186, v181 dst_sel:DWORD dst_unused:UNUSED_PAD src0_sel:WORD_0 src1_sel:DWORD
	ds_read2_b32 v[184:185], v184 offset1:1
	ds_read2_b32 v[186:187], v191 offset0:2 offset1:3
	s_waitcnt lgkmcnt(1)
	v_ashrrev_i32_e32 v184, s20, v184
	s_waitcnt lgkmcnt(0)
	v_ashrrev_i32_e32 v186, s17, v186
	v_lshlrev_b32_e32 v186, 2, v186
	v_and_b32_e32 v188, 0x3030303, v184
	v_bfe_u32 v184, v184, 24, 2
	v_and_b32_e32 v186, 0x4040404, v186
	v_ashrrev_i32_e32 v187, s17, v187
	v_sub_u16_e32 v189, v188, v186
	v_sub_u16_sdwa v190, v188, v186 dst_sel:BYTE_1 dst_unused:UNUSED_PAD src0_sel:BYTE_1 src1_sel:BYTE_1
	v_sub_u16_sdwa v184, v184, v186 dst_sel:BYTE_1 dst_unused:UNUSED_PAD src0_sel:DWORD src1_sel:BYTE_3
	v_sub_u16_sdwa v186, v188, v186 dst_sel:DWORD dst_unused:UNUSED_PAD src0_sel:WORD_1 src1_sel:WORD_1
	v_ashrrev_i32_e32 v185, s20, v185
	v_lshlrev_b32_e32 v187, 2, v187
	v_or_b32_sdwa v189, v189, v190 dst_sel:DWORD dst_unused:UNUSED_PAD src0_sel:BYTE_0 src1_sel:DWORD
	v_or_b32_sdwa v184, v186, v184 dst_sel:WORD_1 dst_unused:UNUSED_PAD src0_sel:BYTE_0 src1_sel:DWORD
	v_and_b32_e32 v186, 0x3030303, v185
	v_bfe_u32 v185, v185, 24, 2
	v_and_b32_e32 v187, 0x4040404, v187
	v_or_b32_sdwa v184, v189, v184 dst_sel:DWORD dst_unused:UNUSED_PAD src0_sel:WORD_0 src1_sel:DWORD
	v_sub_u16_e32 v188, v186, v187
	v_sub_u16_sdwa v189, v186, v187 dst_sel:BYTE_1 dst_unused:UNUSED_PAD src0_sel:BYTE_1 src1_sel:BYTE_1
	v_sub_u16_sdwa v185, v185, v187 dst_sel:BYTE_1 dst_unused:UNUSED_PAD src0_sel:DWORD src1_sel:BYTE_3
	v_sub_u16_sdwa v186, v186, v187 dst_sel:DWORD dst_unused:UNUSED_PAD src0_sel:WORD_1 src1_sel:WORD_1
	v_or_b32_sdwa v188, v188, v189 dst_sel:DWORD dst_unused:UNUSED_PAD src0_sel:BYTE_0 src1_sel:DWORD
	v_or_b32_sdwa v185, v186, v185 dst_sel:WORD_1 dst_unused:UNUSED_PAD src0_sel:BYTE_0 src1_sel:DWORD
	v_add_u32_e32 v186, 0x2110, v214
	v_or_b32_sdwa v185, v188, v185 dst_sel:DWORD dst_unused:UNUSED_PAD src0_sel:WORD_0 src1_sel:DWORD
	ds_read2_b32 v[187:188], v186 offset1:1
	ds_read2_b32 v[189:190], v191 offset0:4 offset1:5
	s_waitcnt lgkmcnt(1)
	v_ashrrev_i32_e32 v186, s20, v187
	s_waitcnt lgkmcnt(0)
	v_ashrrev_i32_e32 v189, s17, v189
	v_lshlrev_b32_e32 v189, 2, v189
	v_and_b32_e32 v187, 0x3030303, v186
	v_bfe_u32 v186, v186, 24, 2
	v_and_b32_e32 v189, 0x4040404, v189
	v_sub_u16_e32 v192, v187, v189
	v_sub_u16_sdwa v193, v187, v189 dst_sel:BYTE_1 dst_unused:UNUSED_PAD src0_sel:BYTE_1 src1_sel:BYTE_1
	v_sub_u16_sdwa v186, v186, v189 dst_sel:BYTE_1 dst_unused:UNUSED_PAD src0_sel:DWORD src1_sel:BYTE_3
	v_sub_u16_sdwa v187, v187, v189 dst_sel:DWORD dst_unused:UNUSED_PAD src0_sel:WORD_1 src1_sel:WORD_1
	v_or_b32_sdwa v192, v192, v193 dst_sel:DWORD dst_unused:UNUSED_PAD src0_sel:BYTE_0 src1_sel:DWORD
	v_or_b32_sdwa v186, v187, v186 dst_sel:WORD_1 dst_unused:UNUSED_PAD src0_sel:BYTE_0 src1_sel:DWORD
	v_ashrrev_i32_e32 v189, s17, v190
	v_or_b32_sdwa v187, v192, v186 dst_sel:DWORD dst_unused:UNUSED_PAD src0_sel:WORD_0 src1_sel:DWORD
	v_ashrrev_i32_e32 v186, s20, v188
	v_lshlrev_b32_e32 v189, 2, v189
	v_and_b32_e32 v188, 0x3030303, v186
	v_bfe_u32 v186, v186, 24, 2
	v_and_b32_e32 v189, 0x4040404, v189
	v_sub_u16_e32 v190, v188, v189
	v_sub_u16_sdwa v192, v188, v189 dst_sel:BYTE_1 dst_unused:UNUSED_PAD src0_sel:BYTE_1 src1_sel:BYTE_1
	v_sub_u16_sdwa v186, v186, v189 dst_sel:BYTE_1 dst_unused:UNUSED_PAD src0_sel:DWORD src1_sel:BYTE_3
	v_sub_u16_sdwa v188, v188, v189 dst_sel:DWORD dst_unused:UNUSED_PAD src0_sel:WORD_1 src1_sel:WORD_1
	v_or_b32_sdwa v190, v190, v192 dst_sel:DWORD dst_unused:UNUSED_PAD src0_sel:BYTE_0 src1_sel:DWORD
	v_or_b32_sdwa v186, v188, v186 dst_sel:WORD_1 dst_unused:UNUSED_PAD src0_sel:BYTE_0 src1_sel:DWORD
	v_or_b32_sdwa v188, v190, v186 dst_sel:DWORD dst_unused:UNUSED_PAD src0_sel:WORD_0 src1_sel:DWORD
	v_add_u32_e32 v186, 0x2118, v214
	ds_read2_b32 v[189:190], v186 offset1:1
	ds_read2_b32 v[191:192], v191 offset0:6 offset1:7
	s_waitcnt lgkmcnt(1)
	v_ashrrev_i32_e32 v186, s20, v189
	s_waitcnt lgkmcnt(0)
	v_ashrrev_i32_e32 v191, s17, v191
	v_lshlrev_b32_e32 v191, 2, v191
	v_and_b32_e32 v189, 0x3030303, v186
	v_bfe_u32 v186, v186, 24, 2
	v_and_b32_e32 v191, 0x4040404, v191
	v_sub_u16_e32 v193, v189, v191
	v_sub_u16_sdwa v194, v189, v191 dst_sel:BYTE_1 dst_unused:UNUSED_PAD src0_sel:BYTE_1 src1_sel:BYTE_1
	v_sub_u16_sdwa v186, v186, v191 dst_sel:BYTE_1 dst_unused:UNUSED_PAD src0_sel:DWORD src1_sel:BYTE_3
	v_sub_u16_sdwa v189, v189, v191 dst_sel:DWORD dst_unused:UNUSED_PAD src0_sel:WORD_1 src1_sel:WORD_1
	v_or_b32_sdwa v193, v193, v194 dst_sel:DWORD dst_unused:UNUSED_PAD src0_sel:BYTE_0 src1_sel:DWORD
	v_or_b32_sdwa v186, v189, v186 dst_sel:WORD_1 dst_unused:UNUSED_PAD src0_sel:BYTE_0 src1_sel:DWORD
	v_or_b32_sdwa v191, v193, v186 dst_sel:DWORD dst_unused:UNUSED_PAD src0_sel:WORD_0 src1_sel:DWORD
	v_ashrrev_i32_e32 v186, s20, v190
	v_ashrrev_i32_e32 v190, s17, v192
	v_lshlrev_b32_e32 v190, 2, v190
	v_and_b32_e32 v189, 0x3030303, v186
	v_bfe_u32 v186, v186, 24, 2
	v_and_b32_e32 v190, 0x4040404, v190
	v_sub_u16_e32 v192, v189, v190
	v_sub_u16_sdwa v193, v189, v190 dst_sel:BYTE_1 dst_unused:UNUSED_PAD src0_sel:BYTE_1 src1_sel:BYTE_1
	v_sub_u16_sdwa v186, v186, v190 dst_sel:BYTE_1 dst_unused:UNUSED_PAD src0_sel:DWORD src1_sel:BYTE_3
	v_sub_u16_sdwa v189, v189, v190 dst_sel:DWORD dst_unused:UNUSED_PAD src0_sel:WORD_1 src1_sel:WORD_1
	v_or_b32_sdwa v186, v189, v186 dst_sel:WORD_1 dst_unused:UNUSED_PAD src0_sel:BYTE_0 src1_sel:DWORD
	v_dot4_i32_i8 v189, v180, v6, 0
	v_dot4_i32_i8 v189, v181, v7, v189
	;; [unrolled: 1-line block ×5, first 2 shown]
	v_or_b32_sdwa v192, v192, v193 dst_sel:DWORD dst_unused:UNUSED_PAD src0_sel:BYTE_0 src1_sel:DWORD
	v_dot4_i32_i8 v189, v188, v3, v189
	v_or_b32_sdwa v192, v192, v186 dst_sel:DWORD dst_unused:UNUSED_PAD src0_sel:WORD_0 src1_sel:DWORD
	v_dot4_i32_i8 v189, v191, v4, v189
	v_add3_u32 v186, s22, v164, v124
	v_dot4_i32_i8 v213, v192, v5, v189
	v_add_u32_e32 v189, 0x3180, v214
	ds_read_b32 v186, v186
	ds_read2_b32 v[189:190], v189 offset1:1
	ds_read2_b32 v[193:194], v215 offset1:1
	s_waitcnt lgkmcnt(1)
	v_ashrrev_i32_e32 v189, s20, v189
	s_waitcnt lgkmcnt(0)
	v_ashrrev_i32_e32 v193, s17, v193
	v_lshlrev_b32_e32 v193, 2, v193
	v_and_b32_e32 v195, 0x3030303, v189
	v_bfe_u32 v189, v189, 24, 2
	v_and_b32_e32 v193, 0x4040404, v193
	v_ashrrev_i32_e32 v194, s17, v194
	v_sub_u16_e32 v196, v195, v193
	v_sub_u16_sdwa v197, v195, v193 dst_sel:BYTE_1 dst_unused:UNUSED_PAD src0_sel:BYTE_1 src1_sel:BYTE_1
	v_sub_u16_sdwa v189, v189, v193 dst_sel:BYTE_1 dst_unused:UNUSED_PAD src0_sel:DWORD src1_sel:BYTE_3
	v_sub_u16_sdwa v193, v195, v193 dst_sel:DWORD dst_unused:UNUSED_PAD src0_sel:WORD_1 src1_sel:WORD_1
	v_ashrrev_i32_e32 v190, s20, v190
	v_lshlrev_b32_e32 v194, 2, v194
	v_or_b32_sdwa v196, v196, v197 dst_sel:DWORD dst_unused:UNUSED_PAD src0_sel:BYTE_0 src1_sel:DWORD
	v_or_b32_sdwa v189, v193, v189 dst_sel:WORD_1 dst_unused:UNUSED_PAD src0_sel:BYTE_0 src1_sel:DWORD
	v_and_b32_e32 v193, 0x3030303, v190
	v_bfe_u32 v190, v190, 24, 2
	v_and_b32_e32 v194, 0x4040404, v194
	v_or_b32_sdwa v189, v196, v189 dst_sel:DWORD dst_unused:UNUSED_PAD src0_sel:WORD_0 src1_sel:DWORD
	v_sub_u16_e32 v195, v193, v194
	v_sub_u16_sdwa v196, v193, v194 dst_sel:BYTE_1 dst_unused:UNUSED_PAD src0_sel:BYTE_1 src1_sel:BYTE_1
	v_sub_u16_sdwa v190, v190, v194 dst_sel:BYTE_1 dst_unused:UNUSED_PAD src0_sel:DWORD src1_sel:BYTE_3
	v_sub_u16_sdwa v193, v193, v194 dst_sel:DWORD dst_unused:UNUSED_PAD src0_sel:WORD_1 src1_sel:WORD_1
	v_or_b32_sdwa v195, v195, v196 dst_sel:DWORD dst_unused:UNUSED_PAD src0_sel:BYTE_0 src1_sel:DWORD
	v_or_b32_sdwa v190, v193, v190 dst_sel:WORD_1 dst_unused:UNUSED_PAD src0_sel:BYTE_0 src1_sel:DWORD
	v_add_u32_e32 v193, 0x3188, v214
	v_or_b32_sdwa v190, v195, v190 dst_sel:DWORD dst_unused:UNUSED_PAD src0_sel:WORD_0 src1_sel:DWORD
	ds_read2_b32 v[193:194], v193 offset1:1
	ds_read2_b32 v[195:196], v215 offset0:2 offset1:3
	v_dot4_i32_i8 v6, v189, v6, 0
	v_dot4_i32_i8 v6, v190, v7, v6
	s_waitcnt lgkmcnt(1)
	v_ashrrev_i32_e32 v193, s20, v193
	s_waitcnt lgkmcnt(0)
	v_ashrrev_i32_e32 v195, s17, v195
	v_lshlrev_b32_e32 v195, 2, v195
	v_and_b32_e32 v197, 0x3030303, v193
	v_bfe_u32 v193, v193, 24, 2
	v_and_b32_e32 v195, 0x4040404, v195
	v_ashrrev_i32_e32 v196, s17, v196
	v_sub_u16_e32 v198, v197, v195
	v_sub_u16_sdwa v199, v197, v195 dst_sel:BYTE_1 dst_unused:UNUSED_PAD src0_sel:BYTE_1 src1_sel:BYTE_1
	v_sub_u16_sdwa v193, v193, v195 dst_sel:BYTE_1 dst_unused:UNUSED_PAD src0_sel:DWORD src1_sel:BYTE_3
	v_sub_u16_sdwa v195, v197, v195 dst_sel:DWORD dst_unused:UNUSED_PAD src0_sel:WORD_1 src1_sel:WORD_1
	v_ashrrev_i32_e32 v194, s20, v194
	v_lshlrev_b32_e32 v196, 2, v196
	v_or_b32_sdwa v198, v198, v199 dst_sel:DWORD dst_unused:UNUSED_PAD src0_sel:BYTE_0 src1_sel:DWORD
	v_or_b32_sdwa v193, v195, v193 dst_sel:WORD_1 dst_unused:UNUSED_PAD src0_sel:BYTE_0 src1_sel:DWORD
	v_and_b32_e32 v195, 0x3030303, v194
	v_bfe_u32 v194, v194, 24, 2
	v_and_b32_e32 v196, 0x4040404, v196
	v_or_b32_sdwa v193, v198, v193 dst_sel:DWORD dst_unused:UNUSED_PAD src0_sel:WORD_0 src1_sel:DWORD
	v_sub_u16_e32 v197, v195, v196
	v_sub_u16_sdwa v198, v195, v196 dst_sel:BYTE_1 dst_unused:UNUSED_PAD src0_sel:BYTE_1 src1_sel:BYTE_1
	v_sub_u16_sdwa v194, v194, v196 dst_sel:BYTE_1 dst_unused:UNUSED_PAD src0_sel:DWORD src1_sel:BYTE_3
	v_sub_u16_sdwa v195, v195, v196 dst_sel:DWORD dst_unused:UNUSED_PAD src0_sel:WORD_1 src1_sel:WORD_1
	v_or_b32_sdwa v197, v197, v198 dst_sel:DWORD dst_unused:UNUSED_PAD src0_sel:BYTE_0 src1_sel:DWORD
	v_or_b32_sdwa v194, v195, v194 dst_sel:WORD_1 dst_unused:UNUSED_PAD src0_sel:BYTE_0 src1_sel:DWORD
	v_add_u32_e32 v195, 0x3190, v214
	v_or_b32_sdwa v194, v197, v194 dst_sel:DWORD dst_unused:UNUSED_PAD src0_sel:WORD_0 src1_sel:DWORD
	ds_read2_b32 v[196:197], v195 offset1:1
	ds_read2_b32 v[198:199], v215 offset0:4 offset1:5
	v_dot4_i32_i8 v6, v193, v8, v6
	v_dot4_i32_i8 v6, v194, v9, v6
	s_waitcnt lgkmcnt(1)
	v_ashrrev_i32_e32 v195, s20, v196
	s_waitcnt lgkmcnt(0)
	v_ashrrev_i32_e32 v198, s17, v198
	v_lshlrev_b32_e32 v198, 2, v198
	v_and_b32_e32 v196, 0x3030303, v195
	v_bfe_u32 v195, v195, 24, 2
	v_and_b32_e32 v198, 0x4040404, v198
	v_sub_u16_e32 v216, v196, v198
	v_sub_u16_sdwa v217, v196, v198 dst_sel:BYTE_1 dst_unused:UNUSED_PAD src0_sel:BYTE_1 src1_sel:BYTE_1
	v_sub_u16_sdwa v195, v195, v198 dst_sel:BYTE_1 dst_unused:UNUSED_PAD src0_sel:DWORD src1_sel:BYTE_3
	v_sub_u16_sdwa v196, v196, v198 dst_sel:DWORD dst_unused:UNUSED_PAD src0_sel:WORD_1 src1_sel:WORD_1
	v_or_b32_sdwa v216, v216, v217 dst_sel:DWORD dst_unused:UNUSED_PAD src0_sel:BYTE_0 src1_sel:DWORD
	v_or_b32_sdwa v195, v196, v195 dst_sel:WORD_1 dst_unused:UNUSED_PAD src0_sel:BYTE_0 src1_sel:DWORD
	v_ashrrev_i32_e32 v198, s17, v199
	v_or_b32_sdwa v196, v216, v195 dst_sel:DWORD dst_unused:UNUSED_PAD src0_sel:WORD_0 src1_sel:DWORD
	v_ashrrev_i32_e32 v195, s20, v197
	v_lshlrev_b32_e32 v198, 2, v198
	v_and_b32_e32 v197, 0x3030303, v195
	v_bfe_u32 v195, v195, 24, 2
	v_and_b32_e32 v198, 0x4040404, v198
	v_sub_u16_e32 v199, v197, v198
	v_sub_u16_sdwa v216, v197, v198 dst_sel:BYTE_1 dst_unused:UNUSED_PAD src0_sel:BYTE_1 src1_sel:BYTE_1
	v_sub_u16_sdwa v195, v195, v198 dst_sel:BYTE_1 dst_unused:UNUSED_PAD src0_sel:DWORD src1_sel:BYTE_3
	v_sub_u16_sdwa v197, v197, v198 dst_sel:DWORD dst_unused:UNUSED_PAD src0_sel:WORD_1 src1_sel:WORD_1
	v_or_b32_sdwa v199, v199, v216 dst_sel:DWORD dst_unused:UNUSED_PAD src0_sel:BYTE_0 src1_sel:DWORD
	v_or_b32_sdwa v195, v197, v195 dst_sel:WORD_1 dst_unused:UNUSED_PAD src0_sel:BYTE_0 src1_sel:DWORD
	v_or_b32_sdwa v197, v199, v195 dst_sel:DWORD dst_unused:UNUSED_PAD src0_sel:WORD_0 src1_sel:DWORD
	v_add_u32_e32 v195, 0x3198, v214
	ds_read2_b32 v[198:199], v195 offset1:1
	ds_read2_b32 v[214:215], v215 offset0:6 offset1:7
	v_dot4_i32_i8 v2, v196, v2, 0
	v_dot4_i32_i8 v2, v197, v3, v2
	s_waitcnt lgkmcnt(1)
	v_ashrrev_i32_e32 v195, s20, v198
	s_waitcnt lgkmcnt(0)
	v_ashrrev_i32_e32 v214, s17, v214
	v_lshlrev_b32_e32 v214, 2, v214
	v_and_b32_e32 v198, 0x3030303, v195
	v_bfe_u32 v195, v195, 24, 2
	v_and_b32_e32 v214, 0x4040404, v214
	v_sub_u16_e32 v216, v198, v214
	v_sub_u16_sdwa v217, v198, v214 dst_sel:BYTE_1 dst_unused:UNUSED_PAD src0_sel:BYTE_1 src1_sel:BYTE_1
	v_sub_u16_sdwa v195, v195, v214 dst_sel:BYTE_1 dst_unused:UNUSED_PAD src0_sel:DWORD src1_sel:BYTE_3
	v_sub_u16_sdwa v198, v198, v214 dst_sel:DWORD dst_unused:UNUSED_PAD src0_sel:WORD_1 src1_sel:WORD_1
	v_or_b32_sdwa v216, v216, v217 dst_sel:DWORD dst_unused:UNUSED_PAD src0_sel:BYTE_0 src1_sel:DWORD
	v_or_b32_sdwa v195, v198, v195 dst_sel:WORD_1 dst_unused:UNUSED_PAD src0_sel:BYTE_0 src1_sel:DWORD
	v_ashrrev_i32_e32 v214, s17, v215
	v_or_b32_sdwa v198, v216, v195 dst_sel:DWORD dst_unused:UNUSED_PAD src0_sel:WORD_0 src1_sel:DWORD
	v_ashrrev_i32_e32 v195, s20, v199
	v_lshlrev_b32_e32 v214, 2, v214
	v_and_b32_e32 v199, 0x3030303, v195
	v_bfe_u32 v195, v195, 24, 2
	v_and_b32_e32 v214, 0x4040404, v214
	v_sub_u16_e32 v215, v199, v214
	v_sub_u16_sdwa v216, v199, v214 dst_sel:BYTE_1 dst_unused:UNUSED_PAD src0_sel:BYTE_1 src1_sel:BYTE_1
	v_sub_u16_sdwa v195, v195, v214 dst_sel:BYTE_1 dst_unused:UNUSED_PAD src0_sel:DWORD src1_sel:BYTE_3
	v_sub_u16_sdwa v199, v199, v214 dst_sel:DWORD dst_unused:UNUSED_PAD src0_sel:WORD_1 src1_sel:WORD_1
	v_or_b32_sdwa v215, v215, v216 dst_sel:DWORD dst_unused:UNUSED_PAD src0_sel:BYTE_0 src1_sel:DWORD
	v_or_b32_sdwa v195, v199, v195 dst_sel:WORD_1 dst_unused:UNUSED_PAD src0_sel:BYTE_0 src1_sel:DWORD
	v_or_b32_sdwa v199, v215, v195 dst_sel:DWORD dst_unused:UNUSED_PAD src0_sel:WORD_0 src1_sel:DWORD
	v_add3_u32 v195, s22, v166, v126
	ds_read_b32 v195, v195
	ds_read_b128 v[217:220], v170 offset:1024
	ds_read_b128 v[221:224], v170 offset:1040
	v_dot4_i32_i8 v2, v198, v4, v2
	v_dot4_i32_i8 v2, v199, v5, v2
	v_add_u32_e32 v214, s19, v136
	s_waitcnt lgkmcnt(1)
	v_dot4_i32_i8 v3, v63, v217, 0
	v_dot4_i32_i8 v3, v64, v218, v3
	;; [unrolled: 1-line block ×4, first 2 shown]
	s_waitcnt lgkmcnt(0)
	v_dot4_i32_i8 v3, v201, v221, 0
	v_dot4_i32_i8 v3, v202, v222, v3
	;; [unrolled: 1-line block ×4, first 2 shown]
	ds_read_u16 v3, v206 offset:33522
	s_add_i32 s17, s17, 1
	s_cmp_lt_u32 s18, 30
	s_mov_b32 s19, s18
	s_waitcnt lgkmcnt(0)
	v_bfe_i32 v215, v3, 0, 8
	v_mul_lo_u32 v4, v4, v215
	v_lshrrev_b16_e32 v7, 8, v3
	v_bfe_i32 v216, v7, 0, 8
	v_mul_lo_u32 v3, v207, v216
	v_mad_u64_u32 v[4:5], s[20:21], v5, v216, v[4:5]
	v_mul_f32_e32 v5, v172, v62
	v_mad_u64_u32 v[7:8], s[20:21], v205, v215, v[3:4]
	v_mul_f32_e32 v3, v172, v61
	v_cvt_f32_i32_e32 v4, v4
	v_cvt_f32_i32_e32 v7, v7
	v_fma_f32 v11, v5, v4, v11
	v_fmac_f32_e32 v10, v3, v7
	v_dot4_i32_i8 v3, v173, v217, 0
	v_dot4_i32_i8 v3, v174, v218, v3
	v_dot4_i32_i8 v3, v175, v219, v3
	v_dot4_i32_i8 v4, v176, v220, v3
	v_dot4_i32_i8 v3, v178, v221, 0
	v_dot4_i32_i8 v3, v179, v222, v3
	v_dot4_i32_i8 v3, v182, v223, v3
	v_dot4_i32_i8 v5, v183, v224, v3
	ds_read_u16 v3, v209 offset:34546
	s_waitcnt lgkmcnt(0)
	v_bfe_i32 v205, v3, 0, 8
	v_mul_lo_u32 v4, v4, v205
	v_lshrrev_b16_e32 v7, 8, v3
	v_bfe_i32 v206, v7, 0, 8
	v_mul_lo_u32 v3, v211, v206
	v_mad_u64_u32 v[4:5], s[20:21], v5, v206, v[4:5]
	v_mul_f32_e32 v5, v177, v62
	v_mad_u64_u32 v[7:8], s[20:21], v208, v205, v[3:4]
	v_mul_f32_e32 v3, v177, v61
	v_cvt_f32_i32_e32 v4, v4
	v_cvt_f32_i32_e32 v7, v7
	v_fma_f32 v56, v5, v4, v56
	v_fmac_f32_e32 v55, v3, v7
	v_dot4_i32_i8 v3, v180, v217, 0
	v_dot4_i32_i8 v3, v181, v218, v3
	;; [unrolled: 1-line block ×8, first 2 shown]
	ds_read_u16 v3, v212 offset:35570
	s_waitcnt lgkmcnt(0)
	v_bfe_i32 v207, v3, 0, 8
	v_mul_lo_u32 v4, v4, v207
	v_lshrrev_b16_e32 v7, 8, v3
	v_bfe_i32 v208, v7, 0, 8
	v_mul_lo_u32 v3, v213, v208
	v_mad_u64_u32 v[4:5], s[20:21], v5, v208, v[4:5]
	v_mul_f32_e32 v5, v186, v62
	v_mad_u64_u32 v[7:8], s[20:21], v210, v207, v[3:4]
	v_cvt_f32_i32_e32 v4, v4
	v_mul_f32_e32 v3, v186, v61
	v_cvt_f32_i32_e32 v7, v7
	v_fma_f32 v58, v5, v4, v58
	ds_read_u16 v5, v214 offset:36594
	v_fmac_f32_e32 v57, v3, v7
	v_dot4_i32_i8 v3, v189, v217, 0
	v_dot4_i32_i8 v3, v190, v218, v3
	;; [unrolled: 1-line block ×4, first 2 shown]
	s_waitcnt lgkmcnt(0)
	v_bfe_i32 v209, v5, 0, 8
	v_dot4_i32_i8 v4, v196, v221, 0
	v_mul_lo_u32 v3, v3, v209
	v_dot4_i32_i8 v4, v197, v222, v4
	v_dot4_i32_i8 v4, v198, v223, v4
	v_lshrrev_b16_e32 v7, 8, v5
	v_dot4_i32_i8 v4, v199, v224, v4
	v_bfe_i32 v210, v7, 0, 8
	v_mul_lo_u32 v2, v2, v210
	v_mad_u64_u32 v[3:4], s[20:21], v4, v210, v[3:4]
	v_mad_u64_u32 v[4:5], s[20:21], v6, v209, v[2:3]
	v_cvt_f32_i32_e32 v3, v3
	v_mul_f32_e32 v2, v195, v61
	v_cvt_f32_i32_e32 v4, v4
	v_mul_f32_e32 v5, v195, v62
	v_fma_f32 v60, v5, v3, v60
	v_fmac_f32_e32 v59, v2, v4
	ds_read2_b32 v[61:62], v171 offset0:64 offset1:96
	ds_read_b128 v[2:5], v170 offset:2048
	ds_read_b128 v[6:9], v170 offset:2064
	s_waitcnt lgkmcnt(1)
	v_dot4_i32_i8 v212, v173, v2, 0
	v_dot4_i32_i8 v212, v174, v3, v212
	;; [unrolled: 1-line block ×4, first 2 shown]
	s_waitcnt lgkmcnt(0)
	v_dot4_i32_i8 v212, v178, v6, 0
	v_dot4_i32_i8 v212, v179, v7, v212
	v_dot4_i32_i8 v212, v182, v8, v212
	v_dot4_i32_i8 v211, v63, v2, 0
	v_dot4_i32_i8 v218, v183, v9, v212
	v_dot4_i32_i8 v212, v180, v2, 0
	v_dot4_i32_i8 v2, v189, v2, 0
	v_dot4_i32_i8 v211, v64, v3, v211
	v_dot4_i32_i8 v212, v181, v3, v212
	v_dot4_i32_i8 v2, v190, v3, v2
	v_dot4_i32_i8 v211, v65, v4, v211
	v_dot4_i32_i8 v212, v184, v4, v212
	v_dot4_i32_i8 v2, v193, v4, v2
	v_dot4_i32_i8 v214, v200, v5, v211
	v_dot4_i32_i8 v211, v201, v6, 0
	v_dot4_i32_i8 v219, v185, v5, v212
	v_dot4_i32_i8 v212, v187, v6, 0
	v_dot4_i32_i8 v221, v194, v5, v2
	v_dot4_i32_i8 v2, v196, v6, 0
	v_dot4_i32_i8 v211, v202, v7, v211
	v_dot4_i32_i8 v212, v188, v7, v212
	v_dot4_i32_i8 v2, v197, v7, v2
	v_dot4_i32_i8 v211, v203, v8, v211
	v_dot4_i32_i8 v212, v191, v8, v212
	v_dot4_i32_i8 v2, v198, v8, v2
	v_dot4_i32_i8 v211, v204, v9, v211
	v_dot4_i32_i8 v220, v192, v9, v212
	v_dot4_i32_i8 v222, v199, v9, v2
	ds_read_b128 v[2:5], v170 offset:3072
	ds_read_b128 v[6:9], v170 offset:3088
	v_mul_lo_u32 v211, v211, v216
	s_waitcnt lgkmcnt(1)
	v_dot4_i32_i8 v212, v63, v2, 0
	v_dot4_i32_i8 v212, v64, v3, v212
	;; [unrolled: 1-line block ×4, first 2 shown]
	s_waitcnt lgkmcnt(0)
	v_dot4_i32_i8 v213, v201, v6, 0
	v_mul_lo_u32 v212, v212, v215
	v_dot4_i32_i8 v213, v202, v7, v213
	v_dot4_i32_i8 v213, v203, v8, v213
	;; [unrolled: 1-line block ×3, first 2 shown]
	v_mad_u64_u32 v[212:213], s[20:21], v213, v216, v[212:213]
	v_mad_u64_u32 v[213:214], s[20:21], v214, v215, v[211:212]
	v_mul_f32_e32 v211, v172, v61
	v_cvt_f32_i32_e32 v212, v212
	v_cvt_f32_i32_e32 v213, v213
	v_mul_f32_e32 v214, v172, v62
	v_fma_f32 v48, v214, v212, v48
	v_fmac_f32_e32 v47, v211, v213
	v_dot4_i32_i8 v211, v173, v2, 0
	v_dot4_i32_i8 v211, v174, v3, v211
	;; [unrolled: 1-line block ×5, first 2 shown]
	v_mul_lo_u32 v212, v212, v205
	v_dot4_i32_i8 v211, v179, v7, v211
	v_dot4_i32_i8 v211, v182, v8, v211
	;; [unrolled: 1-line block ×3, first 2 shown]
	v_mul_lo_u32 v211, v218, v206
	v_mad_u64_u32 v[212:213], s[20:21], v213, v206, v[212:213]
	v_mad_u64_u32 v[213:214], s[20:21], v217, v205, v[211:212]
	v_mul_f32_e32 v211, v177, v61
	v_cvt_f32_i32_e32 v212, v212
	v_cvt_f32_i32_e32 v213, v213
	v_mul_f32_e32 v214, v177, v62
	v_fma_f32 v50, v214, v212, v50
	v_fmac_f32_e32 v49, v211, v213
	v_dot4_i32_i8 v211, v180, v2, 0
	v_dot4_i32_i8 v2, v189, v2, 0
	;; [unrolled: 1-line block ×7, first 2 shown]
	v_mul_lo_u32 v3, v3, v209
	v_dot4_i32_i8 v2, v197, v7, v2
	v_dot4_i32_i8 v2, v198, v8, v2
	;; [unrolled: 1-line block ×4, first 2 shown]
	v_mul_lo_u32 v2, v222, v210
	v_mad_u64_u32 v[3:4], s[20:21], v4, v210, v[3:4]
	v_dot4_i32_i8 v212, v185, v5, v211
	v_dot4_i32_i8 v211, v187, v6, 0
	v_mul_lo_u32 v212, v212, v207
	v_dot4_i32_i8 v211, v188, v7, v211
	v_mad_u64_u32 v[4:5], s[20:21], v221, v209, v[2:3]
	v_dot4_i32_i8 v211, v191, v8, v211
	v_dot4_i32_i8 v213, v192, v9, v211
	v_mul_lo_u32 v211, v220, v208
	v_mad_u64_u32 v[212:213], s[20:21], v213, v208, v[212:213]
	v_cvt_f32_i32_e32 v4, v4
	v_cvt_f32_i32_e32 v3, v3
	v_mad_u64_u32 v[213:214], s[20:21], v219, v207, v[211:212]
	v_mul_f32_e32 v2, v195, v61
	v_mul_f32_e32 v5, v195, v62
	;; [unrolled: 1-line block ×4, first 2 shown]
	v_cvt_f32_i32_e32 v212, v212
	v_fma_f32 v54, v5, v3, v54
	v_fmac_f32_e32 v53, v2, v4
	ds_read2_b32 v[61:62], v171 offset0:128 offset1:160
	ds_read_b128 v[2:5], v170 offset:4096
	ds_read_b128 v[6:9], v170 offset:4112
	v_fma_f32 v52, v214, v212, v52
	v_cvt_f32_i32_e32 v213, v213
	s_waitcnt lgkmcnt(1)
	v_dot4_i32_i8 v212, v173, v2, 0
	v_dot4_i32_i8 v212, v174, v3, v212
	;; [unrolled: 1-line block ×4, first 2 shown]
	s_waitcnt lgkmcnt(0)
	v_dot4_i32_i8 v212, v178, v6, 0
	v_dot4_i32_i8 v212, v179, v7, v212
	;; [unrolled: 1-line block ×3, first 2 shown]
	v_fmac_f32_e32 v51, v211, v213
	v_dot4_i32_i8 v211, v63, v2, 0
	v_dot4_i32_i8 v218, v183, v9, v212
	;; [unrolled: 1-line block ×25, first 2 shown]
	ds_read_b128 v[2:5], v170 offset:5120
	ds_read_b128 v[6:9], v170 offset:5136
	v_mul_lo_u32 v211, v211, v216
	s_waitcnt lgkmcnt(1)
	v_dot4_i32_i8 v212, v63, v2, 0
	v_dot4_i32_i8 v212, v64, v3, v212
	;; [unrolled: 1-line block ×4, first 2 shown]
	s_waitcnt lgkmcnt(0)
	v_dot4_i32_i8 v213, v201, v6, 0
	v_mul_lo_u32 v212, v212, v215
	v_dot4_i32_i8 v213, v202, v7, v213
	v_dot4_i32_i8 v213, v203, v8, v213
	;; [unrolled: 1-line block ×3, first 2 shown]
	v_mad_u64_u32 v[212:213], s[20:21], v213, v216, v[212:213]
	v_mad_u64_u32 v[213:214], s[20:21], v214, v215, v[211:212]
	v_mul_f32_e32 v211, v172, v61
	v_cvt_f32_i32_e32 v212, v212
	v_cvt_f32_i32_e32 v213, v213
	v_mul_f32_e32 v214, v172, v62
	v_fma_f32 v40, v214, v212, v40
	v_fmac_f32_e32 v39, v211, v213
	v_dot4_i32_i8 v211, v173, v2, 0
	v_dot4_i32_i8 v211, v174, v3, v211
	;; [unrolled: 1-line block ×5, first 2 shown]
	v_mul_lo_u32 v212, v212, v205
	v_dot4_i32_i8 v211, v179, v7, v211
	v_dot4_i32_i8 v211, v182, v8, v211
	;; [unrolled: 1-line block ×3, first 2 shown]
	v_mul_lo_u32 v211, v218, v206
	v_mad_u64_u32 v[212:213], s[20:21], v213, v206, v[212:213]
	v_mad_u64_u32 v[213:214], s[20:21], v217, v205, v[211:212]
	v_mul_f32_e32 v211, v177, v61
	v_cvt_f32_i32_e32 v212, v212
	v_cvt_f32_i32_e32 v213, v213
	v_mul_f32_e32 v214, v177, v62
	v_fma_f32 v42, v214, v212, v42
	v_fmac_f32_e32 v41, v211, v213
	v_dot4_i32_i8 v211, v180, v2, 0
	v_dot4_i32_i8 v2, v189, v2, 0
	;; [unrolled: 1-line block ×7, first 2 shown]
	v_mul_lo_u32 v3, v3, v209
	v_dot4_i32_i8 v2, v197, v7, v2
	v_dot4_i32_i8 v211, v184, v4, v211
	;; [unrolled: 1-line block ×6, first 2 shown]
	v_mul_lo_u32 v212, v212, v207
	v_mul_lo_u32 v2, v222, v210
	v_mad_u64_u32 v[3:4], s[20:21], v4, v210, v[3:4]
	v_dot4_i32_i8 v211, v188, v7, v211
	v_dot4_i32_i8 v211, v191, v8, v211
	;; [unrolled: 1-line block ×3, first 2 shown]
	v_mul_lo_u32 v211, v220, v208
	v_mad_u64_u32 v[212:213], s[20:21], v213, v208, v[212:213]
	v_mad_u64_u32 v[4:5], s[20:21], v221, v209, v[2:3]
	;; [unrolled: 1-line block ×3, first 2 shown]
	v_cvt_f32_i32_e32 v4, v4
	v_cvt_f32_i32_e32 v3, v3
	v_mul_f32_e32 v2, v195, v61
	v_mul_f32_e32 v5, v195, v62
	;; [unrolled: 1-line block ×4, first 2 shown]
	v_cvt_f32_i32_e32 v213, v213
	v_fma_f32 v46, v5, v3, v46
	v_fmac_f32_e32 v45, v2, v4
	ds_read2_b32 v[61:62], v171 offset0:192 offset1:224
	ds_read_b128 v[2:5], v170 offset:6144
	ds_read_b128 v[6:9], v170 offset:6160
	v_fmac_f32_e32 v43, v211, v213
	v_cvt_f32_i32_e32 v212, v212
	v_add_u32_e32 v171, 4, v171
	s_waitcnt lgkmcnt(1)
	v_dot4_i32_i8 v211, v63, v2, 0
	v_dot4_i32_i8 v211, v64, v3, v211
	;; [unrolled: 1-line block ×4, first 2 shown]
	s_waitcnt lgkmcnt(0)
	v_dot4_i32_i8 v211, v201, v6, 0
	v_dot4_i32_i8 v211, v202, v7, v211
	;; [unrolled: 1-line block ×22, first 2 shown]
	v_fma_f32 v44, v214, v212, v44
	v_dot4_i32_i8 v214, v192, v9, v211
	v_dot4_i32_i8 v211, v194, v5, v2
	;; [unrolled: 1-line block ×6, first 2 shown]
	ds_read_b128 v[6:9], v170 offset:7168
	ds_read_b128 v[2:5], v170 offset:7184
	v_add_u32_e32 v170, 32, v170
	s_waitcnt lgkmcnt(1)
	v_dot4_i32_i8 v63, v63, v6, 0
	v_dot4_i32_i8 v63, v64, v7, v63
	v_dot4_i32_i8 v63, v65, v8, v63
	v_dot4_i32_i8 v63, v200, v9, v63
	s_waitcnt lgkmcnt(0)
	v_dot4_i32_i8 v64, v201, v2, 0
	v_mul_lo_u32 v63, v63, v215
	v_dot4_i32_i8 v64, v202, v3, v64
	v_dot4_i32_i8 v64, v203, v4, v64
	v_dot4_i32_i8 v64, v204, v5, v64
	v_mul_lo_u32 v65, v220, v216
	v_mad_u64_u32 v[63:64], s[20:21], v64, v216, v[63:64]
	v_mad_u64_u32 v[64:65], s[20:21], v219, v215, v[65:66]
	v_cvt_f32_i32_e32 v63, v63
	v_mul_f32_e32 v65, v172, v61
	v_mul_f32_e32 v172, v172, v62
	v_cvt_f32_i32_e32 v64, v64
	v_fma_f32 v32, v172, v63, v32
	v_dot4_i32_i8 v63, v173, v6, 0
	v_dot4_i32_i8 v63, v174, v7, v63
	;; [unrolled: 1-line block ×3, first 2 shown]
	v_fmac_f32_e32 v31, v65, v64
	v_dot4_i32_i8 v64, v176, v9, v63
	v_dot4_i32_i8 v63, v178, v2, 0
	v_mul_lo_u32 v64, v64, v205
	v_dot4_i32_i8 v63, v179, v3, v63
	v_dot4_i32_i8 v63, v182, v4, v63
	;; [unrolled: 1-line block ×3, first 2 shown]
	v_mul_lo_u32 v63, v218, v206
	v_mad_u64_u32 v[64:65], s[20:21], v65, v206, v[64:65]
	v_mul_f32_e32 v65, v177, v62
	v_mad_u64_u32 v[172:173], s[20:21], v217, v205, v[63:64]
	v_mul_f32_e32 v63, v177, v61
	v_cvt_f32_i32_e32 v64, v64
	v_cvt_f32_i32_e32 v172, v172
	v_fma_f32 v34, v65, v64, v34
	v_fmac_f32_e32 v33, v63, v172
	v_dot4_i32_i8 v63, v180, v6, 0
	v_dot4_i32_i8 v6, v189, v6, 0
	;; [unrolled: 1-line block ×11, first 2 shown]
	v_mul_lo_u32 v64, v64, v207
	v_dot4_i32_i8 v2, v197, v3, v2
	v_mul_lo_u32 v3, v6, v209
	v_dot4_i32_i8 v63, v191, v4, v63
	v_dot4_i32_i8 v2, v198, v4, v2
	v_dot4_i32_i8 v65, v192, v5, v63
	v_dot4_i32_i8 v4, v199, v5, v2
	v_mul_lo_u32 v63, v214, v208
	v_mad_u64_u32 v[64:65], s[20:21], v65, v208, v[64:65]
	v_mul_lo_u32 v2, v212, v210
	v_mad_u64_u32 v[3:4], s[20:21], v4, v210, v[3:4]
	v_mad_u64_u32 v[172:173], s[20:21], v213, v207, v[63:64]
	v_mad_u64_u32 v[4:5], s[20:21], v211, v209, v[2:3]
	v_cvt_f32_i32_e32 v172, v172
	v_cvt_f32_i32_e32 v64, v64
	v_cvt_f32_i32_e32 v4, v4
	v_cvt_f32_i32_e32 v3, v3
	v_mul_f32_e32 v63, v186, v61
	v_mul_f32_e32 v65, v186, v62
	;; [unrolled: 1-line block ×4, first 2 shown]
	v_fma_f32 v36, v65, v64, v36
	v_fmac_f32_e32 v35, v63, v172
	v_fma_f32 v38, v5, v3, v38
	v_fmac_f32_e32 v37, v2, v4
	s_cbranch_scc1 .LBB150_14
; %bb.15:                               ;   in Loop: Header=BB150_6 Depth=1
	s_barrier
	s_branch .LBB150_5
.LBB150_16:
	v_cvt_f16_f32_e32 v2, v11
	v_cvt_f16_f32_e32 v3, v10
	v_cvt_f16_f32_e32 v4, v56
	v_cvt_f16_f32_e32 v5, v55
	v_cvt_f16_f32_e32 v6, v58
	v_cvt_f16_f32_e32 v7, v57
	v_cvt_f16_f32_e32 v8, v60
	v_cvt_f16_f32_e32 v9, v59
	v_pack_b32_f16 v20, v3, v2
	v_pack_b32_f16 v19, v5, v4
	v_pack_b32_f16 v18, v7, v6
	v_pack_b32_f16 v17, v9, v8
	v_cvt_f16_f32_e32 v2, v48
	v_cvt_f16_f32_e32 v3, v47
	v_cvt_f16_f32_e32 v4, v50
	v_cvt_f16_f32_e32 v5, v49
	v_cvt_f16_f32_e32 v6, v52
	v_cvt_f16_f32_e32 v7, v51
	v_cvt_f16_f32_e32 v8, v54
	v_cvt_f16_f32_e32 v9, v53
	v_pack_b32_f16 v16, v3, v2
	v_pack_b32_f16 v15, v5, v4
	v_pack_b32_f16 v14, v7, v6
	v_pack_b32_f16 v13, v9, v8
	;; [unrolled: 12-line block ×4, first 2 shown]
	v_mov_b32_e32 v6, v66
.LBB150_17:
	v_cmp_gt_u32_e32 vcc, s10, v6
	s_and_saveexec_b64 s[0:1], vcc
	s_cbranch_execz .LBB150_68
; %bb.18:
	v_mul_lo_u32 v21, v6, s14
	v_add_u32_e32 v0, s6, v0
	v_cmp_gt_u32_e32 vcc, s14, v0
	s_and_saveexec_b64 s[2:3], vcc
	s_cbranch_execz .LBB150_20
; %bb.19:
	v_add_u32_e32 v6, v0, v21
	v_mov_b32_e32 v7, 0
	v_lshlrev_b64 v[6:7], 1, v[6:7]
	s_waitcnt lgkmcnt(0)
	v_mov_b32_e32 v8, s13
	v_add_co_u32_e64 v6, s[0:1], s12, v6
	v_addc_co_u32_e64 v7, s[0:1], v8, v7, s[0:1]
	global_store_short v[6:7], v20, off
.LBB150_20:
	s_or_b64 exec, exec, s[2:3]
	v_add_u32_e32 v6, 32, v0
	v_cmp_gt_u32_e64 s[0:1], s14, v6
	s_and_saveexec_b64 s[4:5], s[0:1]
	s_cbranch_execz .LBB150_22
; %bb.21:
	v_add_u32_e32 v7, v6, v21
	v_mov_b32_e32 v8, 0
	v_lshlrev_b64 v[7:8], 1, v[7:8]
	s_waitcnt lgkmcnt(0)
	v_mov_b32_e32 v22, s13
	v_add_co_u32_e64 v7, s[2:3], s12, v7
	v_addc_co_u32_e64 v8, s[2:3], v22, v8, s[2:3]
	global_store_short v[7:8], v19, off
.LBB150_22:
	s_or_b64 exec, exec, s[4:5]
	v_add_u32_e32 v7, 64, v0
	v_cmp_gt_u32_e64 s[2:3], s14, v7
	s_and_saveexec_b64 s[6:7], s[2:3]
	;; [unrolled: 15-line block ×3, first 2 shown]
	s_cbranch_execz .LBB150_26
; %bb.25:
	v_add_u32_e32 v21, v8, v21
	v_mov_b32_e32 v22, 0
	v_lshlrev_b64 v[21:22], 1, v[21:22]
	s_waitcnt lgkmcnt(0)
	v_mov_b32_e32 v23, s13
	v_add_co_u32_e64 v21, s[6:7], s12, v21
	v_addc_co_u32_e64 v22, s[6:7], v23, v22, s[6:7]
	global_store_short v[21:22], v17, off
.LBB150_26:
	s_or_b64 exec, exec, s[8:9]
	v_add3_u32 v21, v1, s15, 8
	v_cmp_gt_u32_e64 s[6:7], s10, v21
	s_and_b64 exec, exec, s[6:7]
	s_cbranch_execz .LBB150_68
; %bb.27:
	v_mul_lo_u32 v21, v21, s14
	s_and_saveexec_b64 s[8:9], vcc
	s_cbranch_execnz .LBB150_69
; %bb.28:
	s_or_b64 exec, exec, s[8:9]
	s_and_saveexec_b64 s[8:9], s[0:1]
	s_cbranch_execnz .LBB150_70
.LBB150_29:
	s_or_b64 exec, exec, s[8:9]
	s_and_saveexec_b64 s[8:9], s[2:3]
	s_cbranch_execnz .LBB150_71
.LBB150_30:
	s_or_b64 exec, exec, s[8:9]
	s_and_saveexec_b64 s[8:9], s[4:5]
	s_cbranch_execz .LBB150_32
.LBB150_31:
	v_add_u32_e32 v18, v21, v8
	v_mov_b32_e32 v19, 0
	v_lshlrev_b64 v[18:19], 1, v[18:19]
	s_waitcnt lgkmcnt(0)
	v_mov_b32_e32 v20, s13
	v_add_co_u32_e64 v18, s[6:7], s12, v18
	v_addc_co_u32_e64 v19, s[6:7], v20, v19, s[6:7]
	global_store_short_d16_hi v[18:19], v17, off
.LBB150_32:
	s_or_b64 exec, exec, s[8:9]
	v_add3_u32 v17, v1, s15, 16
	v_cmp_gt_u32_e64 s[6:7], s10, v17
	s_and_b64 exec, exec, s[6:7]
	s_cbranch_execz .LBB150_68
; %bb.33:
	v_mul_lo_u32 v17, v17, s14
	s_and_saveexec_b64 s[8:9], vcc
	s_cbranch_execnz .LBB150_72
; %bb.34:
	s_or_b64 exec, exec, s[8:9]
	s_and_saveexec_b64 s[8:9], s[0:1]
	s_cbranch_execnz .LBB150_73
.LBB150_35:
	s_or_b64 exec, exec, s[8:9]
	s_and_saveexec_b64 s[8:9], s[2:3]
	s_cbranch_execnz .LBB150_74
.LBB150_36:
	s_or_b64 exec, exec, s[8:9]
	s_and_saveexec_b64 s[8:9], s[4:5]
	s_cbranch_execz .LBB150_38
.LBB150_37:
	v_add_u32_e32 v17, v17, v8
	v_mov_b32_e32 v18, 0
	v_lshlrev_b64 v[17:18], 1, v[17:18]
	s_waitcnt lgkmcnt(0)
	v_mov_b32_e32 v19, s13
	v_add_co_u32_e64 v17, s[6:7], s12, v17
	v_addc_co_u32_e64 v18, s[6:7], v19, v18, s[6:7]
	global_store_short v[17:18], v13, off
.LBB150_38:
	s_or_b64 exec, exec, s[8:9]
	v_add3_u32 v17, v1, s15, 24
	v_cmp_gt_u32_e64 s[6:7], s10, v17
	s_and_b64 exec, exec, s[6:7]
	s_cbranch_execz .LBB150_68
; %bb.39:
	v_mul_lo_u32 v17, v17, s14
	s_and_saveexec_b64 s[8:9], vcc
	s_cbranch_execnz .LBB150_75
; %bb.40:
	s_or_b64 exec, exec, s[8:9]
	s_and_saveexec_b64 s[8:9], s[0:1]
	s_cbranch_execnz .LBB150_76
.LBB150_41:
	s_or_b64 exec, exec, s[8:9]
	s_and_saveexec_b64 s[8:9], s[2:3]
	s_cbranch_execnz .LBB150_77
.LBB150_42:
	s_or_b64 exec, exec, s[8:9]
	s_and_saveexec_b64 s[8:9], s[4:5]
	s_cbranch_execz .LBB150_44
.LBB150_43:
	v_add_u32_e32 v14, v17, v8
	v_mov_b32_e32 v15, 0
	v_lshlrev_b64 v[14:15], 1, v[14:15]
	s_waitcnt lgkmcnt(0)
	v_mov_b32_e32 v16, s13
	v_add_co_u32_e64 v14, s[6:7], s12, v14
	v_addc_co_u32_e64 v15, s[6:7], v16, v15, s[6:7]
	global_store_short_d16_hi v[14:15], v13, off
.LBB150_44:
	s_or_b64 exec, exec, s[8:9]
	v_add3_u32 v13, v1, s15, 32
	v_cmp_gt_u32_e64 s[6:7], s10, v13
	s_and_b64 exec, exec, s[6:7]
	s_cbranch_execz .LBB150_68
; %bb.45:
	v_mul_lo_u32 v13, v13, s14
	s_and_saveexec_b64 s[8:9], vcc
	s_cbranch_execnz .LBB150_78
; %bb.46:
	s_or_b64 exec, exec, s[8:9]
	s_and_saveexec_b64 s[8:9], s[0:1]
	s_cbranch_execnz .LBB150_79
.LBB150_47:
	s_or_b64 exec, exec, s[8:9]
	s_and_saveexec_b64 s[8:9], s[2:3]
	s_cbranch_execnz .LBB150_80
.LBB150_48:
	s_or_b64 exec, exec, s[8:9]
	s_and_saveexec_b64 s[8:9], s[4:5]
	s_cbranch_execz .LBB150_50
.LBB150_49:
	v_add_u32_e32 v13, v13, v8
	v_mov_b32_e32 v14, 0
	v_lshlrev_b64 v[13:14], 1, v[13:14]
	s_waitcnt lgkmcnt(0)
	v_mov_b32_e32 v15, s13
	v_add_co_u32_e64 v13, s[6:7], s12, v13
	v_addc_co_u32_e64 v14, s[6:7], v15, v14, s[6:7]
	global_store_short v[13:14], v9, off
.LBB150_50:
	s_or_b64 exec, exec, s[8:9]
	v_add3_u32 v13, v1, s15, 40
	v_cmp_gt_u32_e64 s[6:7], s10, v13
	s_and_b64 exec, exec, s[6:7]
	s_cbranch_execz .LBB150_68
; %bb.51:
	v_mul_lo_u32 v13, v13, s14
	s_and_saveexec_b64 s[8:9], vcc
	s_cbranch_execnz .LBB150_81
; %bb.52:
	s_or_b64 exec, exec, s[8:9]
	s_and_saveexec_b64 s[8:9], s[0:1]
	s_cbranch_execnz .LBB150_82
.LBB150_53:
	s_or_b64 exec, exec, s[8:9]
	s_and_saveexec_b64 s[8:9], s[2:3]
	s_cbranch_execnz .LBB150_83
.LBB150_54:
	s_or_b64 exec, exec, s[8:9]
	s_and_saveexec_b64 s[8:9], s[4:5]
	s_cbranch_execz .LBB150_56
.LBB150_55:
	v_add_u32_e32 v10, v13, v8
	v_mov_b32_e32 v11, 0
	v_lshlrev_b64 v[10:11], 1, v[10:11]
	s_waitcnt lgkmcnt(0)
	v_mov_b32_e32 v12, s13
	v_add_co_u32_e64 v10, s[6:7], s12, v10
	v_addc_co_u32_e64 v11, s[6:7], v12, v11, s[6:7]
	global_store_short_d16_hi v[10:11], v9, off
.LBB150_56:
	s_or_b64 exec, exec, s[8:9]
	v_add3_u32 v9, v1, s15, 48
	v_cmp_gt_u32_e64 s[6:7], s10, v9
	s_and_b64 exec, exec, s[6:7]
	s_cbranch_execz .LBB150_68
; %bb.57:
	v_mul_lo_u32 v9, v9, s14
	s_and_saveexec_b64 s[8:9], vcc
	s_cbranch_execnz .LBB150_84
; %bb.58:
	s_or_b64 exec, exec, s[8:9]
	s_and_saveexec_b64 s[8:9], s[0:1]
	s_cbranch_execnz .LBB150_85
.LBB150_59:
	s_or_b64 exec, exec, s[8:9]
	s_and_saveexec_b64 s[8:9], s[2:3]
	s_cbranch_execnz .LBB150_86
.LBB150_60:
	s_or_b64 exec, exec, s[8:9]
	s_and_saveexec_b64 s[8:9], s[4:5]
	s_cbranch_execz .LBB150_62
.LBB150_61:
	v_add_u32_e32 v9, v9, v8
	v_mov_b32_e32 v10, 0
	v_lshlrev_b64 v[9:10], 1, v[9:10]
	s_waitcnt lgkmcnt(0)
	v_mov_b32_e32 v11, s13
	v_add_co_u32_e64 v9, s[6:7], s12, v9
	v_addc_co_u32_e64 v10, s[6:7], v11, v10, s[6:7]
	global_store_short v[9:10], v2, off
.LBB150_62:
	s_or_b64 exec, exec, s[8:9]
	v_add3_u32 v1, v1, s15, 56
	v_cmp_gt_u32_e64 s[6:7], s10, v1
	s_and_b64 exec, exec, s[6:7]
	s_cbranch_execz .LBB150_68
; %bb.63:
	v_mul_lo_u32 v1, v1, s14
	s_and_saveexec_b64 s[6:7], vcc
	s_cbranch_execnz .LBB150_87
; %bb.64:
	s_or_b64 exec, exec, s[6:7]
	s_and_saveexec_b64 s[6:7], s[0:1]
	s_cbranch_execnz .LBB150_88
.LBB150_65:
	s_or_b64 exec, exec, s[6:7]
	s_and_saveexec_b64 s[0:1], s[2:3]
	s_cbranch_execnz .LBB150_89
.LBB150_66:
	s_or_b64 exec, exec, s[0:1]
	s_and_b64 exec, exec, s[4:5]
	s_cbranch_execz .LBB150_68
.LBB150_67:
	v_add_u32_e32 v0, v1, v8
	v_mov_b32_e32 v1, 0
	v_lshlrev_b64 v[0:1], 1, v[0:1]
	s_waitcnt lgkmcnt(0)
	v_mov_b32_e32 v3, s13
	v_add_co_u32_e32 v0, vcc, s12, v0
	v_addc_co_u32_e32 v1, vcc, v3, v1, vcc
	global_store_short_d16_hi v[0:1], v2, off
.LBB150_68:
	s_endpgm
.LBB150_69:
	v_add_u32_e32 v22, v21, v0
	v_mov_b32_e32 v23, 0
	v_lshlrev_b64 v[22:23], 1, v[22:23]
	s_waitcnt lgkmcnt(0)
	v_mov_b32_e32 v24, s13
	v_add_co_u32_e64 v22, s[6:7], s12, v22
	v_addc_co_u32_e64 v23, s[6:7], v24, v23, s[6:7]
	global_store_short_d16_hi v[22:23], v20, off
	s_or_b64 exec, exec, s[8:9]
	s_and_saveexec_b64 s[8:9], s[0:1]
	s_cbranch_execz .LBB150_29
.LBB150_70:
	v_add_u32_e32 v22, v21, v6
	v_mov_b32_e32 v23, 0
	v_lshlrev_b64 v[22:23], 1, v[22:23]
	s_waitcnt lgkmcnt(0)
	v_mov_b32_e32 v20, s13
	v_add_co_u32_e64 v22, s[6:7], s12, v22
	v_addc_co_u32_e64 v23, s[6:7], v20, v23, s[6:7]
	global_store_short_d16_hi v[22:23], v19, off
	s_or_b64 exec, exec, s[8:9]
	s_and_saveexec_b64 s[8:9], s[2:3]
	s_cbranch_execz .LBB150_30
.LBB150_71:
	v_add_u32_e32 v19, v21, v7
	v_mov_b32_e32 v20, 0
	v_lshlrev_b64 v[19:20], 1, v[19:20]
	s_waitcnt lgkmcnt(0)
	v_mov_b32_e32 v22, s13
	v_add_co_u32_e64 v19, s[6:7], s12, v19
	v_addc_co_u32_e64 v20, s[6:7], v22, v20, s[6:7]
	global_store_short_d16_hi v[19:20], v18, off
	s_or_b64 exec, exec, s[8:9]
	s_and_saveexec_b64 s[8:9], s[4:5]
	s_cbranch_execnz .LBB150_31
	s_branch .LBB150_32
.LBB150_72:
	v_add_u32_e32 v18, v17, v0
	v_mov_b32_e32 v19, 0
	v_lshlrev_b64 v[18:19], 1, v[18:19]
	s_waitcnt lgkmcnt(0)
	v_mov_b32_e32 v20, s13
	v_add_co_u32_e64 v18, s[6:7], s12, v18
	v_addc_co_u32_e64 v19, s[6:7], v20, v19, s[6:7]
	global_store_short v[18:19], v16, off
	s_or_b64 exec, exec, s[8:9]
	s_and_saveexec_b64 s[8:9], s[0:1]
	s_cbranch_execz .LBB150_35
.LBB150_73:
	v_add_u32_e32 v18, v17, v6
	v_mov_b32_e32 v19, 0
	v_lshlrev_b64 v[18:19], 1, v[18:19]
	s_waitcnt lgkmcnt(0)
	v_mov_b32_e32 v20, s13
	v_add_co_u32_e64 v18, s[6:7], s12, v18
	v_addc_co_u32_e64 v19, s[6:7], v20, v19, s[6:7]
	global_store_short v[18:19], v15, off
	s_or_b64 exec, exec, s[8:9]
	s_and_saveexec_b64 s[8:9], s[2:3]
	s_cbranch_execz .LBB150_36
.LBB150_74:
	v_add_u32_e32 v18, v17, v7
	v_mov_b32_e32 v19, 0
	v_lshlrev_b64 v[18:19], 1, v[18:19]
	s_waitcnt lgkmcnt(0)
	v_mov_b32_e32 v20, s13
	v_add_co_u32_e64 v18, s[6:7], s12, v18
	v_addc_co_u32_e64 v19, s[6:7], v20, v19, s[6:7]
	global_store_short v[18:19], v14, off
	s_or_b64 exec, exec, s[8:9]
	s_and_saveexec_b64 s[8:9], s[4:5]
	s_cbranch_execnz .LBB150_37
	s_branch .LBB150_38
.LBB150_75:
	v_add_u32_e32 v18, v17, v0
	v_mov_b32_e32 v19, 0
	v_lshlrev_b64 v[18:19], 1, v[18:19]
	s_waitcnt lgkmcnt(0)
	v_mov_b32_e32 v20, s13
	v_add_co_u32_e64 v18, s[6:7], s12, v18
	v_addc_co_u32_e64 v19, s[6:7], v20, v19, s[6:7]
	global_store_short_d16_hi v[18:19], v16, off
	s_or_b64 exec, exec, s[8:9]
	s_and_saveexec_b64 s[8:9], s[0:1]
	s_cbranch_execz .LBB150_41
.LBB150_76:
	v_add_u32_e32 v18, v17, v6
	v_mov_b32_e32 v19, 0
	v_lshlrev_b64 v[18:19], 1, v[18:19]
	s_waitcnt lgkmcnt(0)
	v_mov_b32_e32 v16, s13
	v_add_co_u32_e64 v18, s[6:7], s12, v18
	v_addc_co_u32_e64 v19, s[6:7], v16, v19, s[6:7]
	global_store_short_d16_hi v[18:19], v15, off
	s_or_b64 exec, exec, s[8:9]
	s_and_saveexec_b64 s[8:9], s[2:3]
	s_cbranch_execz .LBB150_42
.LBB150_77:
	v_add_u32_e32 v15, v17, v7
	v_mov_b32_e32 v16, 0
	v_lshlrev_b64 v[15:16], 1, v[15:16]
	s_waitcnt lgkmcnt(0)
	v_mov_b32_e32 v18, s13
	v_add_co_u32_e64 v15, s[6:7], s12, v15
	v_addc_co_u32_e64 v16, s[6:7], v18, v16, s[6:7]
	global_store_short_d16_hi v[15:16], v14, off
	s_or_b64 exec, exec, s[8:9]
	s_and_saveexec_b64 s[8:9], s[4:5]
	s_cbranch_execnz .LBB150_43
	s_branch .LBB150_44
.LBB150_78:
	v_add_u32_e32 v14, v13, v0
	v_mov_b32_e32 v15, 0
	v_lshlrev_b64 v[14:15], 1, v[14:15]
	s_waitcnt lgkmcnt(0)
	v_mov_b32_e32 v16, s13
	v_add_co_u32_e64 v14, s[6:7], s12, v14
	v_addc_co_u32_e64 v15, s[6:7], v16, v15, s[6:7]
	global_store_short v[14:15], v12, off
	s_or_b64 exec, exec, s[8:9]
	s_and_saveexec_b64 s[8:9], s[0:1]
	s_cbranch_execz .LBB150_47
.LBB150_79:
	v_add_u32_e32 v14, v13, v6
	v_mov_b32_e32 v15, 0
	v_lshlrev_b64 v[14:15], 1, v[14:15]
	s_waitcnt lgkmcnt(0)
	v_mov_b32_e32 v16, s13
	v_add_co_u32_e64 v14, s[6:7], s12, v14
	v_addc_co_u32_e64 v15, s[6:7], v16, v15, s[6:7]
	global_store_short v[14:15], v11, off
	s_or_b64 exec, exec, s[8:9]
	s_and_saveexec_b64 s[8:9], s[2:3]
	s_cbranch_execz .LBB150_48
.LBB150_80:
	v_add_u32_e32 v14, v13, v7
	v_mov_b32_e32 v15, 0
	v_lshlrev_b64 v[14:15], 1, v[14:15]
	s_waitcnt lgkmcnt(0)
	v_mov_b32_e32 v16, s13
	v_add_co_u32_e64 v14, s[6:7], s12, v14
	v_addc_co_u32_e64 v15, s[6:7], v16, v15, s[6:7]
	global_store_short v[14:15], v10, off
	s_or_b64 exec, exec, s[8:9]
	s_and_saveexec_b64 s[8:9], s[4:5]
	s_cbranch_execnz .LBB150_49
	s_branch .LBB150_50
.LBB150_81:
	v_add_u32_e32 v14, v13, v0
	v_mov_b32_e32 v15, 0
	v_lshlrev_b64 v[14:15], 1, v[14:15]
	s_waitcnt lgkmcnt(0)
	v_mov_b32_e32 v16, s13
	v_add_co_u32_e64 v14, s[6:7], s12, v14
	v_addc_co_u32_e64 v15, s[6:7], v16, v15, s[6:7]
	global_store_short_d16_hi v[14:15], v12, off
	s_or_b64 exec, exec, s[8:9]
	s_and_saveexec_b64 s[8:9], s[0:1]
	s_cbranch_execz .LBB150_53
.LBB150_82:
	v_add_u32_e32 v14, v13, v6
	v_mov_b32_e32 v15, 0
	v_lshlrev_b64 v[14:15], 1, v[14:15]
	s_waitcnt lgkmcnt(0)
	v_mov_b32_e32 v12, s13
	v_add_co_u32_e64 v14, s[6:7], s12, v14
	v_addc_co_u32_e64 v15, s[6:7], v12, v15, s[6:7]
	global_store_short_d16_hi v[14:15], v11, off
	s_or_b64 exec, exec, s[8:9]
	s_and_saveexec_b64 s[8:9], s[2:3]
	s_cbranch_execz .LBB150_54
.LBB150_83:
	v_add_u32_e32 v11, v13, v7
	v_mov_b32_e32 v12, 0
	v_lshlrev_b64 v[11:12], 1, v[11:12]
	s_waitcnt lgkmcnt(0)
	v_mov_b32_e32 v14, s13
	v_add_co_u32_e64 v11, s[6:7], s12, v11
	v_addc_co_u32_e64 v12, s[6:7], v14, v12, s[6:7]
	global_store_short_d16_hi v[11:12], v10, off
	s_or_b64 exec, exec, s[8:9]
	s_and_saveexec_b64 s[8:9], s[4:5]
	s_cbranch_execnz .LBB150_55
	s_branch .LBB150_56
.LBB150_84:
	v_add_u32_e32 v10, v9, v0
	v_mov_b32_e32 v11, 0
	v_lshlrev_b64 v[10:11], 1, v[10:11]
	s_waitcnt lgkmcnt(0)
	v_mov_b32_e32 v12, s13
	v_add_co_u32_e64 v10, s[6:7], s12, v10
	v_addc_co_u32_e64 v11, s[6:7], v12, v11, s[6:7]
	global_store_short v[10:11], v5, off
	s_or_b64 exec, exec, s[8:9]
	s_and_saveexec_b64 s[8:9], s[0:1]
	s_cbranch_execz .LBB150_59
.LBB150_85:
	v_add_u32_e32 v10, v9, v6
	v_mov_b32_e32 v11, 0
	v_lshlrev_b64 v[10:11], 1, v[10:11]
	s_waitcnt lgkmcnt(0)
	v_mov_b32_e32 v12, s13
	v_add_co_u32_e64 v10, s[6:7], s12, v10
	v_addc_co_u32_e64 v11, s[6:7], v12, v11, s[6:7]
	global_store_short v[10:11], v4, off
	s_or_b64 exec, exec, s[8:9]
	s_and_saveexec_b64 s[8:9], s[2:3]
	s_cbranch_execz .LBB150_60
.LBB150_86:
	v_add_u32_e32 v10, v9, v7
	v_mov_b32_e32 v11, 0
	v_lshlrev_b64 v[10:11], 1, v[10:11]
	s_waitcnt lgkmcnt(0)
	v_mov_b32_e32 v12, s13
	v_add_co_u32_e64 v10, s[6:7], s12, v10
	v_addc_co_u32_e64 v11, s[6:7], v12, v11, s[6:7]
	global_store_short v[10:11], v3, off
	s_or_b64 exec, exec, s[8:9]
	s_and_saveexec_b64 s[8:9], s[4:5]
	s_cbranch_execnz .LBB150_61
	s_branch .LBB150_62
.LBB150_87:
	v_add_u32_e32 v9, v1, v0
	v_mov_b32_e32 v10, 0
	v_lshlrev_b64 v[9:10], 1, v[9:10]
	s_waitcnt lgkmcnt(0)
	v_mov_b32_e32 v0, s13
	v_add_co_u32_e32 v9, vcc, s12, v9
	v_addc_co_u32_e32 v10, vcc, v0, v10, vcc
	global_store_short_d16_hi v[9:10], v5, off
	s_or_b64 exec, exec, s[6:7]
	s_and_saveexec_b64 s[6:7], s[0:1]
	s_cbranch_execz .LBB150_65
.LBB150_88:
	v_add_u32_e32 v5, v1, v6
	v_mov_b32_e32 v6, 0
	v_lshlrev_b64 v[5:6], 1, v[5:6]
	s_waitcnt lgkmcnt(0)
	v_mov_b32_e32 v0, s13
	v_add_co_u32_e32 v5, vcc, s12, v5
	v_addc_co_u32_e32 v6, vcc, v0, v6, vcc
	global_store_short_d16_hi v[5:6], v4, off
	s_or_b64 exec, exec, s[6:7]
	s_and_saveexec_b64 s[0:1], s[2:3]
	s_cbranch_execz .LBB150_66
.LBB150_89:
	v_add_u32_e32 v4, v1, v7
	v_mov_b32_e32 v5, 0
	v_lshlrev_b64 v[4:5], 1, v[4:5]
	s_waitcnt lgkmcnt(0)
	v_mov_b32_e32 v0, s13
	v_add_co_u32_e32 v4, vcc, s12, v4
	v_addc_co_u32_e32 v5, vcc, v0, v5, vcc
	global_store_short_d16_hi v[4:5], v3, off
	s_or_b64 exec, exec, s[0:1]
	s_and_b64 exec, exec, s[4:5]
	s_cbranch_execnz .LBB150_67
	s_branch .LBB150_68
	.section	.rodata,"a",@progbits
	.p2align	6, 0x0
	.amdhsa_kernel _ZL12mul_mat_q3_KIN3c104HalfELb1EEvPKvS3_PT_iiiii
		.amdhsa_group_segment_fixed_size 39840
		.amdhsa_private_segment_fixed_size 0
		.amdhsa_kernarg_size 44
		.amdhsa_user_sgpr_count 6
		.amdhsa_user_sgpr_private_segment_buffer 1
		.amdhsa_user_sgpr_dispatch_ptr 0
		.amdhsa_user_sgpr_queue_ptr 0
		.amdhsa_user_sgpr_kernarg_segment_ptr 1
		.amdhsa_user_sgpr_dispatch_id 0
		.amdhsa_user_sgpr_flat_scratch_init 0
		.amdhsa_user_sgpr_private_segment_size 0
		.amdhsa_uses_dynamic_stack 0
		.amdhsa_system_sgpr_private_segment_wavefront_offset 0
		.amdhsa_system_sgpr_workgroup_id_x 1
		.amdhsa_system_sgpr_workgroup_id_y 1
		.amdhsa_system_sgpr_workgroup_id_z 0
		.amdhsa_system_sgpr_workgroup_info 0
		.amdhsa_system_vgpr_workitem_id 1
		.amdhsa_next_free_vgpr 227
		.amdhsa_next_free_sgpr 98
		.amdhsa_reserve_vcc 1
		.amdhsa_reserve_flat_scratch 0
		.amdhsa_float_round_mode_32 0
		.amdhsa_float_round_mode_16_64 0
		.amdhsa_float_denorm_mode_32 3
		.amdhsa_float_denorm_mode_16_64 3
		.amdhsa_dx10_clamp 1
		.amdhsa_ieee_mode 1
		.amdhsa_fp16_overflow 0
		.amdhsa_exception_fp_ieee_invalid_op 0
		.amdhsa_exception_fp_denorm_src 0
		.amdhsa_exception_fp_ieee_div_zero 0
		.amdhsa_exception_fp_ieee_overflow 0
		.amdhsa_exception_fp_ieee_underflow 0
		.amdhsa_exception_fp_ieee_inexact 0
		.amdhsa_exception_int_div_zero 0
	.end_amdhsa_kernel
	.section	.text._ZL12mul_mat_q3_KIN3c104HalfELb1EEvPKvS3_PT_iiiii,"axG",@progbits,_ZL12mul_mat_q3_KIN3c104HalfELb1EEvPKvS3_PT_iiiii,comdat
.Lfunc_end150:
	.size	_ZL12mul_mat_q3_KIN3c104HalfELb1EEvPKvS3_PT_iiiii, .Lfunc_end150-_ZL12mul_mat_q3_KIN3c104HalfELb1EEvPKvS3_PT_iiiii
                                        ; -- End function
	.set _ZL12mul_mat_q3_KIN3c104HalfELb1EEvPKvS3_PT_iiiii.num_vgpr, 227
	.set _ZL12mul_mat_q3_KIN3c104HalfELb1EEvPKvS3_PT_iiiii.num_agpr, 0
	.set _ZL12mul_mat_q3_KIN3c104HalfELb1EEvPKvS3_PT_iiiii.numbered_sgpr, 25
	.set _ZL12mul_mat_q3_KIN3c104HalfELb1EEvPKvS3_PT_iiiii.num_named_barrier, 0
	.set _ZL12mul_mat_q3_KIN3c104HalfELb1EEvPKvS3_PT_iiiii.private_seg_size, 0
	.set _ZL12mul_mat_q3_KIN3c104HalfELb1EEvPKvS3_PT_iiiii.uses_vcc, 1
	.set _ZL12mul_mat_q3_KIN3c104HalfELb1EEvPKvS3_PT_iiiii.uses_flat_scratch, 0
	.set _ZL12mul_mat_q3_KIN3c104HalfELb1EEvPKvS3_PT_iiiii.has_dyn_sized_stack, 0
	.set _ZL12mul_mat_q3_KIN3c104HalfELb1EEvPKvS3_PT_iiiii.has_recursion, 0
	.set _ZL12mul_mat_q3_KIN3c104HalfELb1EEvPKvS3_PT_iiiii.has_indirect_call, 0
	.section	.AMDGPU.csdata,"",@progbits
; Kernel info:
; codeLenInByte = 35236
; TotalNumSgprs: 29
; NumVgprs: 227
; ScratchSize: 0
; MemoryBound: 0
; FloatMode: 240
; IeeeMode: 1
; LDSByteSize: 39840 bytes/workgroup (compile time only)
; SGPRBlocks: 12
; VGPRBlocks: 56
; NumSGPRsForWavesPerEU: 102
; NumVGPRsForWavesPerEU: 227
; Occupancy: 1
; WaveLimiterHint : 0
; COMPUTE_PGM_RSRC2:SCRATCH_EN: 0
; COMPUTE_PGM_RSRC2:USER_SGPR: 6
; COMPUTE_PGM_RSRC2:TRAP_HANDLER: 0
; COMPUTE_PGM_RSRC2:TGID_X_EN: 1
; COMPUTE_PGM_RSRC2:TGID_Y_EN: 1
; COMPUTE_PGM_RSRC2:TGID_Z_EN: 0
; COMPUTE_PGM_RSRC2:TIDIG_COMP_CNT: 1
	.section	.text._ZL12mul_mat_q4_KIN3c104HalfELb0EEvPKvS3_PT_iiiii,"axG",@progbits,_ZL12mul_mat_q4_KIN3c104HalfELb0EEvPKvS3_PT_iiiii,comdat
	.globl	_ZL12mul_mat_q4_KIN3c104HalfELb0EEvPKvS3_PT_iiiii ; -- Begin function _ZL12mul_mat_q4_KIN3c104HalfELb0EEvPKvS3_PT_iiiii
	.p2align	8
	.type	_ZL12mul_mat_q4_KIN3c104HalfELb0EEvPKvS3_PT_iiiii,@function
_ZL12mul_mat_q4_KIN3c104HalfELb0EEvPKvS3_PT_iiiii: ; @_ZL12mul_mat_q4_KIN3c104HalfELb0EEvPKvS3_PT_iiiii
; %bb.0:
	s_mov_b64 s[22:23], s[2:3]
	s_mov_b64 s[20:21], s[0:1]
	s_add_u32 s20, s20, s8
	s_load_dword s14, s[4:5], 0x18
	s_load_dwordx4 s[8:11], s[4:5], 0x20
	s_addc_u32 s21, s21, 0
	v_mov_b32_e32 v26, v1
	s_waitcnt lgkmcnt(0)
	s_lshl_b32 s11, s7, 6
	v_mov_b32_e32 v33, v0
	s_cmpk_gt_i32 s14, 0xff
	v_add_u32_e32 v25, s11, v26
	s_cbranch_scc1 .LBB151_2
; %bb.1:
	v_add_u32_e32 v4, s11, v26
	s_mov_b64 s[0:1], 0
	s_branch .LBB151_3
.LBB151_2:
	s_mov_b64 s[0:1], -1
                                        ; implicit-def: $vgpr4
.LBB151_3:
	s_load_dwordx2 s[12:13], s[4:5], 0x10
	s_lshl_b32 s6, s6, 7
	s_mov_b32 s7, 0
	v_mov_b32_e32 v0, 0
	s_andn2_b64 vcc, exec, s[0:1]
	v_mov_b32_e32 v8, 0
	v_mov_b32_e32 v12, 0
	;; [unrolled: 1-line block ×15, first 2 shown]
	s_cbranch_vccnz .LBB151_11
; %bb.4:
	s_load_dwordx4 s[0:3], s[4:5], 0x0
	s_ashr_i32 s4, s14, 31
	s_lshr_b32 s4, s4, 24
	s_add_i32 s14, s14, s4
	s_ashr_i32 s5, s9, 31
	s_ashr_i32 s4, s14, 8
	s_lshr_b32 s5, s5, 27
	s_add_i32 s5, s9, s5
	s_mul_i32 s9, s4, s6
	s_ashr_i32 s15, s5, 5
	s_mul_hi_i32 s14, s9, 0x90
	s_mulk_i32 s9, 0x90
	v_lshlrev_b32_e32 v34, 2, v33
	s_waitcnt lgkmcnt(0)
	s_add_u32 s9, s0, s9
	v_and_b32_e32 v0, 0x7c, v34
	s_movk_i32 s0, 0x84
	s_addc_u32 s14, s1, s14
	buffer_store_dword v0, off, s[20:23], 0 offset:392 ; 4-byte Folded Spill
	v_mad_u32_u24 v0, v26, s0, v34
	s_lshl_b32 s1, s4, 3
	buffer_store_dword v0, off, s[20:23], 0 offset:396 ; 4-byte Folded Spill
	v_mov_b32_e32 v0, s1
	v_mad_i32_i24 v0, s4, v26, v0
	buffer_store_dword v0, off, s[20:23], 0 offset:400 ; 4-byte Folded Spill
	v_add_u32_e32 v0, s1, v0
	buffer_store_dword v0, off, s[20:23], 0 offset:404 ; 4-byte Folded Spill
	v_add_u32_e32 v0, s1, v0
	;; [unrolled: 2-line block ×14, first 2 shown]
	buffer_store_dword v0, off, s[20:23], 0 offset:456 ; 4-byte Folded Spill
	v_lshlrev_b32_e32 v0, 5, v26
	buffer_store_dword v0, off, s[20:23], 0 offset:228 ; 4-byte Folded Spill
	v_add_u32_e32 v0, v0, v33
	v_and_b32_e32 v1, 0x7f, v0
	v_lshrrev_b32_e32 v0, 3, v0
	v_mul_i32_i24_e32 v2, s4, v1
	v_and_b32_e32 v0, 12, v0
	v_lshlrev_b32_e32 v1, 2, v1
	s_movk_i32 s1, 0x6e40
	v_add3_u32 v0, v1, v0, s1
	buffer_store_dword v0, off, s[20:23], 0 offset:464 ; 4-byte Folded Spill
	v_and_b32_e32 v0, 3, v33
	v_add_u32_e32 v3, 0xfe, v0
	v_and_b32_e32 v3, 0xff, v3
	v_cmp_gt_u32_e32 vcc, 2, v0
	v_cndmask_b32_e32 v3, v3, v0, vcc
	v_cmp_ne_u32_e32 vcc, 0, v0
	buffer_store_dword v2, off, s[20:23], 0 offset:460 ; 4-byte Folded Spill
	v_lshlrev_b32_e32 v1, 3, v26
	v_lshrrev_b32_e32 v2, 2, v33
	v_addc_co_u32_e32 v20, vcc, 0, v3, vcc
	v_add_u32_e32 v5, v2, v1
	v_and_b32_e32 v4, 4, v34
	v_cmp_lt_u32_e32 vcc, 1, v0
	v_lshlrev_b32_e32 v3, 1, v3
	v_cndmask_b32_e32 v4, 0, v4, vcc
	buffer_store_dword v3, off, s[20:23], 0 offset:472 ; 4-byte Folded Spill
	v_and_b32_e32 v3, 0x7f, v5
	v_add_u16_e32 v1, v2, v1
	buffer_store_dword v4, off, s[20:23], 0 offset:468 ; 4-byte Folded Spill
	v_mul_i32_i24_e32 v4, s4, v3
	v_lshlrev_b32_e32 v9, 2, v0
	v_lshrrev_b16_e32 v1, 1, v1
	buffer_store_dword v4, off, s[20:23], 0 offset:476 ; 4-byte Folded Spill
	v_lshl_or_b32 v4, v3, 4, v9
	v_and_b32_e32 v1, 60, v1
	s_movk_i32 s16, 0x6200
	v_add3_u32 v1, v4, v1, s16
	buffer_store_dword v1, off, s[20:23], 0 offset:480 ; 4-byte Folded Spill
	v_xor_b32_e32 v1, 64, v3
	v_mul_i32_i24_e32 v2, s4, v1
	buffer_store_dword v2, off, s[20:23], 0 offset:484 ; 4-byte Folded Spill
	v_lshl_or_b32 v2, v1, 4, v9
	v_lshrrev_b32_e32 v1, 1, v1
	v_and_b32_e32 v1, 60, v1
	v_add3_u32 v1, v2, v1, s16
	s_add_i32 s16, s8, -1
	buffer_store_dword v1, off, s[20:23], 0 offset:488 ; 4-byte Folded Spill
	v_cvt_f64_i32_e32 v[1:2], s16
	v_cvt_f64_u32_e32 v[3:4], v25
	v_and_b32_e32 v6, 31, v33
	v_mov_b32_e32 v7, 0x4200
	v_and_b32_e32 v10, 63, v5
	v_add_u32_e32 v5, 8, v25
	v_lshl_or_b32 v29, v6, 2, v7
	v_min_f64 v[3:4], v[3:4], v[1:2]
	v_cvt_f64_u32_e32 v[5:6], v5
	v_add_u32_e32 v7, 16, v25
	v_cvt_f64_u32_e32 v[7:8], v7
	v_or_b32_e32 v11, s11, v10
	v_min_f64 v[5:6], v[5:6], v[1:2]
	v_min_i32_e32 v11, s16, v11
	v_min_f64 v[7:8], v[7:8], v[1:2]
	v_mad_u64_u32 v[11:12], s[16:17], v11, s15, v[0:1]
	v_cvt_i32_f64_e32 v3, v[3:4]
	v_lshl_or_b32 v0, v10, 4, v9
	v_add_u32_e32 v0, 0x6a40, v0
	buffer_store_dword v11, off, s[20:23], 0 offset:496 ; 4-byte Folded Spill
	s_nop 0
	buffer_store_dword v12, off, s[20:23], 0 offset:500 ; 4-byte Folded Spill
	buffer_store_dword v0, off, s[20:23], 0 offset:284 ; 4-byte Folded Spill
	v_cvt_i32_f64_e32 v0, v[5:6]
	v_mul_lo_u32 v3, s15, v3
	v_lshlrev_b32_e32 v4, 7, v26
	buffer_store_dword v4, off, s[20:23], 0 offset:292 ; 4-byte Folded Spill
	v_mul_lo_u32 v0, s15, v0
	buffer_store_dword v3, off, s[20:23], 0 offset:288 ; 4-byte Folded Spill
	v_cvt_i32_f64_e32 v3, v[7:8]
	buffer_store_dword v25, off, s[20:23], 0 offset:528 ; 4-byte Folded Spill
	buffer_store_dword v0, off, s[20:23], 0 offset:296 ; 4-byte Folded Spill
	v_lshrrev_b32_e32 v28, 5, v33
	v_mul_lo_u32 v0, s15, v3
	v_add_u32_e32 v13, 8, v26
	v_add_u32_e32 v14, 16, v26
	;; [unrolled: 1-line block ×3, first 2 shown]
	buffer_store_dword v0, off, s[20:23], 0 offset:300 ; 4-byte Folded Spill
	v_add_u32_e32 v0, 24, v25
	v_cvt_f64_u32_e32 v[3:4], v0
	v_add_u32_e32 v0, 32, v25
	v_cvt_f64_u32_e32 v[5:6], v0
	;; [unrolled: 2-line block ×3, first 2 shown]
	v_min_f64 v[3:4], v[3:4], v[1:2]
	v_add_u32_e32 v0, 48, v25
	v_min_f64 v[5:6], v[5:6], v[1:2]
	v_min_f64 v[7:8], v[7:8], v[1:2]
	v_cvt_f64_u32_e32 v[9:10], v0
	v_add_u32_e32 v0, 56, v25
	v_cvt_f64_u32_e32 v[11:12], v0
	v_add_u32_e32 v16, 32, v26
	v_cvt_i32_f64_e32 v25, v[3:4]
	v_min_f64 v[3:4], v[9:10], v[1:2]
	v_cvt_i32_f64_e32 v5, v[5:6]
	v_cvt_i32_f64_e32 v6, v[7:8]
	v_min_f64 v[0:1], v[11:12], v[1:2]
	v_add_u32_e32 v17, 40, v26
	v_add_u32_e32 v18, 48, v26
	;; [unrolled: 1-line block ×3, first 2 shown]
	v_mul_lo_u32 v2, s15, v25
	v_cvt_i32_f64_e32 v3, v[3:4]
	v_mul_lo_u32 v4, s15, v6
	v_mul_lo_u32 v5, s15, v5
	v_cvt_i32_f64_e32 v0, v[0:1]
	v_mul_lo_u32 v3, s15, v3
	buffer_store_dword v4, off, s[20:23], 0 offset:312 ; 4-byte Folded Spill
	v_lshlrev_b32_e32 v4, 2, v28
	v_add3_u32 v4, v34, v4, s1
	buffer_store_dword v4, off, s[20:23], 0 offset:324 ; 4-byte Folded Spill
	v_add_u32_e32 v4, 32, v33
	v_lshrrev_b32_e32 v11, 3, v4
	v_lshlrev_b32_e32 v6, 2, v4
	v_and_b32_e32 v4, 60, v11
	v_add3_u32 v4, v34, v4, s1
	buffer_store_dword v4, off, s[20:23], 0 offset:328 ; 4-byte Folded Spill
	v_add_u32_e32 v4, 64, v33
	v_lshlrev_b32_e32 v7, 2, v4
	v_lshrrev_b32_e32 v4, 3, v4
	v_and_b32_e32 v8, 60, v4
	v_add3_u32 v8, v34, v8, s1
	buffer_store_dword v8, off, s[20:23], 0 offset:332 ; 4-byte Folded Spill
	v_add_u32_e32 v8, 0x60, v33
	v_lshlrev_b32_e32 v9, 2, v8
	v_lshrrev_b32_e32 v8, 3, v8
	v_and_b32_e32 v10, 60, v8
	v_add3_u32 v10, v34, v10, s1
	buffer_store_dword v10, off, s[20:23], 0 offset:336 ; 4-byte Folded Spill
	v_lshlrev_b32_e32 v10, 5, v13
	buffer_store_dword v10, off, s[20:23], 0 offset:232 ; 4-byte Folded Spill
	v_lshlrev_b32_e32 v10, 5, v14
	;; [unrolled: 2-line block ×7, first 2 shown]
	buffer_store_dword v10, off, s[20:23], 0 offset:256 ; 4-byte Folded Spill
	v_mov_b32_e32 v10, 0x1080
	v_mad_u32_u24 v10, v33, s0, v10
	buffer_store_dword v10, off, s[20:23], 0 offset:260 ; 4-byte Folded Spill
	v_mov_b32_e32 v10, 0x2100
	v_mad_u32_u24 v10, v33, s0, v10
	v_mul_lo_u32 v0, s15, v0
	buffer_store_dword v10, off, s[20:23], 0 offset:264 ; 4-byte Folded Spill
	v_mov_b32_e32 v10, 0x3180
	v_and_b32_e32 v22, 28, v34
	v_mad_u32_u24 v10, v33, s0, v10
	v_cndmask_b32_e64 v21, 0, 1, vcc
	buffer_store_dword v10, off, s[20:23], 0 offset:268 ; 4-byte Folded Spill
	v_mov_b32_e32 v10, s3
	v_add_co_u32_e32 v12, vcc, s2, v22
	v_lshlrev_b32_e32 v23, 7, v13
	v_addc_co_u32_e32 v13, vcc, 0, v10, vcc
	v_mad_u32_u24 v10, v33, s0, 64
	buffer_store_dword v2, off, s[20:23], 0 offset:304 ; 4-byte Folded Spill
	buffer_store_dword v5, off, s[20:23], 0 offset:308 ; 4-byte Folded Spill
	;; [unrolled: 1-line block ×6, first 2 shown]
	s_nop 0
	buffer_store_dword v13, off, s[20:23], 0 offset:344 ; 4-byte Folded Spill
	buffer_store_dword v10, off, s[20:23], 0 offset:512 ; 4-byte Folded Spill
	v_mov_b32_e32 v10, 0x6a40
	v_lshl_add_u32 v10, v26, 4, v10
	v_lshlrev_b32_e32 v8, 2, v8
	v_lshlrev_b32_e32 v4, 2, v4
	buffer_store_dword v10, off, s[20:23], 0 offset:516 ; 4-byte Folded Spill
	buffer_store_dword v8, off, s[20:23], 0 offset:128 ; 4-byte Folded Spill
	;; [unrolled: 1-line block ×4, first 2 shown]
	v_lshlrev_b32_e32 v4, 2, v11
	v_lshrrev_b32_e32 v30, 3, v33
	buffer_store_dword v4, off, s[20:23], 0 offset:136 ; 4-byte Folded Spill
	buffer_store_dword v30, off, s[20:23], 0 offset:504 ; 4-byte Folded Spill
	v_lshlrev_b32_e32 v4, 2, v20
	buffer_store_dword v4, off, s[20:23], 0 offset:520 ; 4-byte Folded Spill
	v_lshlrev_b32_e32 v4, 2, v21
	;; [unrolled: 2-line block ×4, first 2 shown]
	v_lshlrev_b32_e32 v2, 7, v15
	v_lshlrev_b32_e32 v1, 7, v17
	buffer_store_dword v4, off, s[20:23], 0 offset:276 ; 4-byte Folded Spill
	v_lshlrev_b32_e32 v4, 2, v9
	v_mov_b32_e32 v27, 0
	v_lshlrev_b32_e32 v24, 7, v14
	v_lshlrev_b32_e32 v5, 7, v16
	;; [unrolled: 1-line block ×3, first 2 shown]
	buffer_store_dword v4, off, s[20:23], 0 offset:280 ; 4-byte Folded Spill
	v_add_u32_e32 v4, v29, v23
	v_add_u32_e32 v2, v29, v2
	;; [unrolled: 1-line block ×3, first 2 shown]
	v_lshlrev_b32_e32 v0, 7, v19
	v_mov_b32_e32 v28, v27
	buffer_store_dword v4, off, s[20:23], 0 offset:348 ; 4-byte Folded Spill
	v_add_u32_e32 v4, v29, v24
	buffer_store_dword v2, off, s[20:23], 0 offset:356 ; 4-byte Folded Spill
	v_add_u32_e32 v2, v29, v5
	;; [unrolled: 2-line block ×3, first 2 shown]
	v_lshlrev_b32_e32 v127, 2, v30
	buffer_store_dword v4, off, s[20:23], 0 offset:352 ; 4-byte Folded Spill
	buffer_store_dword v2, off, s[20:23], 0 offset:360 ; 4-byte Folded Spill
	;; [unrolled: 1-line block ×4, first 2 shown]
	v_add_u32_e32 v0, v29, v0
	v_mov_b32_e32 v46, v28
	v_mov_b32_e32 v38, v28
	;; [unrolled: 1-line block ×16, first 2 shown]
	s_movk_i32 s5, 0x90
	s_mov_b32 s15, 0x30303030
	v_mov_b32_e32 v45, v27
	v_mov_b32_e32 v37, v27
	;; [unrolled: 1-line block ×16, first 2 shown]
	buffer_store_dword v0, off, s[20:23], 0 offset:372 ; 4-byte Folded Spill
	buffer_store_dword v26, off, s[20:23], 0 offset:384 ; 4-byte Folded Spill
	;; [unrolled: 1-line block ×5, first 2 shown]
.LBB151_5:                              ; =>This Loop Header: Depth=1
                                        ;     Child Loop BB151_6 Depth 2
                                        ;     Child Loop BB151_8 Depth 2
	buffer_store_dword v13, off, s[20:23], 0 offset:112 ; 4-byte Folded Spill
	s_nop 0
	buffer_store_dword v14, off, s[20:23], 0 offset:116 ; 4-byte Folded Spill
	buffer_store_dword v9, off, s[20:23], 0 offset:104 ; 4-byte Folded Spill
	s_nop 0
	buffer_store_dword v10, off, s[20:23], 0 offset:108 ; 4-byte Folded Spill
	;; [unrolled: 3-line block ×10, first 2 shown]
	buffer_store_dword v35, off, s[20:23], 0 ; 4-byte Folded Spill
	s_nop 0
	buffer_store_dword v36, off, s[20:23], 0 offset:4 ; 4-byte Folded Spill
	buffer_load_dword v0, off, s[20:23], 0 offset:388 ; 4-byte Folded Reload
	buffer_load_dword v6, off, s[20:23], 0 offset:392 ; 4-byte Folded Reload
	;; [unrolled: 1-line block ×4, first 2 shown]
	s_mul_i32 s0, s7, 0x90
	s_mul_hi_u32 s1, s7, 0x90
	s_add_u32 s0, s9, s0
	s_addc_u32 s1, s14, s1
	v_mov_b32_e32 v3, s1
	v_mov_b32_e32 v2, s0
	s_lshl_b32 s16, s7, 3
	v_mov_b32_e32 v36, v12
	s_mov_b32 s18, 0
	v_mov_b32_e32 v35, v11
	s_waitcnt vmcnt(3)
	v_mad_u64_u32 v[4:5], s[0:1], v0, s5, v[2:3]
	v_mul_i32_i24_e32 v0, s4, v26
	v_mad_u64_u32 v[0:1], s[0:1], v0, s5, v[4:5]
	s_waitcnt vmcnt(2)
	v_add_co_u32_e32 v0, vcc, v0, v6
	v_addc_co_u32_e32 v1, vcc, 0, v1, vcc
	global_load_dword v0, v[0:1], off offset:16
	s_waitcnt vmcnt(0)
	ds_write_b32 v7, v0
	buffer_load_dword v0, off, s[20:23], 0 offset:400 ; 4-byte Folded Reload
	s_waitcnt vmcnt(0)
	v_mad_u64_u32 v[0:1], s[0:1], v0, s5, v[4:5]
	v_add_co_u32_e32 v0, vcc, v0, v6
	v_addc_co_u32_e32 v1, vcc, 0, v1, vcc
	global_load_dword v0, v[0:1], off offset:16
	v_add_u32_e32 v1, 0x420, v7
	s_waitcnt vmcnt(0)
	ds_write_b32 v1, v0
	buffer_load_dword v0, off, s[20:23], 0 offset:404 ; 4-byte Folded Reload
	s_waitcnt vmcnt(0)
	v_mad_u64_u32 v[0:1], s[0:1], v0, s5, v[4:5]
	v_add_co_u32_e32 v0, vcc, v0, v6
	v_addc_co_u32_e32 v1, vcc, 0, v1, vcc
	global_load_dword v0, v[0:1], off offset:16
	v_add_u32_e32 v1, 0x840, v7
	;; [unrolled: 9-line block ×15, first 2 shown]
	buffer_load_dword v6, off, s[20:23], 0 offset:472 ; 4-byte Folded Reload
	buffer_load_dword v7, off, s[20:23], 0 offset:520 ; 4-byte Folded Reload
	s_waitcnt vmcnt(2)
	ds_write_b32 v1, v0
	buffer_load_dword v0, off, s[20:23], 0 offset:460 ; 4-byte Folded Reload
	s_waitcnt vmcnt(0)
	v_mad_u64_u32 v[0:1], s[0:1], v0, s5, v[2:3]
	global_load_dword v0, v[0:1], off
	s_nop 0
	buffer_load_dword v1, off, s[20:23], 0 offset:464 ; 4-byte Folded Reload
	s_waitcnt vmcnt(0)
	ds_write_b32 v1, v0
	buffer_load_dword v0, off, s[20:23], 0 offset:476 ; 4-byte Folded Reload
	s_waitcnt vmcnt(0)
	v_mad_u64_u32 v[0:1], s[0:1], v0, s5, v[2:3]
	v_add_co_u32_e32 v4, vcc, v0, v7
	v_addc_co_u32_e32 v5, vcc, 0, v1, vcc
	v_add_co_u32_e32 v0, vcc, v0, v8
	v_addc_co_u32_e32 v1, vcc, 0, v1, vcc
	global_load_dword v4, v[4:5], off offset:4
	s_nop 0
	global_load_dword v0, v[0:1], off offset:4
	s_waitcnt vmcnt(0)
	v_ashrrev_i32_e32 v0, v6, v0
	buffer_load_dword v5, off, s[20:23], 0 offset:468 ; 4-byte Folded Reload
	buffer_load_dword v1, off, s[20:23], 0 offset:480 ; 4-byte Folded Reload
	s_waitcnt vmcnt(1)
	v_ashrrev_i32_e32 v4, v5, v4
	v_and_b32_e32 v4, 0xf0f0f0f, v4
	v_and_or_b32 v0, v0, s15, v4
	s_waitcnt vmcnt(0)
	ds_write_b32 v1, v0
	buffer_load_dword v0, off, s[20:23], 0 offset:484 ; 4-byte Folded Reload
	s_waitcnt vmcnt(0)
	v_mad_u64_u32 v[0:1], s[0:1], v0, s5, v[2:3]
	v_add_co_u32_e32 v2, vcc, v0, v7
	v_addc_co_u32_e32 v3, vcc, 0, v1, vcc
	v_add_co_u32_e32 v0, vcc, v0, v8
	global_load_dword v2, v[2:3], off offset:4
	v_addc_co_u32_e32 v1, vcc, 0, v1, vcc
	global_load_dword v0, v[0:1], off offset:4
	s_waitcnt vmcnt(1)
	v_ashrrev_i32_e32 v2, v5, v2
	buffer_load_dword v1, off, s[20:23], 0 offset:488 ; 4-byte Folded Reload
	v_and_b32_e32 v2, 0xf0f0f0f, v2
	s_waitcnt vmcnt(1)
	v_ashrrev_i32_e32 v0, v6, v0
	v_and_or_b32 v0, v0, s15, v2
	s_waitcnt vmcnt(0)
	ds_write_b32 v1, v0
	buffer_load_dword v0, off, s[20:23], 0 offset:496 ; 4-byte Folded Reload
	buffer_load_dword v1, off, s[20:23], 0 offset:500 ; 4-byte Folded Reload
	s_waitcnt vmcnt(1)
	v_add_u32_e32 v6, s16, v0
	buffer_load_dword v0, off, s[20:23], 0 offset:504 ; 4-byte Folded Reload
	s_waitcnt vmcnt(0)
	v_add_u32_e32 v2, s16, v0
	buffer_load_dword v0, off, s[20:23], 0 offset:288 ; 4-byte Folded Reload
	buffer_load_dword v4, off, s[20:23], 0 offset:340 ; 4-byte Folded Reload
	;; [unrolled: 1-line block ×3, first 2 shown]
	s_waitcnt vmcnt(2)
	v_add_u32_e32 v0, v2, v0
	s_waitcnt vmcnt(0)
	v_mad_i64_i32 v[0:1], s[0:1], v0, 36, v[4:5]
	global_load_dword v0, v[0:1], off offset:4
	s_nop 0
	buffer_load_dword v1, off, s[20:23], 0 offset:492 ; 4-byte Folded Reload
	buffer_load_dword v3, off, s[20:23], 0 offset:292 ; 4-byte Folded Reload
	s_waitcnt vmcnt(0)
	v_add_u32_e32 v1, v1, v3
	ds_write_b32 v1, v0
	buffer_load_dword v0, off, s[20:23], 0 offset:296 ; 4-byte Folded Reload
	s_waitcnt vmcnt(0)
	v_add_u32_e32 v0, v2, v0
	buffer_store_dword v1, off, s[20:23], 0 offset:380 ; 4-byte Folded Spill
	v_mad_i64_i32 v[0:1], s[0:1], v0, 36, v[4:5]
	buffer_store_dword v6, off, s[20:23], 0 offset:376 ; 4-byte Folded Spill
	global_load_dword v0, v[0:1], off offset:4
	s_nop 0
	buffer_load_dword v1, off, s[20:23], 0 offset:348 ; 4-byte Folded Reload
	s_waitcnt vmcnt(0)
	ds_write_b32 v1, v0
	buffer_load_dword v0, off, s[20:23], 0 offset:300 ; 4-byte Folded Reload
	s_waitcnt vmcnt(0)
	v_add_u32_e32 v0, v2, v0
	v_mad_i64_i32 v[0:1], s[0:1], v0, 36, v[4:5]
	global_load_dword v0, v[0:1], off offset:4
	s_nop 0
	buffer_load_dword v1, off, s[20:23], 0 offset:352 ; 4-byte Folded Reload
	s_waitcnt vmcnt(0)
	ds_write_b32 v1, v0
	buffer_load_dword v0, off, s[20:23], 0 offset:304 ; 4-byte Folded Reload
	s_waitcnt vmcnt(0)
	v_add_u32_e32 v0, v2, v0
	v_mad_i64_i32 v[0:1], s[0:1], v0, 36, v[4:5]
	;; [unrolled: 9-line block ×6, first 2 shown]
	global_load_dword v0, v[0:1], off offset:4
	s_nop 0
	buffer_load_dword v1, off, s[20:23], 0 offset:372 ; 4-byte Folded Reload
	s_waitcnt vmcnt(0)
	ds_write_b32 v1, v0
	v_mad_u64_u32 v[0:1], s[0:1], v6, 36, s[2:3]
	s_mov_b64 s[0:1], -1
	global_load_dword v0, v[0:1], off
	s_nop 0
	buffer_load_dword v1, off, s[20:23], 0 offset:284 ; 4-byte Folded Reload
	s_waitcnt vmcnt(0)
	ds_write_b32 v1, v0
	s_waitcnt lgkmcnt(0)
	s_barrier
	buffer_load_dword v0, off, s[20:23], 0 offset:324 ; 4-byte Folded Reload
	s_waitcnt vmcnt(0)
	ds_read_b32 v0, v0
	s_waitcnt lgkmcnt(0)
	v_cvt_f32_f16_e32 v1, v0
	v_cvt_f32_f16_sdwa v3, v0 dst_sel:DWORD dst_unused:UNUSED_PAD src0_sel:WORD_1
	buffer_load_dword v0, off, s[20:23], 0 offset:328 ; 4-byte Folded Reload
	s_waitcnt vmcnt(0)
	ds_read_b32 v0, v0 offset:128
	s_waitcnt lgkmcnt(0)
	v_cvt_f32_f16_e32 v2, v0
	v_cvt_f32_f16_sdwa v5, v0 dst_sel:DWORD dst_unused:UNUSED_PAD src0_sel:WORD_1
	buffer_load_dword v0, off, s[20:23], 0 offset:332 ; 4-byte Folded Reload
	s_waitcnt vmcnt(0)
	ds_read_b32 v0, v0 offset:256
	;; [unrolled: 6-line block ×3, first 2 shown]
	s_waitcnt lgkmcnt(0)
	v_cvt_f32_f16_e32 v6, v0
	v_cvt_f32_f16_sdwa v0, v0 dst_sel:DWORD dst_unused:UNUSED_PAD src0_sel:WORD_1
	buffer_store_dword v1, off, s[20:23], 0 offset:168 ; 4-byte Folded Spill
	buffer_store_dword v1, off, s[20:23], 0 offset:196 ; 4-byte Folded Spill
	;; [unrolled: 1-line block ×16, first 2 shown]
.LBB151_6:                              ;   Parent Loop BB151_5 Depth=1
                                        ; =>  This Inner Loop Header: Depth=2
	buffer_store_dword v29, off, s[20:23], 0 offset:32 ; 4-byte Folded Spill
	s_nop 0
	buffer_store_dword v30, off, s[20:23], 0 offset:36 ; 4-byte Folded Spill
	buffer_store_dword v23, off, s[20:23], 0 offset:56 ; 4-byte Folded Spill
	s_nop 0
	buffer_store_dword v24, off, s[20:23], 0 offset:60 ; 4-byte Folded Spill
	;; [unrolled: 3-line block ×4, first 2 shown]
	buffer_load_dword v0, off, s[20:23], 0 offset:228 ; 4-byte Folded Reload
	s_lshl_b32 s17, s18, 1
	s_lshr_b32 s19, s18, 2
	s_addk_i32 s19, 0x6200
	s_lshl_b32 s18, s18, 2
	s_and_b64 vcc, exec, s[0:1]
	s_mov_b64 s[0:1], 0
	s_waitcnt vmcnt(0)
	v_or_b32_e32 v0, s17, v0
	v_lshlrev_b32_e32 v1, 2, v0
	v_lshrrev_b32_e32 v0, 1, v0
	ds_read_b128 v[14:17], v1 offset:16896
	ds_read_b128 v[10:13], v1 offset:16912
	;; [unrolled: 1-line block ×4, first 2 shown]
	ds_read_b64 v[53:54], v0 offset:27200
	v_lshlrev_b32_e32 v0, 2, v34
	v_add3_u32 v24, s19, v127, v0
	v_mul_u32_u24_e32 v0, 0x84, v33
	v_add_u32_e32 v22, s18, v0
	ds_read2_b32 v[0:1], v22 offset1:1
	s_waitcnt lgkmcnt(0)
	v_and_b32_e32 v89, 0xf0f0f0f, v0
	v_dot4_i32_i8 v18, v89, v14, 0
	v_and_b32_e32 v91, 0xf0f0f0f, v1
	v_dot4_i32_i8 v20, v91, v15, v18
	ds_read2_b32 v[18:19], v22 offset0:2 offset1:3
	v_lshrrev_b32_e32 v0, 4, v0
	v_and_b32_e32 v100, 0xf0f0f0f, v0
	v_lshrrev_b32_e32 v1, 4, v1
	v_dot4_i32_i8 v0, v100, v6, 0
	s_waitcnt lgkmcnt(0)
	v_and_b32_e32 v92, 0xf0f0f0f, v18
	v_dot4_i32_i8 v20, v92, v16, v20
	v_and_b32_e32 v93, 0xf0f0f0f, v19
	v_dot4_i32_i8 v23, v93, v17, v20
	ds_read2_b32 v[20:21], v22 offset0:4 offset1:5
	v_and_b32_e32 v102, 0xf0f0f0f, v1
	v_lshrrev_b32_e32 v1, 4, v18
	v_dot4_i32_i8 v0, v102, v7, v0
	v_and_b32_e32 v119, 0xf0f0f0f, v1
	s_waitcnt lgkmcnt(0)
	v_and_b32_e32 v95, 0xf0f0f0f, v20
	v_dot4_i32_i8 v23, v95, v10, v23
	v_and_b32_e32 v96, 0xf0f0f0f, v21
	v_dot4_i32_i8 v25, v96, v11, v23
	ds_read2_b32 v[22:23], v22 offset0:6 offset1:7
	v_lshrrev_b32_e32 v1, 4, v19
	v_dot4_i32_i8 v0, v119, v8, v0
	v_and_b32_e32 v120, 0xf0f0f0f, v1
	v_lshrrev_b32_e32 v1, 4, v20
	v_dot4_i32_i8 v0, v120, v9, v0
	v_and_b32_e32 v125, 0xf0f0f0f, v1
	;; [unrolled: 3-line block ×3, first 2 shown]
	s_waitcnt lgkmcnt(0)
	v_lshrrev_b32_e32 v1, 4, v22
	v_and_b32_e32 v97, 0xf0f0f0f, v22
	v_dot4_i32_i8 v0, v126, v3, v0
	v_and_b32_e32 v127, 0xf0f0f0f, v1
	v_lshrrev_b32_e32 v1, 4, v23
	v_dot4_i32_i8 v25, v97, v12, v25
	v_and_b32_e32 v98, 0xf0f0f0f, v23
	v_dot4_i32_i8 v0, v127, v4, v0
	v_and_b32_e32 v57, 0xf0f0f0f, v1
	v_dot4_i32_i8 v72, v98, v13, v25
	ds_read_u16 v25, v24
	ds_read_u16 v24, v24 offset:8
	v_dot4_i32_i8 v19, v57, v5, v0
	buffer_load_dword v0, off, s[20:23], 0 offset:136 ; 4-byte Folded Reload
	buffer_load_dword v1, off, s[20:23], 0 offset:272 ; 4-byte Folded Reload
	s_waitcnt lgkmcnt(1)
	v_and_b32_e32 v94, 0xff, v25
	s_waitcnt lgkmcnt(0)
	v_cvt_f32_ubyte0_e32 v87, v24
	v_lshrrev_b16_e32 v124, 8, v25
	v_cvt_f32_ubyte1_e32 v101, v24
	v_mul_lo_u32 v72, v72, v94
	v_mul_lo_u32 v19, v19, v124
	v_fma_mix_f32 v30, v87, v53, 0 op_sel:[0,1,0] op_sel_hi:[0,1,0]
	v_cvt_f32_i32_e32 v72, v72
	v_cvt_f32_i32_e32 v19, v19
	v_fma_mix_f32 v72, v53, v72, 0 op_sel_hi:[1,0,0]
	v_fma_mix_f32 v19, v54, v19, v72 op_sel_hi:[1,0,0]
	s_waitcnt vmcnt(0)
	v_add3_u32 v18, s19, v0, v1
	buffer_load_dword v0, off, s[20:23], 0 offset:260 ; 4-byte Folded Reload
	s_waitcnt vmcnt(0)
	v_add_u32_e32 v20, s18, v0
	ds_read2_b32 v[0:1], v20 offset1:1
	ds_read2_b32 v[22:23], v20 offset0:2 offset1:3
	ds_read2_b32 v[24:25], v20 offset0:4 offset1:5
	;; [unrolled: 1-line block ×3, first 2 shown]
	s_waitcnt lgkmcnt(3)
	v_and_b32_e32 v88, 0xf0f0f0f, v0
	v_lshrrev_b32_e32 v0, 4, v0
	v_and_b32_e32 v76, 0xf0f0f0f, v1
	v_and_b32_e32 v103, 0xf0f0f0f, v0
	v_lshrrev_b32_e32 v1, 4, v1
	v_dot4_i32_i8 v21, v88, v14, 0
	v_dot4_i32_i8 v0, v103, v6, 0
	v_and_b32_e32 v105, 0xf0f0f0f, v1
	s_waitcnt lgkmcnt(2)
	v_lshrrev_b32_e32 v1, 4, v22
	v_dot4_i32_i8 v21, v76, v15, v21
	v_and_b32_e32 v90, 0xf0f0f0f, v22
	v_dot4_i32_i8 v0, v105, v7, v0
	v_and_b32_e32 v106, 0xf0f0f0f, v1
	v_lshrrev_b32_e32 v1, 4, v23
	v_dot4_i32_i8 v21, v90, v16, v21
	v_and_b32_e32 v60, 0xf0f0f0f, v23
	v_dot4_i32_i8 v0, v106, v8, v0
	v_and_b32_e32 v107, 0xf0f0f0f, v1
	s_waitcnt lgkmcnt(1)
	v_lshrrev_b32_e32 v1, 4, v24
	v_dot4_i32_i8 v21, v60, v17, v21
	v_and_b32_e32 v77, 0xf0f0f0f, v24
	v_dot4_i32_i8 v0, v107, v9, v0
	v_and_b32_e32 v109, 0xf0f0f0f, v1
	v_lshrrev_b32_e32 v1, 4, v25
	v_dot4_i32_i8 v21, v77, v10, v21
	v_and_b32_e32 v59, 0xf0f0f0f, v25
	;; [unrolled: 11-line block ×3, first 2 shown]
	v_dot4_i32_i8 v0, v111, v4, v0
	v_and_b32_e32 v112, 0xf0f0f0f, v1
	v_dot4_i32_i8 v21, v34, v13, v20
	ds_read_u16 v20, v18
	ds_read_u16 v18, v18 offset:8
	v_dot4_i32_i8 v22, v112, v5, v0
	buffer_load_dword v0, off, s[20:23], 0 offset:132 ; 4-byte Folded Reload
	buffer_load_dword v1, off, s[20:23], 0 offset:276 ; 4-byte Folded Reload
	s_waitcnt lgkmcnt(1)
	v_and_b32_e32 v61, 0xff, v20
	s_waitcnt lgkmcnt(0)
	v_cvt_f32_ubyte0_e32 v58, v18
	v_cvt_f32_ubyte1_e32 v104, v18
	v_lshrrev_b16_e32 v108, 8, v20
	v_mul_lo_u32 v21, v21, v61
	v_mul_lo_u32 v22, v22, v108
	v_cvt_f32_i32_e32 v21, v21
	v_cvt_f32_i32_e32 v22, v22
	v_fma_mix_f32 v21, v53, v21, 0 op_sel_hi:[1,0,0]
	v_fma_mix_f32 v21, v54, v22, v21 op_sel_hi:[1,0,0]
	s_waitcnt vmcnt(0)
	v_add3_u32 v1, s19, v0, v1
	buffer_load_dword v0, off, s[20:23], 0 offset:264 ; 4-byte Folded Reload
	s_waitcnt vmcnt(0)
	v_add_u32_e32 v18, s18, v0
	ds_read2_b32 v[24:25], v18 offset1:1
	ds_read2_b32 v[55:56], v18 offset0:2 offset1:3
	ds_read2_b32 v[67:68], v18 offset0:4 offset1:5
	;; [unrolled: 1-line block ×3, first 2 shown]
	s_waitcnt lgkmcnt(3)
	v_and_b32_e32 v118, 0xf0f0f0f, v24
	v_dot4_i32_i8 v0, v118, v14, 0
	v_and_b32_e32 v121, 0xf0f0f0f, v25
	v_dot4_i32_i8 v0, v121, v15, v0
	s_waitcnt lgkmcnt(2)
	v_and_b32_e32 v122, 0xf0f0f0f, v55
	v_dot4_i32_i8 v0, v122, v16, v0
	v_and_b32_e32 v123, 0xf0f0f0f, v56
	v_dot4_i32_i8 v20, v123, v17, v0
	;; [unrolled: 5-line block ×4, first 2 shown]
	ds_read_u16 v18, v1
	ds_read_u16 v1, v1 offset:8
	v_lshrrev_b32_e32 v20, 4, v24
	v_lshrrev_b32_e32 v24, 4, v25
	v_and_b32_e32 v65, 0xf0f0f0f, v24
	s_waitcnt lgkmcnt(1)
	v_and_b32_e32 v115, 0xff, v18
	s_waitcnt lgkmcnt(0)
	v_cvt_f32_ubyte0_e32 v117, v1
	v_lshrrev_b16_e32 v79, 8, v18
	v_cvt_f32_ubyte1_e32 v64, v1
	buffer_load_dword v1, off, s[20:23], 0 offset:128 ; 4-byte Folded Reload
	buffer_load_dword v18, off, s[20:23], 0 offset:280 ; 4-byte Folded Reload
	v_lshrrev_b32_e32 v24, 4, v55
	v_and_b32_e32 v78, 0xf0f0f0f, v24
	v_lshrrev_b32_e32 v24, 4, v56
	v_and_b32_e32 v63, 0xf0f0f0f, v20
	v_and_b32_e32 v66, 0xf0f0f0f, v24
	v_lshrrev_b32_e32 v24, 4, v67
	v_dot4_i32_i8 v20, v63, v6, 0
	v_and_b32_e32 v67, 0xf0f0f0f, v24
	v_lshrrev_b32_e32 v24, 4, v68
	v_dot4_i32_i8 v20, v65, v7, v20
	;; [unrolled: 3-line block ×3, first 2 shown]
	v_dot4_i32_i8 v20, v66, v9, v20
	v_dot4_i32_i8 v20, v67, v2, v20
	;; [unrolled: 1-line block ×3, first 2 shown]
	v_and_b32_e32 v82, 0xf0f0f0f, v24
	v_lshrrev_b32_e32 v24, 4, v70
	v_dot4_i32_i8 v20, v82, v4, v20
	v_and_b32_e32 v83, 0xf0f0f0f, v24
	v_dot4_i32_i8 v24, v83, v5, v20
	v_mul_lo_u32 v24, v24, v79
	v_cvt_f32_i32_e32 v24, v24
	s_waitcnt vmcnt(0)
	v_add3_u32 v1, s19, v1, v18
	buffer_load_dword v18, off, s[20:23], 0 offset:268 ; 4-byte Folded Reload
	s_waitcnt vmcnt(0)
	v_add_u32_e32 v25, s18, v18
	ds_read2_b32 v[55:56], v25 offset1:1
	s_mov_b32 s18, 8
	s_waitcnt lgkmcnt(0)
	v_and_b32_e32 v18, 0xf0f0f0f, v55
	v_dot4_i32_i8 v14, v18, v14, 0
	v_and_b32_e32 v69, 0xf0f0f0f, v56
	v_dot4_i32_i8 v26, v69, v15, v14
	ds_read2_b32 v[14:15], v25 offset0:2 offset1:3
	s_waitcnt lgkmcnt(0)
	v_and_b32_e32 v20, 0xf0f0f0f, v14
	v_dot4_i32_i8 v16, v20, v16, v26
	v_and_b32_e32 v84, 0xf0f0f0f, v15
	v_dot4_i32_i8 v26, v84, v17, v16
	ds_read2_b32 v[16:17], v25 offset0:4 offset1:5
	;; [unrolled: 6-line block ×3, first 2 shown]
	s_waitcnt lgkmcnt(0)
	v_and_b32_e32 v70, 0xf0f0f0f, v10
	v_dot4_i32_i8 v12, v70, v12, v26
	v_and_b32_e32 v71, 0xf0f0f0f, v11
	v_dot4_i32_i8 v25, v71, v13, v12
	ds_read_u16 v12, v1
	ds_read_u16 v13, v1 offset:8
	v_lshrrev_b32_e32 v1, 4, v55
	v_and_b32_e32 v1, 0xf0f0f0f, v1
	v_lshrrev_b32_e32 v26, 4, v56
	v_dot4_i32_i8 v6, v1, v6, 0
	v_and_b32_e32 v81, 0xf0f0f0f, v26
	v_dot4_i32_i8 v6, v81, v7, v6
	v_lshrrev_b32_e32 v7, 4, v14
	v_and_b32_e32 v80, 0xf0f0f0f, v7
	v_lshrrev_b32_e32 v7, 4, v15
	v_dot4_i32_i8 v6, v80, v8, v6
	v_and_b32_e32 v86, 0xf0f0f0f, v7
	v_lshrrev_b32_e32 v7, 4, v16
	v_dot4_i32_i8 v6, v86, v9, v6
	v_and_b32_e32 v99, 0xf0f0f0f, v7
	v_dot4_i32_i8 v2, v99, v2, v6
	v_lshrrev_b32_e32 v6, 4, v17
	v_and_b32_e32 v75, 0xf0f0f0f, v6
	v_dot4_i32_i8 v2, v75, v3, v2
	v_lshrrev_b32_e32 v3, 4, v10
	v_and_b32_e32 v74, 0xf0f0f0f, v3
	v_lshrrev_b32_e32 v3, 4, v11
	v_dot4_i32_i8 v2, v74, v4, v2
	v_and_b32_e32 v73, 0xf0f0f0f, v3
	v_dot4_i32_i8 v26, v73, v5, v2
	buffer_load_dword v2, off, s[20:23], 0 offset:232 ; 4-byte Folded Reload
	s_waitcnt lgkmcnt(1)
	v_and_b32_e32 v32, 0xff, v12
	s_waitcnt lgkmcnt(0)
	v_cvt_f32_ubyte0_e32 v31, v13
	v_lshrrev_b16_e32 v52, 8, v12
	v_cvt_f32_ubyte1_e32 v51, v13
	s_waitcnt vmcnt(0)
	v_or_b32_e32 v2, s17, v2
	v_lshlrev_b32_e32 v3, 2, v2
	v_lshrrev_b32_e32 v55, 1, v2
	ds_read_b128 v[14:17], v3 offset:16896
	ds_read_b128 v[10:13], v3 offset:16912
	;; [unrolled: 1-line block ×4, first 2 shown]
	ds_read_b64 v[55:56], v55 offset:27200
	buffer_load_dword v46, off, s[20:23], 0 offset:204 ; 4-byte Folded Reload
	buffer_load_dword v40, off, s[20:23], 0 offset:176 ; 4-byte Folded Reload
	buffer_load_dword v45, off, s[20:23], 0 offset:196 ; 4-byte Folded Reload
	buffer_load_dword v39, off, s[20:23], 0 offset:168 ; 4-byte Folded Reload
	s_waitcnt lgkmcnt(4)
	v_dot4_i32_i8 v27, v89, v14, 0
	v_dot4_i32_i8 v27, v91, v15, v27
	s_waitcnt lgkmcnt(2)
	v_dot4_i32_i8 v28, v100, v6, 0
	v_dot4_i32_i8 v27, v92, v16, v27
	;; [unrolled: 1-line block ×8, first 2 shown]
	s_waitcnt lgkmcnt(1)
	v_dot4_i32_i8 v28, v125, v2, v28
	v_dot4_i32_i8 v27, v97, v12, v27
	v_dot4_i32_i8 v28, v126, v3, v28
	v_dot4_i32_i8 v27, v98, v13, v27
	v_dot4_i32_i8 v28, v127, v4, v28
	v_dot4_i32_i8 v28, v57, v5, v28
	v_mul_lo_u32 v27, v27, v94
	v_mul_lo_u32 v28, v28, v124
	s_waitcnt lgkmcnt(0)
	v_fma_mix_f32 v29, v87, v55, 0 op_sel:[0,1,0] op_sel_hi:[0,1,0]
	v_fma_mix_f32 v29, v101, v56, v29 op_sel:[0,1,0] op_sel_hi:[0,1,0]
	v_cvt_f32_i32_e32 v27, v27
	v_cvt_f32_i32_e32 v28, v28
	v_fma_mix_f32 v27, v55, v27, 0 op_sel_hi:[1,0,0]
	v_fma_mix_f32 v27, v56, v28, v27 op_sel_hi:[1,0,0]
	v_fma_mix_f32 v28, v101, v54, v30 op_sel:[0,1,0] op_sel_hi:[0,1,0]
	s_waitcnt vmcnt(3)
	v_mul_f32_e32 v29, v29, v46
	s_waitcnt vmcnt(2)
	v_mul_f32_e32 v28, v28, v40
	s_waitcnt vmcnt(1)
	v_fma_f32 v27, v27, v45, -v29
	s_waitcnt vmcnt(0)
	v_fma_f32 v19, v19, v39, -v28
	buffer_load_dword v28, off, s[20:23], 0 ; 4-byte Folded Reload
	buffer_load_dword v29, off, s[20:23], 0 offset:4 ; 4-byte Folded Reload
	s_waitcnt vmcnt(1)
	v_add_f32_e32 v28, v28, v19
	s_waitcnt vmcnt(0)
	v_add_f32_e32 v29, v29, v27
	buffer_store_dword v28, off, s[20:23], 0 ; 4-byte Folded Spill
	s_nop 0
	buffer_store_dword v29, off, s[20:23], 0 offset:4 ; 4-byte Folded Spill
	buffer_load_dword v49, off, s[20:23], 0 offset:212 ; 4-byte Folded Reload
	buffer_load_dword v43, off, s[20:23], 0 offset:184 ; 4-byte Folded Reload
	;; [unrolled: 1-line block ×4, first 2 shown]
	v_dot4_i32_i8 v19, v88, v14, 0
	v_dot4_i32_i8 v19, v76, v15, v19
	;; [unrolled: 1-line block ×16, first 2 shown]
	v_mul_lo_u32 v19, v19, v61
	v_mul_lo_u32 v27, v27, v108
	v_fma_mix_f32 v28, v58, v55, 0 op_sel:[0,1,0] op_sel_hi:[0,1,0]
	v_fma_mix_f32 v29, v58, v53, 0 op_sel:[0,1,0] op_sel_hi:[0,1,0]
	v_cvt_f32_i32_e32 v19, v19
	v_cvt_f32_i32_e32 v27, v27
	v_fma_mix_f32 v22, v104, v54, v29 op_sel:[0,1,0] op_sel_hi:[0,1,0]
	v_fma_mix_f32 v19, v55, v19, 0 op_sel_hi:[1,0,0]
	v_fma_mix_f32 v19, v56, v27, v19 op_sel_hi:[1,0,0]
	v_fma_mix_f32 v27, v104, v56, v28 op_sel:[0,1,0] op_sel_hi:[0,1,0]
	s_waitcnt vmcnt(3)
	v_mul_f32_e32 v27, v27, v49
	s_waitcnt vmcnt(2)
	v_mul_f32_e32 v22, v22, v43
	s_waitcnt vmcnt(1)
	v_fma_f32 v19, v19, v48, -v27
	buffer_load_dword v27, off, s[20:23], 0 offset:104 ; 4-byte Folded Reload
	buffer_load_dword v28, off, s[20:23], 0 offset:108 ; 4-byte Folded Reload
	s_waitcnt vmcnt(2)
	v_fma_f32 v21, v21, v42, -v22
	v_mul_lo_u32 v22, v23, v115
	v_fma_mix_f32 v23, v117, v55, 0 op_sel:[0,1,0] op_sel_hi:[0,1,0]
	v_fma_mix_f32 v23, v64, v56, v23 op_sel:[0,1,0] op_sel_hi:[0,1,0]
	v_cvt_f32_i32_e32 v22, v22
	v_fma_mix_f32 v22, v53, v22, 0 op_sel_hi:[1,0,0]
	s_waitcnt vmcnt(1)
	v_add_f32_e32 v27, v27, v21
	s_waitcnt vmcnt(0)
	v_add_f32_e32 v28, v28, v19
	buffer_store_dword v27, off, s[20:23], 0 offset:104 ; 4-byte Folded Spill
	s_nop 0
	buffer_store_dword v28, off, s[20:23], 0 offset:108 ; 4-byte Folded Spill
	buffer_load_dword v50, off, s[20:23], 0 offset:220 ; 4-byte Folded Reload
	buffer_load_dword v44, off, s[20:23], 0 offset:192 ; 4-byte Folded Reload
	;; [unrolled: 1-line block ×4, first 2 shown]
	v_dot4_i32_i8 v19, v118, v14, 0
	v_dot4_i32_i8 v19, v121, v15, v19
	;; [unrolled: 1-line block ×16, first 2 shown]
	v_mul_lo_u32 v19, v19, v115
	v_mul_lo_u32 v21, v21, v79
	v_fma_mix_f32 v27, v117, v53, 0 op_sel:[0,1,0] op_sel_hi:[0,1,0]
	v_dot4_i32_i8 v14, v18, v14, 0
	v_cvt_f32_i32_e32 v19, v19
	v_cvt_f32_i32_e32 v21, v21
	v_dot4_i32_i8 v14, v69, v15, v14
	v_dot4_i32_i8 v6, v1, v6, 0
	v_fma_mix_f32 v19, v55, v19, 0 op_sel_hi:[1,0,0]
	v_fma_mix_f32 v19, v56, v21, v19 op_sel_hi:[1,0,0]
	v_fma_mix_f32 v21, v54, v24, v22 op_sel_hi:[1,0,0]
	v_fma_mix_f32 v22, v64, v54, v27 op_sel:[0,1,0] op_sel_hi:[0,1,0]
	v_dot4_i32_i8 v14, v20, v16, v14
	v_dot4_i32_i8 v6, v81, v7, v6
	;; [unrolled: 1-line block ×13, first 2 shown]
	v_mul_lo_u32 v4, v10, v32
	v_mul_lo_u32 v3, v25, v32
	;; [unrolled: 1-line block ×4, first 2 shown]
	v_cvt_f32_i32_e32 v4, v4
	v_cvt_f32_i32_e32 v3, v3
	;; [unrolled: 1-line block ×4, first 2 shown]
	v_fma_mix_f32 v4, v55, v4, 0 op_sel_hi:[1,0,0]
	v_fma_mix_f32 v5, v31, v55, 0 op_sel:[0,1,0] op_sel_hi:[0,1,0]
	v_fma_mix_f32 v6, v31, v53, 0 op_sel:[0,1,0] op_sel_hi:[0,1,0]
	v_fma_mix_f32 v3, v53, v3, 0 op_sel_hi:[1,0,0]
	v_fma_mix_f32 v2, v56, v2, v4 op_sel_hi:[1,0,0]
	v_fma_mix_f32 v4, v51, v54, v6 op_sel:[0,1,0] op_sel_hi:[0,1,0]
	v_fma_mix_f32 v5, v51, v56, v5 op_sel:[0,1,0] op_sel_hi:[0,1,0]
	v_fma_mix_f32 v3, v54, v7, v3 op_sel_hi:[1,0,0]
	s_waitcnt vmcnt(3)
	v_mul_f32_e32 v23, v23, v50
	s_waitcnt vmcnt(2)
	v_mul_f32_e32 v22, v22, v44
	s_waitcnt vmcnt(1)
	v_fma_f32 v19, v19, v47, -v23
	s_waitcnt vmcnt(0)
	v_fma_f32 v21, v21, v41, -v22
	v_add_f32_e32 v36, v36, v19
	v_add_f32_e32 v35, v35, v21
	buffer_store_dword v35, off, s[20:23], 0 offset:144 ; 4-byte Folded Spill
	s_nop 0
	buffer_store_dword v36, off, s[20:23], 0 offset:148 ; 4-byte Folded Spill
	buffer_load_dword v37, off, s[20:23], 0 offset:224 ; 4-byte Folded Reload
	buffer_load_dword v38, off, s[20:23], 0 offset:216 ; 4-byte Folded Reload
	s_waitcnt vmcnt(1)
	v_mul_f32_e32 v5, v5, v37
	buffer_load_dword v36, off, s[20:23], 0 offset:124 ; 4-byte Folded Reload
	buffer_load_dword v35, off, s[20:23], 0 offset:188 ; 4-byte Folded Reload
	s_waitcnt vmcnt(2)
	v_fma_f32 v2, v2, v38, -v5
	s_waitcnt vmcnt(1)
	v_mul_f32_e32 v4, v4, v36
	s_waitcnt vmcnt(0)
	v_fma_f32 v3, v3, v35, -v4
	buffer_load_dword v4, off, s[20:23], 0 offset:112 ; 4-byte Folded Reload
	buffer_load_dword v5, off, s[20:23], 0 offset:116 ; 4-byte Folded Reload
	s_waitcnt vmcnt(1)
	v_add_f32_e32 v4, v4, v3
	s_waitcnt vmcnt(0)
	v_add_f32_e32 v5, v5, v2
	buffer_store_dword v4, off, s[20:23], 0 offset:112 ; 4-byte Folded Spill
	s_nop 0
	buffer_store_dword v5, off, s[20:23], 0 offset:116 ; 4-byte Folded Spill
	buffer_load_dword v2, off, s[20:23], 0 offset:236 ; 4-byte Folded Reload
	s_waitcnt vmcnt(0)
	v_or_b32_e32 v2, s17, v2
	v_lshlrev_b32_e32 v3, 2, v2
	v_lshrrev_b32_e32 v19, 1, v2
	ds_read_b128 v[14:17], v3 offset:16896
	ds_read_b128 v[10:13], v3 offset:16912
	;; [unrolled: 1-line block ×4, first 2 shown]
	ds_read_b64 v[53:54], v19 offset:27200
	s_waitcnt lgkmcnt(4)
	v_dot4_i32_i8 v19, v89, v14, 0
	v_dot4_i32_i8 v19, v91, v15, v19
	v_dot4_i32_i8 v19, v92, v16, v19
	v_dot4_i32_i8 v19, v93, v17, v19
	s_waitcnt lgkmcnt(3)
	v_dot4_i32_i8 v19, v95, v10, v19
	v_dot4_i32_i8 v19, v96, v11, v19
	v_dot4_i32_i8 v19, v97, v12, v19
	v_dot4_i32_i8 v72, v98, v13, v19
	;; [unrolled: 5-line block ×4, first 2 shown]
	v_dot4_i32_i8 v19, v88, v14, 0
	v_dot4_i32_i8 v19, v76, v15, v19
	;; [unrolled: 1-line block ×40, first 2 shown]
	buffer_load_dword v2, off, s[20:23], 0 offset:240 ; 4-byte Folded Reload
	v_dot4_i32_i8 v14, v18, v14, 0
	v_dot4_i32_i8 v14, v69, v15, v14
	;; [unrolled: 1-line block ×8, first 2 shown]
	v_mul_lo_u32 v29, v72, v94
	v_mul_lo_u32 v26, v26, v124
	s_waitcnt lgkmcnt(0)
	v_fma_mix_f32 v72, v87, v53, 0 op_sel:[0,1,0] op_sel_hi:[0,1,0]
	v_mul_lo_u32 v25, v25, v61
	v_cvt_f32_i32_e32 v29, v29
	v_cvt_f32_i32_e32 v26, v26
	v_mul_lo_u32 v24, v24, v108
	v_cvt_f32_i32_e32 v25, v25
	v_fma_mix_f32 v29, v29, v53, 0 op_sel_hi:[0,1,0]
	v_fma_mix_f32 v26, v26, v54, v29 op_sel_hi:[0,1,0]
	v_cvt_f32_i32_e32 v24, v24
	v_fma_mix_f32 v25, v25, v53, 0 op_sel_hi:[0,1,0]
	v_mul_lo_u32 v23, v23, v115
	v_mul_lo_u32 v22, v22, v79
	v_fma_mix_f32 v24, v24, v54, v25 op_sel_hi:[0,1,0]
	v_cvt_f32_i32_e32 v23, v23
	v_cvt_f32_i32_e32 v22, v22
	v_fma_mix_f32 v23, v23, v53, 0 op_sel_hi:[0,1,0]
	v_fma_mix_f32 v22, v22, v54, v23 op_sel_hi:[0,1,0]
	s_waitcnt vmcnt(0)
	v_or_b32_e32 v2, s17, v2
	v_lshlrev_b32_e32 v3, 2, v2
	v_lshrrev_b32_e32 v27, 1, v2
	ds_read_b128 v[14:17], v3 offset:16896
	ds_read_b128 v[10:13], v3 offset:16912
	;; [unrolled: 1-line block ×4, first 2 shown]
	ds_read_b64 v[55:56], v27 offset:27200
	s_waitcnt lgkmcnt(4)
	v_dot4_i32_i8 v27, v89, v14, 0
	v_dot4_i32_i8 v27, v91, v15, v27
	s_waitcnt lgkmcnt(2)
	v_dot4_i32_i8 v28, v100, v6, 0
	v_dot4_i32_i8 v27, v92, v16, v27
	;; [unrolled: 1-line block ×8, first 2 shown]
	s_waitcnt lgkmcnt(1)
	v_dot4_i32_i8 v28, v125, v2, v28
	v_dot4_i32_i8 v27, v97, v12, v27
	;; [unrolled: 1-line block ×6, first 2 shown]
	v_mul_lo_u32 v27, v27, v94
	v_mul_lo_u32 v28, v28, v124
	s_waitcnt lgkmcnt(0)
	v_fma_mix_f32 v30, v87, v55, 0 op_sel:[0,1,0] op_sel_hi:[0,1,0]
	v_fma_mix_f32 v29, v101, v56, v30 op_sel:[0,1,0] op_sel_hi:[0,1,0]
	v_cvt_f32_i32_e32 v27, v27
	v_cvt_f32_i32_e32 v28, v28
	v_mul_f32_e32 v29, v29, v46
	v_fma_mix_f32 v27, v27, v55, 0 op_sel_hi:[0,1,0]
	v_fma_mix_f32 v27, v28, v56, v27 op_sel_hi:[0,1,0]
	v_fma_mix_f32 v28, v101, v54, v72 op_sel:[0,1,0] op_sel_hi:[0,1,0]
	v_mul_f32_e32 v28, v28, v40
	v_fma_f32 v26, v26, v39, -v28
	v_fma_f32 v27, v27, v45, -v29
	buffer_load_dword v28, off, s[20:23], 0 offset:72 ; 4-byte Folded Reload
	buffer_load_dword v29, off, s[20:23], 0 offset:76 ; 4-byte Folded Reload
	s_waitcnt vmcnt(1)
	v_add_f32_e32 v28, v28, v26
	v_dot4_i32_i8 v26, v88, v14, 0
	s_waitcnt vmcnt(0)
	v_add_f32_e32 v29, v29, v27
	v_dot4_i32_i8 v26, v76, v15, v26
	v_dot4_i32_i8 v27, v103, v6, 0
	;; [unrolled: 1-line block ×15, first 2 shown]
	v_mul_lo_u32 v26, v26, v61
	v_mul_lo_u32 v27, v27, v108
	buffer_store_dword v28, off, s[20:23], 0 offset:72 ; 4-byte Folded Spill
	s_nop 0
	buffer_store_dword v29, off, s[20:23], 0 offset:76 ; 4-byte Folded Spill
	v_fma_mix_f32 v28, v58, v55, 0 op_sel:[0,1,0] op_sel_hi:[0,1,0]
	v_cvt_f32_i32_e32 v26, v26
	v_cvt_f32_i32_e32 v27, v27
	v_fma_mix_f32 v29, v58, v53, 0 op_sel:[0,1,0] op_sel_hi:[0,1,0]
	v_fma_mix_f32 v25, v104, v54, v29 op_sel:[0,1,0] op_sel_hi:[0,1,0]
	v_fma_mix_f32 v26, v26, v55, 0 op_sel_hi:[0,1,0]
	v_fma_mix_f32 v26, v27, v56, v26 op_sel_hi:[0,1,0]
	v_fma_mix_f32 v27, v104, v56, v28 op_sel:[0,1,0] op_sel_hi:[0,1,0]
	v_mul_f32_e32 v27, v27, v49
	v_mul_f32_e32 v25, v25, v43
	v_fma_f32 v24, v24, v42, -v25
	v_fma_f32 v25, v26, v48, -v27
	buffer_load_dword v26, off, s[20:23], 0 offset:80 ; 4-byte Folded Reload
	buffer_load_dword v27, off, s[20:23], 0 offset:84 ; 4-byte Folded Reload
	s_waitcnt vmcnt(1)
	v_add_f32_e32 v26, v26, v24
	v_dot4_i32_i8 v24, v118, v14, 0
	s_waitcnt vmcnt(0)
	v_add_f32_e32 v27, v27, v25
	v_dot4_i32_i8 v24, v121, v15, v24
	v_dot4_i32_i8 v25, v63, v6, 0
	;; [unrolled: 1-line block ×15, first 2 shown]
	v_mul_lo_u32 v24, v24, v115
	v_mul_lo_u32 v25, v25, v79
	buffer_store_dword v26, off, s[20:23], 0 offset:80 ; 4-byte Folded Spill
	s_nop 0
	buffer_store_dword v27, off, s[20:23], 0 offset:84 ; 4-byte Folded Spill
	v_fma_mix_f32 v26, v117, v55, 0 op_sel:[0,1,0] op_sel_hi:[0,1,0]
	v_cvt_f32_i32_e32 v24, v24
	v_cvt_f32_i32_e32 v25, v25
	v_fma_mix_f32 v27, v117, v53, 0 op_sel:[0,1,0] op_sel_hi:[0,1,0]
	v_fma_mix_f32 v23, v64, v54, v27 op_sel:[0,1,0] op_sel_hi:[0,1,0]
	v_fma_mix_f32 v24, v24, v55, 0 op_sel_hi:[0,1,0]
	v_fma_mix_f32 v24, v25, v56, v24 op_sel_hi:[0,1,0]
	v_fma_mix_f32 v25, v64, v56, v26 op_sel:[0,1,0] op_sel_hi:[0,1,0]
	v_mul_f32_e32 v25, v25, v50
	v_mul_f32_e32 v23, v23, v44
	v_fma_f32 v22, v22, v41, -v23
	v_fma_f32 v23, v24, v47, -v25
	buffer_load_dword v24, off, s[20:23], 0 offset:88 ; 4-byte Folded Reload
	buffer_load_dword v25, off, s[20:23], 0 offset:92 ; 4-byte Folded Reload
	v_dot4_i32_i8 v14, v18, v14, 0
	v_dot4_i32_i8 v14, v69, v15, v14
	;; [unrolled: 1-line block ×16, first 2 shown]
	v_mul_lo_u32 v4, v10, v32
	v_mul_lo_u32 v3, v21, v32
	;; [unrolled: 1-line block ×4, first 2 shown]
	v_cvt_f32_i32_e32 v4, v4
	v_cvt_f32_i32_e32 v3, v3
	;; [unrolled: 1-line block ×4, first 2 shown]
	v_fma_mix_f32 v4, v4, v55, 0 op_sel_hi:[0,1,0]
	v_fma_mix_f32 v5, v31, v55, 0 op_sel:[0,1,0] op_sel_hi:[0,1,0]
	v_fma_mix_f32 v6, v31, v53, 0 op_sel:[0,1,0] op_sel_hi:[0,1,0]
	v_fma_mix_f32 v3, v3, v53, 0 op_sel_hi:[0,1,0]
	v_fma_mix_f32 v2, v2, v56, v4 op_sel_hi:[0,1,0]
	v_fma_mix_f32 v4, v51, v54, v6 op_sel:[0,1,0] op_sel_hi:[0,1,0]
	v_fma_mix_f32 v5, v51, v56, v5 op_sel:[0,1,0] op_sel_hi:[0,1,0]
	v_fma_mix_f32 v3, v7, v54, v3 op_sel_hi:[0,1,0]
	v_mul_f32_e32 v5, v5, v37
	v_mul_f32_e32 v4, v4, v36
	v_fma_f32 v3, v3, v35, -v4
	v_fma_f32 v2, v2, v38, -v5
	s_waitcnt vmcnt(1)
	v_add_f32_e32 v24, v24, v22
	s_waitcnt vmcnt(0)
	v_add_f32_e32 v25, v25, v23
	buffer_store_dword v24, off, s[20:23], 0 offset:88 ; 4-byte Folded Spill
	s_nop 0
	buffer_store_dword v25, off, s[20:23], 0 offset:92 ; 4-byte Folded Spill
	buffer_load_dword v4, off, s[20:23], 0 offset:96 ; 4-byte Folded Reload
	buffer_load_dword v5, off, s[20:23], 0 offset:100 ; 4-byte Folded Reload
	s_waitcnt vmcnt(1)
	v_add_f32_e32 v4, v4, v3
	s_waitcnt vmcnt(0)
	v_add_f32_e32 v5, v5, v2
	buffer_store_dword v4, off, s[20:23], 0 offset:96 ; 4-byte Folded Spill
	s_nop 0
	buffer_store_dword v5, off, s[20:23], 0 offset:100 ; 4-byte Folded Spill
	buffer_load_dword v2, off, s[20:23], 0 offset:244 ; 4-byte Folded Reload
	s_waitcnt vmcnt(0)
	v_or_b32_e32 v2, s17, v2
	v_lshlrev_b32_e32 v3, 2, v2
	v_lshrrev_b32_e32 v19, 1, v2
	ds_read_b128 v[14:17], v3 offset:16896
	ds_read_b128 v[10:13], v3 offset:16912
	;; [unrolled: 1-line block ×4, first 2 shown]
	ds_read_b64 v[53:54], v19 offset:27200
	s_waitcnt lgkmcnt(4)
	v_dot4_i32_i8 v19, v89, v14, 0
	v_dot4_i32_i8 v19, v91, v15, v19
	v_dot4_i32_i8 v19, v92, v16, v19
	v_dot4_i32_i8 v19, v93, v17, v19
	s_waitcnt lgkmcnt(3)
	v_dot4_i32_i8 v19, v95, v10, v19
	v_dot4_i32_i8 v19, v96, v11, v19
	v_dot4_i32_i8 v19, v97, v12, v19
	v_dot4_i32_i8 v72, v98, v13, v19
	s_waitcnt lgkmcnt(2)
	v_dot4_i32_i8 v19, v100, v6, 0
	v_dot4_i32_i8 v19, v102, v7, v19
	v_dot4_i32_i8 v19, v119, v8, v19
	v_dot4_i32_i8 v19, v120, v9, v19
	s_waitcnt lgkmcnt(1)
	v_dot4_i32_i8 v19, v125, v2, v19
	v_dot4_i32_i8 v19, v126, v3, v19
	v_dot4_i32_i8 v19, v127, v4, v19
	v_dot4_i32_i8 v26, v57, v5, v19
	v_dot4_i32_i8 v19, v88, v14, 0
	v_dot4_i32_i8 v19, v76, v15, v19
	;; [unrolled: 1-line block ×40, first 2 shown]
	buffer_load_dword v2, off, s[20:23], 0 offset:248 ; 4-byte Folded Reload
	v_dot4_i32_i8 v14, v18, v14, 0
	v_dot4_i32_i8 v14, v69, v15, v14
	;; [unrolled: 1-line block ×8, first 2 shown]
	v_mul_lo_u32 v29, v72, v94
	v_mul_lo_u32 v26, v26, v124
	s_waitcnt lgkmcnt(0)
	v_fma_mix_f32 v72, v87, v53, 0 op_sel:[0,1,0] op_sel_hi:[0,1,0]
	v_mul_lo_u32 v25, v25, v61
	v_cvt_f32_i32_e32 v29, v29
	v_cvt_f32_i32_e32 v26, v26
	v_mul_lo_u32 v24, v24, v108
	v_cvt_f32_i32_e32 v25, v25
	v_fma_mix_f32 v29, v29, v53, 0 op_sel_hi:[0,1,0]
	v_fma_mix_f32 v26, v26, v54, v29 op_sel_hi:[0,1,0]
	v_cvt_f32_i32_e32 v24, v24
	v_fma_mix_f32 v25, v25, v53, 0 op_sel_hi:[0,1,0]
	v_mul_lo_u32 v23, v23, v115
	v_mul_lo_u32 v22, v22, v79
	v_fma_mix_f32 v24, v24, v54, v25 op_sel_hi:[0,1,0]
	v_cvt_f32_i32_e32 v23, v23
	v_cvt_f32_i32_e32 v22, v22
	v_fma_mix_f32 v23, v23, v53, 0 op_sel_hi:[0,1,0]
	v_fma_mix_f32 v22, v22, v54, v23 op_sel_hi:[0,1,0]
	s_waitcnt vmcnt(0)
	v_or_b32_e32 v2, s17, v2
	v_lshlrev_b32_e32 v3, 2, v2
	v_lshrrev_b32_e32 v27, 1, v2
	ds_read_b128 v[14:17], v3 offset:16896
	ds_read_b128 v[10:13], v3 offset:16912
	;; [unrolled: 1-line block ×4, first 2 shown]
	ds_read_b64 v[55:56], v27 offset:27200
	s_waitcnt lgkmcnt(4)
	v_dot4_i32_i8 v27, v89, v14, 0
	v_dot4_i32_i8 v27, v91, v15, v27
	s_waitcnt lgkmcnt(2)
	v_dot4_i32_i8 v28, v100, v6, 0
	v_dot4_i32_i8 v27, v92, v16, v27
	;; [unrolled: 1-line block ×8, first 2 shown]
	s_waitcnt lgkmcnt(1)
	v_dot4_i32_i8 v28, v125, v2, v28
	v_dot4_i32_i8 v27, v97, v12, v27
	;; [unrolled: 1-line block ×6, first 2 shown]
	v_mul_lo_u32 v27, v27, v94
	v_mul_lo_u32 v28, v28, v124
	s_waitcnt lgkmcnt(0)
	v_fma_mix_f32 v30, v87, v55, 0 op_sel:[0,1,0] op_sel_hi:[0,1,0]
	v_fma_mix_f32 v29, v101, v56, v30 op_sel:[0,1,0] op_sel_hi:[0,1,0]
	v_cvt_f32_i32_e32 v27, v27
	v_cvt_f32_i32_e32 v28, v28
	v_mul_f32_e32 v29, v29, v46
	v_fma_mix_f32 v27, v27, v55, 0 op_sel_hi:[0,1,0]
	v_fma_mix_f32 v27, v28, v56, v27 op_sel_hi:[0,1,0]
	v_fma_mix_f32 v28, v101, v54, v72 op_sel:[0,1,0] op_sel_hi:[0,1,0]
	v_mul_f32_e32 v28, v28, v40
	v_fma_f32 v26, v26, v39, -v28
	v_fma_f32 v27, v27, v45, -v29
	buffer_load_dword v28, off, s[20:23], 0 offset:16 ; 4-byte Folded Reload
	buffer_load_dword v29, off, s[20:23], 0 offset:20 ; 4-byte Folded Reload
	s_waitcnt vmcnt(1)
	v_add_f32_e32 v28, v28, v26
	v_dot4_i32_i8 v26, v88, v14, 0
	s_waitcnt vmcnt(0)
	v_add_f32_e32 v29, v29, v27
	v_dot4_i32_i8 v26, v76, v15, v26
	v_dot4_i32_i8 v27, v103, v6, 0
	;; [unrolled: 1-line block ×15, first 2 shown]
	v_mul_lo_u32 v26, v26, v61
	v_mul_lo_u32 v27, v27, v108
	buffer_store_dword v28, off, s[20:23], 0 offset:16 ; 4-byte Folded Spill
	s_nop 0
	buffer_store_dword v29, off, s[20:23], 0 offset:20 ; 4-byte Folded Spill
	v_fma_mix_f32 v28, v58, v55, 0 op_sel:[0,1,0] op_sel_hi:[0,1,0]
	v_cvt_f32_i32_e32 v26, v26
	v_cvt_f32_i32_e32 v27, v27
	v_fma_mix_f32 v29, v58, v53, 0 op_sel:[0,1,0] op_sel_hi:[0,1,0]
	v_fma_mix_f32 v25, v104, v54, v29 op_sel:[0,1,0] op_sel_hi:[0,1,0]
	v_fma_mix_f32 v26, v26, v55, 0 op_sel_hi:[0,1,0]
	v_fma_mix_f32 v26, v27, v56, v26 op_sel_hi:[0,1,0]
	v_fma_mix_f32 v27, v104, v56, v28 op_sel:[0,1,0] op_sel_hi:[0,1,0]
	v_mul_f32_e32 v27, v27, v49
	v_mul_f32_e32 v25, v25, v43
	v_fma_f32 v24, v24, v42, -v25
	v_fma_f32 v25, v26, v48, -v27
	buffer_load_dword v26, off, s[20:23], 0 offset:8 ; 4-byte Folded Reload
	buffer_load_dword v27, off, s[20:23], 0 offset:12 ; 4-byte Folded Reload
	s_waitcnt vmcnt(1)
	v_add_f32_e32 v26, v26, v24
	v_dot4_i32_i8 v24, v118, v14, 0
	s_waitcnt vmcnt(0)
	v_add_f32_e32 v27, v27, v25
	v_dot4_i32_i8 v24, v121, v15, v24
	v_dot4_i32_i8 v25, v63, v6, 0
	;; [unrolled: 1-line block ×15, first 2 shown]
	v_mul_lo_u32 v24, v24, v115
	v_mul_lo_u32 v25, v25, v79
	buffer_store_dword v26, off, s[20:23], 0 offset:8 ; 4-byte Folded Spill
	s_nop 0
	buffer_store_dword v27, off, s[20:23], 0 offset:12 ; 4-byte Folded Spill
	v_fma_mix_f32 v26, v117, v55, 0 op_sel:[0,1,0] op_sel_hi:[0,1,0]
	v_cvt_f32_i32_e32 v24, v24
	v_cvt_f32_i32_e32 v25, v25
	v_fma_mix_f32 v27, v117, v53, 0 op_sel:[0,1,0] op_sel_hi:[0,1,0]
	v_fma_mix_f32 v23, v64, v54, v27 op_sel:[0,1,0] op_sel_hi:[0,1,0]
	v_fma_mix_f32 v24, v24, v55, 0 op_sel_hi:[0,1,0]
	v_fma_mix_f32 v24, v25, v56, v24 op_sel_hi:[0,1,0]
	v_fma_mix_f32 v25, v64, v56, v26 op_sel:[0,1,0] op_sel_hi:[0,1,0]
	v_mul_f32_e32 v25, v25, v50
	v_mul_f32_e32 v23, v23, v44
	v_fma_f32 v22, v22, v41, -v23
	v_fma_f32 v23, v24, v47, -v25
	buffer_load_dword v24, off, s[20:23], 0 offset:24 ; 4-byte Folded Reload
	buffer_load_dword v25, off, s[20:23], 0 offset:28 ; 4-byte Folded Reload
	v_dot4_i32_i8 v14, v18, v14, 0
	v_dot4_i32_i8 v14, v69, v15, v14
	;; [unrolled: 1-line block ×16, first 2 shown]
	v_mul_lo_u32 v4, v10, v32
	v_mul_lo_u32 v3, v21, v32
	;; [unrolled: 1-line block ×4, first 2 shown]
	v_cvt_f32_i32_e32 v4, v4
	v_cvt_f32_i32_e32 v3, v3
	;; [unrolled: 1-line block ×4, first 2 shown]
	v_fma_mix_f32 v4, v4, v55, 0 op_sel_hi:[0,1,0]
	v_fma_mix_f32 v5, v31, v55, 0 op_sel:[0,1,0] op_sel_hi:[0,1,0]
	v_fma_mix_f32 v6, v31, v53, 0 op_sel:[0,1,0] op_sel_hi:[0,1,0]
	v_fma_mix_f32 v3, v3, v53, 0 op_sel_hi:[0,1,0]
	v_fma_mix_f32 v2, v2, v56, v4 op_sel_hi:[0,1,0]
	v_fma_mix_f32 v4, v51, v54, v6 op_sel:[0,1,0] op_sel_hi:[0,1,0]
	v_fma_mix_f32 v5, v51, v56, v5 op_sel:[0,1,0] op_sel_hi:[0,1,0]
	v_fma_mix_f32 v3, v7, v54, v3 op_sel_hi:[0,1,0]
	v_mul_f32_e32 v5, v5, v37
	v_mul_f32_e32 v4, v4, v36
	v_fma_f32 v3, v3, v35, -v4
	v_fma_f32 v2, v2, v38, -v5
	s_waitcnt vmcnt(1)
	v_add_f32_e32 v24, v24, v22
	s_waitcnt vmcnt(0)
	v_add_f32_e32 v25, v25, v23
	buffer_store_dword v24, off, s[20:23], 0 offset:24 ; 4-byte Folded Spill
	s_nop 0
	buffer_store_dword v25, off, s[20:23], 0 offset:28 ; 4-byte Folded Spill
	buffer_store_dword v32, off, s[20:23], 0 offset:160 ; 4-byte Folded Spill
	;; [unrolled: 1-line block ×3, first 2 shown]
	buffer_load_dword v4, off, s[20:23], 0 offset:64 ; 4-byte Folded Reload
	buffer_load_dword v5, off, s[20:23], 0 offset:68 ; 4-byte Folded Reload
	s_waitcnt vmcnt(1)
	v_add_f32_e32 v4, v4, v3
	s_waitcnt vmcnt(0)
	v_add_f32_e32 v5, v5, v2
	buffer_store_dword v4, off, s[20:23], 0 offset:64 ; 4-byte Folded Spill
	s_nop 0
	buffer_store_dword v5, off, s[20:23], 0 offset:68 ; 4-byte Folded Spill
	buffer_load_dword v2, off, s[20:23], 0 offset:252 ; 4-byte Folded Reload
	s_waitcnt vmcnt(0)
	v_or_b32_e32 v2, s17, v2
	v_lshlrev_b32_e32 v3, 2, v2
	v_lshrrev_b32_e32 v19, 1, v2
	ds_read_b128 v[14:17], v3 offset:16896
	ds_read_b128 v[10:13], v3 offset:16912
	;; [unrolled: 1-line block ×4, first 2 shown]
	ds_read_b64 v[53:54], v19 offset:27200
	s_waitcnt lgkmcnt(4)
	v_dot4_i32_i8 v19, v89, v14, 0
	v_dot4_i32_i8 v19, v91, v15, v19
	v_dot4_i32_i8 v19, v92, v16, v19
	v_dot4_i32_i8 v19, v93, v17, v19
	s_waitcnt lgkmcnt(3)
	v_dot4_i32_i8 v19, v95, v10, v19
	v_dot4_i32_i8 v19, v96, v11, v19
	v_dot4_i32_i8 v19, v97, v12, v19
	v_dot4_i32_i8 v25, v98, v13, v19
	;; [unrolled: 5-line block ×4, first 2 shown]
	v_dot4_i32_i8 v19, v88, v14, 0
	v_dot4_i32_i8 v19, v76, v15, v19
	;; [unrolled: 1-line block ×37, first 2 shown]
	buffer_store_dword v2, off, s[20:23], 0 offset:156 ; 4-byte Folded Spill
	buffer_load_dword v2, off, s[20:23], 0 offset:256 ; 4-byte Folded Reload
	v_dot4_i32_i8 v14, v18, v14, 0
	v_dot4_i32_i8 v14, v69, v15, v14
	;; [unrolled: 1-line block ×11, first 2 shown]
	v_mul_lo_u32 v25, v25, v94
	v_mul_lo_u32 v24, v24, v124
	s_waitcnt lgkmcnt(0)
	v_fma_mix_f32 v29, v87, v53, 0 op_sel:[0,1,0] op_sel_hi:[0,1,0]
	v_mul_lo_u32 v23, v23, v61
	v_cvt_f32_i32_e32 v25, v25
	v_cvt_f32_i32_e32 v24, v24
	v_mul_lo_u32 v22, v22, v108
	v_cvt_f32_i32_e32 v23, v23
	v_fma_mix_f32 v25, v25, v53, 0 op_sel_hi:[0,1,0]
	v_fma_mix_f32 v24, v24, v54, v25 op_sel_hi:[0,1,0]
	v_fma_mix_f32 v25, v101, v54, v29 op_sel:[0,1,0] op_sel_hi:[0,1,0]
	v_cvt_f32_i32_e32 v22, v22
	v_mul_f32_e32 v25, v25, v40
	v_fma_f32 v24, v24, v39, -v25
	v_fma_mix_f32 v23, v23, v53, 0 op_sel_hi:[0,1,0]
	v_fma_mix_f32 v22, v22, v54, v23 op_sel_hi:[0,1,0]
	v_mul_lo_u32 v21, v21, v115
	v_mul_lo_u32 v19, v19, v79
	v_cvt_f32_i32_e32 v21, v21
	v_cvt_f32_i32_e32 v19, v19
	v_fma_mix_f32 v21, v21, v53, 0 op_sel_hi:[0,1,0]
	v_fma_mix_f32 v19, v19, v54, v21 op_sel_hi:[0,1,0]
	s_waitcnt vmcnt(0)
	v_or_b32_e32 v2, s17, v2
	v_lshlrev_b32_e32 v3, 2, v2
	v_lshrrev_b32_e32 v26, 1, v2
	ds_read_b128 v[14:17], v3 offset:16896
	ds_read_b128 v[10:13], v3 offset:16912
	;; [unrolled: 1-line block ×4, first 2 shown]
	ds_read_b64 v[55:56], v26 offset:27200
	s_waitcnt lgkmcnt(4)
	v_dot4_i32_i8 v26, v89, v14, 0
	v_dot4_i32_i8 v26, v91, v15, v26
	s_waitcnt lgkmcnt(2)
	v_dot4_i32_i8 v27, v100, v6, 0
	v_dot4_i32_i8 v27, v102, v7, v27
	;; [unrolled: 1-line block ×4, first 2 shown]
	s_waitcnt lgkmcnt(1)
	v_dot4_i32_i8 v27, v125, v2, v27
	v_dot4_i32_i8 v27, v126, v3, v27
	;; [unrolled: 1-line block ×3, first 2 shown]
	buffer_load_dword v127, off, s[20:23], 0 offset:140 ; 4-byte Folded Reload
	buffer_load_dword v29, off, s[20:23], 0 offset:32 ; 4-byte Folded Reload
	;; [unrolled: 1-line block ×5, first 2 shown]
	v_dot4_i32_i8 v26, v92, v16, v26
	v_dot4_i32_i8 v26, v93, v17, v26
	;; [unrolled: 1-line block ×7, first 2 shown]
	v_mul_lo_u32 v26, v26, v94
	v_mul_lo_u32 v27, v27, v124
	s_waitcnt lgkmcnt(0)
	v_fma_mix_f32 v28, v87, v55, 0 op_sel:[0,1,0] op_sel_hi:[0,1,0]
	v_dot4_i32_i8 v1, v1, v6, 0
	v_cvt_f32_i32_e32 v26, v26
	v_cvt_f32_i32_e32 v27, v27
	v_dot4_i32_i8 v1, v81, v7, v1
	v_dot4_i32_i8 v1, v80, v8, v1
	v_fma_mix_f32 v26, v26, v55, 0 op_sel_hi:[0,1,0]
	v_fma_mix_f32 v26, v27, v56, v26 op_sel_hi:[0,1,0]
	v_fma_mix_f32 v27, v101, v56, v28 op_sel:[0,1,0] op_sel_hi:[0,1,0]
	v_mul_f32_e32 v27, v27, v46
	v_fma_f32 v25, v26, v45, -v27
	v_fma_mix_f32 v27, v58, v53, 0 op_sel:[0,1,0] op_sel_hi:[0,1,0]
	v_fma_mix_f32 v23, v104, v54, v27 op_sel:[0,1,0] op_sel_hi:[0,1,0]
	v_mul_f32_e32 v23, v23, v43
	v_fma_f32 v22, v22, v42, -v23
	v_fma_mix_f32 v26, v58, v55, 0 op_sel:[0,1,0] op_sel_hi:[0,1,0]
	v_dot4_i32_i8 v1, v86, v9, v1
	v_dot4_i32_i8 v1, v99, v2, v1
	;; [unrolled: 1-line block ×5, first 2 shown]
	v_mul_lo_u32 v1, v1, v52
	v_cvt_f32_i32_e32 v1, v1
	s_waitcnt vmcnt(3)
	v_add_f32_e32 v29, v29, v24
	v_dot4_i32_i8 v24, v88, v14, 0
	s_waitcnt vmcnt(2)
	v_add_f32_e32 v30, v30, v25
	v_dot4_i32_i8 v24, v76, v15, v24
	v_dot4_i32_i8 v25, v103, v6, 0
	s_waitcnt vmcnt(1)
	v_add_f32_e32 v31, v31, v22
	v_dot4_i32_i8 v22, v118, v14, 0
	v_dot4_i32_i8 v24, v90, v16, v24
	;; [unrolled: 1-line block ×21, first 2 shown]
	v_mul_lo_u32 v24, v24, v61
	v_dot4_i32_i8 v22, v66, v9, v22
	v_mul_lo_u32 v25, v25, v108
	v_dot4_i32_i8 v0, v116, v11, v0
	v_dot4_i32_i8 v22, v67, v2, v22
	;; [unrolled: 1-line block ×6, first 2 shown]
	v_cvt_f32_i32_e32 v24, v24
	v_dot4_i32_i8 v22, v83, v5, v22
	v_mul_lo_u32 v0, v0, v115
	v_cvt_f32_i32_e32 v25, v25
	v_mul_lo_u32 v22, v22, v79
	v_fma_mix_f32 v24, v24, v55, 0 op_sel_hi:[0,1,0]
	v_cvt_f32_i32_e32 v0, v0
	v_fma_mix_f32 v24, v25, v56, v24 op_sel_hi:[0,1,0]
	v_fma_mix_f32 v25, v104, v56, v26 op_sel:[0,1,0] op_sel_hi:[0,1,0]
	v_cvt_f32_i32_e32 v22, v22
	v_mul_f32_e32 v25, v25, v49
	v_fma_f32 v23, v24, v48, -v25
	s_waitcnt vmcnt(0)
	v_add_f32_e32 v32, v32, v23
	v_fma_mix_f32 v0, v0, v55, 0 op_sel_hi:[0,1,0]
	v_fma_mix_f32 v23, v117, v55, 0 op_sel:[0,1,0] op_sel_hi:[0,1,0]
	v_fma_mix_f32 v24, v117, v53, 0 op_sel:[0,1,0] op_sel_hi:[0,1,0]
	v_fma_mix_f32 v0, v22, v56, v0 op_sel_hi:[0,1,0]
	v_fma_mix_f32 v21, v64, v54, v24 op_sel:[0,1,0] op_sel_hi:[0,1,0]
	v_fma_mix_f32 v22, v64, v56, v23 op_sel:[0,1,0] op_sel_hi:[0,1,0]
	v_mul_f32_e32 v22, v22, v50
	v_mul_f32_e32 v21, v21, v44
	buffer_load_dword v33, off, s[20:23], 0 offset:120 ; 4-byte Folded Reload
	buffer_load_dword v34, off, s[20:23], 0 offset:164 ; 4-byte Folded Reload
	;; [unrolled: 1-line block ×4, first 2 shown]
	v_fma_f32 v19, v19, v41, -v21
	v_fma_f32 v0, v0, v47, -v22
	buffer_load_dword v21, off, s[20:23], 0 offset:48 ; 4-byte Folded Reload
	buffer_load_dword v22, off, s[20:23], 0 offset:52 ; 4-byte Folded Reload
	;; [unrolled: 1-line block ×5, first 2 shown]
	s_waitcnt vmcnt(4)
	v_add_f32_e32 v21, v21, v19
	s_waitcnt vmcnt(3)
	v_add_f32_e32 v22, v22, v0
	v_dot4_i32_i8 v0, v18, v14, 0
	v_dot4_i32_i8 v0, v69, v15, v0
	;; [unrolled: 1-line block ×8, first 2 shown]
	s_waitcnt vmcnt(2)
	v_mul_lo_u32 v2, v72, v36
	v_mul_lo_u32 v0, v0, v36
	s_waitcnt vmcnt(0)
	v_mul_lo_u32 v5, v5, v52
	v_fma_mix_f32 v3, v4, v55, 0 op_sel:[0,1,0] op_sel_hi:[0,1,0]
	v_cvt_f32_i32_e32 v2, v2
	v_cvt_f32_i32_e32 v0, v0
	;; [unrolled: 1-line block ×3, first 2 shown]
	v_fma_mix_f32 v4, v4, v53, 0 op_sel:[0,1,0] op_sel_hi:[0,1,0]
	v_fma_mix_f32 v2, v2, v53, 0 op_sel_hi:[0,1,0]
	v_fma_mix_f32 v0, v0, v55, 0 op_sel_hi:[0,1,0]
	;; [unrolled: 1-line block ×4, first 2 shown]
	v_fma_mix_f32 v2, v51, v54, v4 op_sel:[0,1,0] op_sel_hi:[0,1,0]
	buffer_load_dword v4, off, s[20:23], 0 offset:124 ; 4-byte Folded Reload
	v_fma_mix_f32 v3, v51, v56, v3 op_sel:[0,1,0] op_sel_hi:[0,1,0]
	v_mul_f32_e32 v3, v3, v37
	v_fma_f32 v0, v0, v38, -v3
	v_add_f32_e32 v24, v24, v0
	s_waitcnt vmcnt(0)
	v_mul_f32_e32 v2, v2, v4
	v_fma_f32 v1, v1, v35, -v2
	buffer_load_dword v35, off, s[20:23], 0 offset:144 ; 4-byte Folded Reload
	buffer_load_dword v36, off, s[20:23], 0 offset:148 ; 4-byte Folded Reload
	v_add_f32_e32 v23, v23, v1
	s_cbranch_vccnz .LBB151_6
; %bb.7:                                ;   in Loop: Header=BB151_5 Depth=1
	s_waitcnt vmcnt(0)
	s_barrier
	buffer_load_dword v0, off, s[20:23], 0 offset:508 ; 4-byte Folded Reload
	s_waitcnt vmcnt(0)
	v_add_u32_e32 v2, s16, v0
	buffer_load_dword v0, off, s[20:23], 0 offset:288 ; 4-byte Folded Reload
	buffer_load_dword v3, off, s[20:23], 0 offset:340 ; 4-byte Folded Reload
	;; [unrolled: 1-line block ×3, first 2 shown]
	s_mov_b32 s16, 0
	s_waitcnt vmcnt(2)
	v_add_u32_e32 v0, v2, v0
	s_waitcnt vmcnt(0)
	v_mad_i64_i32 v[0:1], s[0:1], v0, 36, v[3:4]
	global_load_dword v0, v[0:1], off offset:4
	s_nop 0
	buffer_load_dword v1, off, s[20:23], 0 offset:380 ; 4-byte Folded Reload
	s_waitcnt vmcnt(0)
	ds_write_b32 v1, v0
	buffer_load_dword v0, off, s[20:23], 0 offset:296 ; 4-byte Folded Reload
	s_waitcnt vmcnt(0)
	v_add_u32_e32 v0, v2, v0
	v_mad_i64_i32 v[0:1], s[0:1], v0, 36, v[3:4]
	global_load_dword v0, v[0:1], off offset:4
	s_nop 0
	buffer_load_dword v1, off, s[20:23], 0 offset:348 ; 4-byte Folded Reload
	s_waitcnt vmcnt(0)
	ds_write_b32 v1, v0
	buffer_load_dword v0, off, s[20:23], 0 offset:300 ; 4-byte Folded Reload
	s_waitcnt vmcnt(0)
	v_add_u32_e32 v0, v2, v0
	;; [unrolled: 9-line block ×8, first 2 shown]
	v_mad_u64_u32 v[0:1], s[0:1], v0, 36, s[2:3]
	s_mov_b32 s0, 16
	s_mov_b32 s1, 0
	global_load_dword v0, v[0:1], off
	s_nop 0
	buffer_load_dword v1, off, s[20:23], 0 offset:284 ; 4-byte Folded Reload
	s_waitcnt vmcnt(0)
	ds_write_b32 v1, v0
	s_waitcnt lgkmcnt(0)
	s_barrier
	buffer_load_dword v0, off, s[20:23], 0 offset:324 ; 4-byte Folded Reload
	s_waitcnt vmcnt(0)
	ds_read_b32 v0, v0
	s_waitcnt lgkmcnt(0)
	v_cvt_f32_f16_e32 v49, v0
	v_cvt_f32_f16_sdwa v52, v0 dst_sel:DWORD dst_unused:UNUSED_PAD src0_sel:WORD_1
	buffer_load_dword v0, off, s[20:23], 0 offset:328 ; 4-byte Folded Reload
	s_waitcnt vmcnt(0)
	ds_read_b32 v0, v0 offset:128
	s_waitcnt lgkmcnt(0)
	v_cvt_f32_f16_e32 v1, v0
	v_cvt_f32_f16_sdwa v2, v0 dst_sel:DWORD dst_unused:UNUSED_PAD src0_sel:WORD_1
	buffer_load_dword v0, off, s[20:23], 0 offset:332 ; 4-byte Folded Reload
	s_waitcnt vmcnt(0)
	ds_read_b32 v0, v0 offset:256
	;; [unrolled: 6-line block ×3, first 2 shown]
	s_waitcnt lgkmcnt(0)
	v_cvt_f32_f16_e32 v5, v0
	v_cvt_f32_f16_sdwa v0, v0 dst_sel:DWORD dst_unused:UNUSED_PAD src0_sel:WORD_1
	buffer_store_dword v49, off, s[20:23], 0 offset:176 ; 4-byte Folded Spill
	buffer_store_dword v52, off, s[20:23], 0 offset:180 ; 4-byte Folded Spill
	;; [unrolled: 1-line block ×14, first 2 shown]
	buffer_load_dword v0, off, s[20:23], 0 offset:292 ; 4-byte Folded Reload
	s_nop 0
	buffer_load_dword v66, off, s[20:23], 0 offset:516 ; 4-byte Folded Reload
	buffer_load_dword v67, off, s[20:23], 0 offset:512 ; 4-byte Folded Reload
	;; [unrolled: 1-line block ×16, first 2 shown]
	s_waitcnt vmcnt(16)
	v_add_u32_e32 v65, 0x4200, v0
.LBB151_8:                              ;   Parent Loop BB151_5 Depth=1
                                        ; =>  This Inner Loop Header: Depth=2
	buffer_store_dword v23, off, s[20:23], 0 offset:56 ; 4-byte Folded Spill
	s_nop 0
	buffer_store_dword v24, off, s[20:23], 0 offset:60 ; 4-byte Folded Spill
	buffer_store_dword v21, off, s[20:23], 0 offset:48 ; 4-byte Folded Spill
	s_nop 0
	buffer_store_dword v22, off, s[20:23], 0 offset:52 ; 4-byte Folded Spill
	;; [unrolled: 3-line block ×4, first 2 shown]
	ds_read_b128 v[2:5], v65
	s_waitcnt vmcnt(22)
	ds_read2_b32 v[8:9], v67 offset1:1
	ds_read2_b32 v[6:7], v67 offset0:2 offset1:3
	v_add_u32_e32 v0, 0x1080, v67
	v_add_u32_e32 v1, 0x1088, v67
	;; [unrolled: 1-line block ×6, first 2 shown]
	ds_read_b128 v[21:24], v65 offset:1024
	ds_read_b128 v[57:60], v65 offset:2048
	;; [unrolled: 1-line block ×5, first 2 shown]
	ds_read2_b32 v[25:26], v0 offset1:1
	ds_read2_b32 v[33:34], v1 offset1:1
	;; [unrolled: 1-line block ×6, first 2 shown]
	s_waitcnt lgkmcnt(12)
	v_and_b32_e32 v10, 0xf0f0f0f, v8
	s_waitcnt lgkmcnt(5)
	v_and_b32_e32 v29, 0xf0f0f0f, v25
	;; [unrolled: 2-line block ×4, first 2 shown]
	v_and_b32_e32 v11, 0xf0f0f0f, v9
	v_dot4_i32_i8 v0, v10, v2, 0
	v_and_b32_e32 v56, 0xf0f0f0f, v81
	v_and_b32_e32 v91, 0xf0f0f0f, v85
	v_dot4_i32_i8 v18, v29, v2, 0
	v_dot4_i32_i8 v19, v55, v2, 0
	;; [unrolled: 1-line block ×3, first 2 shown]
	v_and_b32_e32 v27, 0xf0f0f0f, v6
	v_and_b32_e32 v30, 0xf0f0f0f, v26
	;; [unrolled: 1-line block ×3, first 2 shown]
	s_waitcnt lgkmcnt(0)
	v_and_b32_e32 v92, 0xf0f0f0f, v86
	v_dot4_i32_i8 v0, v11, v3, v0
	v_dot4_i32_i8 v19, v56, v3, v19
	;; [unrolled: 1-line block ×3, first 2 shown]
	v_and_b32_e32 v28, 0xf0f0f0f, v7
	v_and_b32_e32 v53, 0xf0f0f0f, v33
	v_and_b32_e32 v62, 0xf0f0f0f, v83
	v_and_b32_e32 v93, 0xf0f0f0f, v87
	v_dot4_i32_i8 v1, v10, v21, 0
	v_dot4_i32_i8 v0, v27, v4, v0
	;; [unrolled: 1-line block ×13, first 2 shown]
	v_and_b32_e32 v54, 0xf0f0f0f, v34
	v_dot4_i32_i8 v1, v27, v23, v1
	v_dot4_i32_i8 v2, v30, v22, v2
	;; [unrolled: 1-line block ×75, first 2 shown]
	ds_read_b128 v[2:5], v65 offset:6144
	ds_read_b128 v[21:24], v65 offset:7168
	v_lshrrev_b32_e32 v57, 4, v8
	v_lshrrev_b32_e32 v59, 4, v6
	;; [unrolled: 1-line block ×3, first 2 shown]
	s_waitcnt lgkmcnt(1)
	v_dot4_i32_i8 v6, v10, v2, 0
	s_waitcnt lgkmcnt(0)
	v_dot4_i32_i8 v7, v10, v21, 0
	v_dot4_i32_i8 v8, v29, v2, 0
	;; [unrolled: 1-line block ×15, first 2 shown]
	v_lshrrev_b32_e32 v58, 4, v9
	v_dot4_i32_i8 v9, v29, v21, 0
	v_dot4_i32_i8 v11, v55, v21, 0
	;; [unrolled: 1-line block ×8, first 2 shown]
	ds_read_b128 v[2:5], v65 offset:32
	ds_read_b128 v[68:71], v65 offset:1056
	v_dot4_i32_i8 v11, v56, v22, v11
	v_dot4_i32_i8 v9, v30, v22, v9
	;; [unrolled: 1-line block ×3, first 2 shown]
	v_lshrrev_b32_e32 v25, 4, v25
	v_lshrrev_b32_e32 v72, 4, v80
	;; [unrolled: 1-line block ×3, first 2 shown]
	v_dot4_i32_i8 v9, v53, v23, v9
	v_dot4_i32_i8 v11, v92, v23, v21
	;; [unrolled: 1-line block ×3, first 2 shown]
	v_and_b32_e32 v10, 0xf0f0f0f, v57
	v_dot4_i32_i8 v1, v54, v79, v1
	v_lshrrev_b32_e32 v26, 4, v26
	v_lshrrev_b32_e32 v73, 4, v81
	;; [unrolled: 1-line block ×3, first 2 shown]
	v_dot4_i32_i8 v9, v54, v24, v9
	v_and_b32_e32 v27, 0xf0f0f0f, v58
	v_and_b32_e32 v28, 0xf0f0f0f, v59
	v_dot4_i32_i8 v108, v93, v24, v11
	s_waitcnt lgkmcnt(1)
	v_dot4_i32_i8 v11, v10, v2, 0
	v_and_b32_e32 v25, 0xf0f0f0f, v25
	v_and_b32_e32 v54, 0xf0f0f0f, v72
	v_and_b32_e32 v59, 0xf0f0f0f, v76
	v_lshrrev_b32_e32 v33, 4, v33
	v_lshrrev_b32_e32 v74, 4, v82
	;; [unrolled: 1-line block ×3, first 2 shown]
	v_and_b32_e32 v26, 0xf0f0f0f, v26
	v_and_b32_e32 v55, 0xf0f0f0f, v73
	;; [unrolled: 1-line block ×3, first 2 shown]
	v_dot4_i32_i8 v11, v27, v3, v11
	v_dot4_i32_i8 v22, v25, v2, 0
	;; [unrolled: 1-line block ×4, first 2 shown]
	v_lshrrev_b32_e32 v34, 4, v34
	v_lshrrev_b32_e32 v75, 4, v83
	;; [unrolled: 1-line block ×3, first 2 shown]
	v_and_b32_e32 v29, 0xf0f0f0f, v60
	v_and_b32_e32 v30, 0xf0f0f0f, v33
	;; [unrolled: 1-line block ×4, first 2 shown]
	s_waitcnt lgkmcnt(0)
	v_dot4_i32_i8 v21, v10, v68, 0
	v_dot4_i32_i8 v11, v28, v4, v11
	;; [unrolled: 1-line block ×5, first 2 shown]
	v_and_b32_e32 v53, 0xf0f0f0f, v34
	v_and_b32_e32 v62, 0xf0f0f0f, v75
	v_and_b32_e32 v86, 0xf0f0f0f, v79
	v_dot4_i32_i8 v21, v27, v69, v21
	v_dot4_i32_i8 v87, v29, v5, v11
	;; [unrolled: 1-line block ×9, first 2 shown]
	ds_read_b128 v[21:24], v65 offset:2080
	v_dot4_i32_i8 v2, v25, v68, 0
	v_dot4_i32_i8 v4, v59, v68, 0
	;; [unrolled: 1-line block ×12, first 2 shown]
	s_waitcnt lgkmcnt(0)
	v_dot4_i32_i8 v2, v10, v21, 0
	v_dot4_i32_i8 v5, v54, v21, 0
	;; [unrolled: 1-line block ×17, first 2 shown]
	ds_read_b128 v[21:24], v65 offset:3104
	buffer_store_dword v0, off, s[20:23], 0 offset:64 ; 4-byte Folded Spill
	s_lshr_b32 s17, s0, 2
	s_and_b32 s17, s17, 0x3ffffffc
	s_add_i32 s0, s0, 8
	s_waitcnt lgkmcnt(0)
	v_dot4_i32_i8 v2, v10, v21, 0
	v_dot4_i32_i8 v2, v27, v22, v2
	v_dot4_i32_i8 v3, v25, v21, 0
	v_dot4_i32_i8 v11, v54, v21, 0
	v_dot4_i32_i8 v21, v59, v21, 0
	v_dot4_i32_i8 v2, v28, v23, v2
	v_dot4_i32_i8 v3, v26, v22, v3
	v_dot4_i32_i8 v11, v55, v22, v11
	v_dot4_i32_i8 v21, v63, v22, v21
	v_dot4_i32_i8 v33, v29, v24, v2
	v_dot4_i32_i8 v2, v30, v23, v3
	v_dot4_i32_i8 v3, v56, v23, v11
	v_dot4_i32_i8 v11, v84, v23, v21
	v_dot4_i32_i8 v72, v53, v24, v2
	v_dot4_i32_i8 v73, v62, v24, v3
	v_dot4_i32_i8 v74, v86, v24, v11
	ds_read_b128 v[21:24], v65 offset:4128
	s_add_i32 s18, s16, 16
	s_waitcnt lgkmcnt(0)
	v_dot4_i32_i8 v2, v10, v21, 0
	v_dot4_i32_i8 v2, v27, v22, v2
	v_dot4_i32_i8 v3, v25, v21, 0
	v_dot4_i32_i8 v11, v54, v21, 0
	v_dot4_i32_i8 v21, v59, v21, 0
	v_dot4_i32_i8 v2, v28, v23, v2
	v_dot4_i32_i8 v3, v26, v22, v3
	v_dot4_i32_i8 v11, v55, v22, v11
	v_dot4_i32_i8 v21, v63, v22, v21
	v_dot4_i32_i8 v34, v29, v24, v2
	v_dot4_i32_i8 v2, v30, v23, v3
	v_dot4_i32_i8 v3, v56, v23, v11
	v_dot4_i32_i8 v11, v84, v23, v21
	v_dot4_i32_i8 v75, v53, v24, v2
	v_dot4_i32_i8 v76, v62, v24, v3
	v_dot4_i32_i8 v77, v86, v24, v11
	ds_read_b128 v[21:24], v65 offset:5152
	s_waitcnt lgkmcnt(0)
	v_dot4_i32_i8 v2, v10, v21, 0
	v_dot4_i32_i8 v2, v27, v22, v2
	v_dot4_i32_i8 v3, v25, v21, 0
	v_dot4_i32_i8 v11, v54, v21, 0
	v_dot4_i32_i8 v21, v59, v21, 0
	v_dot4_i32_i8 v2, v28, v23, v2
	v_dot4_i32_i8 v3, v26, v22, v3
	v_dot4_i32_i8 v11, v55, v22, v11
	v_dot4_i32_i8 v21, v63, v22, v21
	v_dot4_i32_i8 v57, v29, v24, v2
	v_dot4_i32_i8 v2, v30, v23, v3
	v_dot4_i32_i8 v3, v56, v23, v11
	v_dot4_i32_i8 v11, v84, v23, v21
	v_dot4_i32_i8 v78, v53, v24, v2
	v_dot4_i32_i8 v79, v62, v24, v3
	v_dot4_i32_i8 v80, v86, v24, v11
	ds_read_b128 v[21:24], v65 offset:6176
	;; [unrolled: 18-line block ×3, first 2 shown]
	s_waitcnt lgkmcnt(0)
	v_dot4_i32_i8 v2, v10, v21, 0
	v_dot4_i32_i8 v2, v27, v22, v2
	;; [unrolled: 1-line block ×15, first 2 shown]
	ds_read2_b32 v[2:3], v67 offset0:4 offset1:5
	v_dot4_i32_i8 v86, v86, v24, v10
	ds_read_b128 v[21:24], v65 offset:16
	v_add_u32_e32 v11, 0x1090, v67
	v_add_u32_e32 v53, 0x3190, v67
	ds_read2_b32 v[25:26], v11 offset1:1
	ds_read2_b32 v[125:126], v53 offset1:1
	ds_read2_b32 v[53:54], v67 offset0:6 offset1:7
	s_waitcnt lgkmcnt(4)
	v_and_b32_e32 v115, 0xf0f0f0f, v2
	s_waitcnt lgkmcnt(3)
	v_dot4_i32_i8 v10, v115, v21, v114
	v_and_b32_e32 v27, 0xf0f0f0f, v3
	v_dot4_i32_i8 v10, v27, v22, v10
	s_waitcnt lgkmcnt(0)
	v_and_b32_e32 v127, 0xf0f0f0f, v53
	v_add_u32_e32 v29, 0x2110, v67
	v_dot4_i32_i8 v10, v127, v23, v10
	v_and_b32_e32 v13, 0xf0f0f0f, v54
	ds_read2_b32 v[123:124], v29 offset1:1
	v_dot4_i32_i8 v114, v13, v24, v10
	v_add_u32_e32 v10, 0x1098, v67
	ds_read2_b32 v[55:56], v10 offset1:1
	v_and_b32_e32 v28, 0xf0f0f0f, v25
	v_add_u32_e32 v10, 0x2118, v67
	v_dot4_i32_i8 v11, v28, v21, v113
	v_and_b32_e32 v121, 0xf0f0f0f, v125
	v_and_b32_e32 v64, 0xf0f0f0f, v26
	ds_read2_b32 v[62:63], v10 offset1:1
	s_waitcnt lgkmcnt(2)
	v_and_b32_e32 v29, 0xf0f0f0f, v123
	v_dot4_i32_i8 v30, v29, v21, v112
	v_dot4_i32_i8 v21, v121, v21, v111
	v_dot4_i32_i8 v11, v64, v22, v11
	v_and_b32_e32 v20, 0xf0f0f0f, v124
	v_and_b32_e32 v12, 0xf0f0f0f, v126
	s_waitcnt lgkmcnt(1)
	v_and_b32_e32 v14, 0xf0f0f0f, v55
	v_add_u32_e32 v10, 0x3198, v67
	v_dot4_i32_i8 v30, v20, v22, v30
	v_dot4_i32_i8 v21, v12, v22, v21
	;; [unrolled: 1-line block ×3, first 2 shown]
	ds_read2_b32 v[10:11], v10 offset1:1
	s_waitcnt lgkmcnt(1)
	v_and_b32_e32 v15, 0xf0f0f0f, v62
	v_dot4_i32_i8 v30, v15, v23, v30
	v_and_b32_e32 v17, 0xf0f0f0f, v56
	v_and_b32_e32 v0, 0xf0f0f0f, v63
	s_waitcnt lgkmcnt(0)
	v_and_b32_e32 v16, 0xf0f0f0f, v10
	v_dot4_i32_i8 v21, v16, v23, v21
	v_and_b32_e32 v31, 0xf0f0f0f, v11
	v_dot4_i32_i8 v113, v17, v24, v22
	v_dot4_i32_i8 v116, v0, v24, v30
	;; [unrolled: 1-line block ×3, first 2 shown]
	ds_read_b128 v[21:24], v65 offset:1040
	v_lshrrev_b32_e32 v10, 4, v10
	v_lshrrev_b32_e32 v11, 4, v11
	v_and_b32_e32 v10, 0xf0f0f0f, v10
	v_and_b32_e32 v11, 0xf0f0f0f, v11
	s_waitcnt lgkmcnt(0)
	v_dot4_i32_i8 v30, v115, v21, v94
	v_dot4_i32_i8 v30, v27, v22, v30
	;; [unrolled: 1-line block ×16, first 2 shown]
	ds_read_b128 v[21:24], v65 offset:2064
	v_add_u32_e32 v67, 32, v67
	s_waitcnt lgkmcnt(0)
	v_dot4_i32_i8 v30, v115, v21, v90
	v_dot4_i32_i8 v30, v27, v22, v30
	;; [unrolled: 1-line block ×16, first 2 shown]
	ds_read_b128 v[21:24], v65 offset:3088
	s_waitcnt lgkmcnt(0)
	v_dot4_i32_i8 v30, v115, v21, v88
	v_dot4_i32_i8 v30, v27, v22, v30
	;; [unrolled: 1-line block ×16, first 2 shown]
	ds_read_b128 v[21:24], v65 offset:4112
	s_waitcnt lgkmcnt(0)
	v_dot4_i32_i8 v30, v115, v21, v89
	v_dot4_i32_i8 v30, v27, v22, v30
	v_dot4_i32_i8 v88, v29, v21, v99
	v_dot4_i32_i8 v30, v127, v23, v30
	v_dot4_i32_i8 v88, v20, v22, v88
	v_dot4_i32_i8 v95, v13, v24, v30
	v_dot4_i32_i8 v30, v15, v23, v88
	v_dot4_i32_i8 v89, v0, v24, v30
	buffer_load_dword v30, off, s[20:23], 0 offset:64 ; 4-byte Folded Reload
	v_dot4_i32_i8 v32, v28, v21, v98
	v_dot4_i32_i8 v21, v121, v21, v100
	;; [unrolled: 1-line block ×8, first 2 shown]
	ds_read_b128 v[21:24], v65 offset:5136
	s_waitcnt lgkmcnt(0)
	v_dot4_i32_i8 v1, v28, v21, v1
	v_dot4_i32_i8 v18, v29, v21, v18
	v_dot4_i32_i8 v19, v121, v21, v19
	v_dot4_i32_i8 v1, v64, v22, v1
	v_dot4_i32_i8 v18, v20, v22, v18
	v_dot4_i32_i8 v19, v12, v22, v19
	v_dot4_i32_i8 v1, v14, v23, v1
	v_dot4_i32_i8 v18, v15, v23, v18
	v_dot4_i32_i8 v19, v16, v23, v19
	v_dot4_i32_i8 v97, v17, v24, v1
	v_dot4_i32_i8 v96, v0, v24, v18
	v_dot4_i32_i8 v94, v31, v24, v19
	s_waitcnt vmcnt(0)
	v_dot4_i32_i8 v30, v115, v21, v30
	v_dot4_i32_i8 v30, v27, v22, v30
	;; [unrolled: 1-line block ×4, first 2 shown]
	ds_read_b128 v[21:24], v65 offset:6160
	s_waitcnt lgkmcnt(0)
	v_dot4_i32_i8 v1, v115, v21, v6
	v_dot4_i32_i8 v1, v27, v22, v1
	;; [unrolled: 1-line block ×16, first 2 shown]
	ds_read_b128 v[21:24], v65 offset:7184
	s_waitcnt lgkmcnt(0)
	v_dot4_i32_i8 v8, v115, v21, v8
	v_dot4_i32_i8 v8, v27, v22, v8
	;; [unrolled: 1-line block ×16, first 2 shown]
	v_lshrrev_b32_e32 v23, 4, v125
	v_lshrrev_b32_e32 v24, 4, v126
	;; [unrolled: 1-line block ×4, first 2 shown]
	v_and_b32_e32 v31, 0xf0f0f0f, v23
	v_and_b32_e32 v32, 0xf0f0f0f, v24
	ds_read_b128 v[23:26], v65 offset:48
	ds_read_b128 v[107:110], v65 offset:1072
	v_lshrrev_b32_e32 v0, 4, v2
	v_lshrrev_b32_e32 v2, 4, v3
	;; [unrolled: 1-line block ×3, first 2 shown]
	v_and_b32_e32 v0, 0xf0f0f0f, v0
	v_lshrrev_b32_e32 v3, 4, v53
	v_lshrrev_b32_e32 v20, 4, v124
	;; [unrolled: 1-line block ×4, first 2 shown]
	v_and_b32_e32 v27, 0xf0f0f0f, v2
	v_and_b32_e32 v13, 0xf0f0f0f, v13
	;; [unrolled: 1-line block ×3, first 2 shown]
	s_waitcnt lgkmcnt(1)
	v_dot4_i32_i8 v2, v0, v23, v87
	v_lshrrev_b32_e32 v12, 4, v54
	v_lshrrev_b32_e32 v15, 4, v55
	v_and_b32_e32 v3, 0xf0f0f0f, v3
	v_and_b32_e32 v14, 0xf0f0f0f, v14
	;; [unrolled: 1-line block ×5, first 2 shown]
	v_dot4_i32_i8 v2, v27, v24, v2
	v_dot4_i32_i8 v21, v13, v23, v91
	;; [unrolled: 1-line block ×4, first 2 shown]
	v_lshrrev_b32_e32 v16, 4, v56
	v_and_b32_e32 v12, 0xf0f0f0f, v12
	v_and_b32_e32 v15, 0xf0f0f0f, v15
	v_dot4_i32_i8 v2, v3, v25, v2
	v_dot4_i32_i8 v21, v14, v24, v21
	;; [unrolled: 1-line block ×4, first 2 shown]
	v_and_b32_e32 v16, 0xf0f0f0f, v16
	v_dot4_i32_i8 v24, v12, v26, v2
	v_dot4_i32_i8 v2, v15, v25, v21
	;; [unrolled: 1-line block ×6, first 2 shown]
	s_waitcnt lgkmcnt(0)
	v_dot4_i32_i8 v2, v0, v107, v4
	v_dot4_i32_i8 v4, v13, v107, v60
	;; [unrolled: 1-line block ×16, first 2 shown]
	ds_read_b128 v[107:110], v65 offset:2096
	ds_read_b128 v[124:127], v65 offset:5168
	v_dot4_i32_i8 v21, v29, v26, v21
	s_waitcnt lgkmcnt(1)
	v_dot4_i32_i8 v4, v0, v107, v5
	v_dot4_i32_i8 v5, v13, v107, v69
	;; [unrolled: 1-line block ×4, first 2 shown]
	ds_read_b128 v[68:71], v65 offset:3120
	v_dot4_i32_i8 v4, v27, v108, v4
	v_dot4_i32_i8 v4, v3, v109, v4
	;; [unrolled: 1-line block ×10, first 2 shown]
	s_waitcnt lgkmcnt(0)
	v_dot4_i32_i8 v4, v0, v68, v33
	v_dot4_i32_i8 v91, v29, v110, v5
	;; [unrolled: 1-line block ×18, first 2 shown]
	ds_read_b128 v[69:72], v65 offset:4144
	s_waitcnt lgkmcnt(0)
	v_dot4_i32_i8 v4, v0, v69, v34
	v_dot4_i32_i8 v4, v27, v70, v4
	;; [unrolled: 1-line block ×18, first 2 shown]
	ds_read_b128 v[77:80], v65 offset:6192
	v_dot4_i32_i8 v71, v16, v72, v4
	v_dot4_i32_i8 v4, v0, v124, v57
	;; [unrolled: 1-line block ×12, first 2 shown]
	s_waitcnt lgkmcnt(0)
	v_dot4_i32_i8 v4, v0, v77, v58
	v_dot4_i32_i8 v74, v29, v127, v5
	;; [unrolled: 1-line block ×18, first 2 shown]
	ds_read_b128 v[77:80], v65 offset:7216
	buffer_load_dword v127, off, s[20:23], 0 offset:140 ; 4-byte Folded Reload
	v_add_u32_e32 v65, 64, v65
	s_waitcnt lgkmcnt(0)
	v_dot4_i32_i8 v0, v0, v77, v59
	v_dot4_i32_i8 v0, v27, v78, v0
	;; [unrolled: 1-line block ×8, first 2 shown]
	buffer_load_dword v0, off, s[20:23], 0 offset:120 ; 4-byte Folded Reload
	v_dot4_i32_i8 v5, v17, v77, v85
	v_dot4_i32_i8 v13, v31, v77, v86
	;; [unrolled: 1-line block ×8, first 2 shown]
	s_waitcnt vmcnt(0)
	v_lshlrev_b32_e32 v0, 4, v0
	v_add_u32_e32 v0, s1, v0
	v_add3_u32 v10, v127, s17, v0
	ds_read_u16 v3, v10 offset:25088
	s_add_i32 s1, s1, 2
	s_waitcnt lgkmcnt(0)
	v_and_b32_e32 v86, 0xff, v3
	v_lshrrev_b16_e32 v85, 8, v3
	v_mul_lo_u32 v3, v122, v86
	v_mul_lo_u32 v2, v2, v85
	;; [unrolled: 1-line block ×3, first 2 shown]
	v_cvt_f32_i32_e32 v11, v3
	v_cvt_f32_i32_e32 v12, v2
	ds_read2_b64 v[2:5], v66 offset1:16
	v_cvt_f32_i32_e32 v6, v6
	s_waitcnt lgkmcnt(0)
	v_fma_mix_f32 v11, v4, v11, 0 op_sel_hi:[1,0,0]
	v_fma_mix_f32 v83, v5, v12, v11 op_sel_hi:[1,0,0]
	v_mul_lo_u32 v11, v114, v86
	v_mul_lo_u32 v12, v24, v85
	v_cvt_f32_i32_e32 v11, v11
	v_cvt_f32_i32_e32 v12, v12
	v_fma_mix_f32 v11, v2, v11, 0 op_sel_hi:[1,0,0]
	v_fma_mix_f32 v84, v3, v12, v11 op_sel_hi:[1,0,0]
	buffer_load_dword v11, off, s[20:23], 0 offset:136 ; 4-byte Folded Reload
	s_waitcnt vmcnt(0)
	v_add3_u32 v11, v11, s17, v0
	ds_read_u16 v12, v11 offset:25600
	s_waitcnt lgkmcnt(0)
	v_and_b32_e32 v110, 0xff, v12
	v_lshrrev_b16_e32 v109, 8, v12
	v_mul_lo_u32 v12, v120, v110
	v_mul_lo_u32 v13, v23, v109
	;; [unrolled: 1-line block ×4, first 2 shown]
	v_cvt_f32_i32_e32 v12, v12
	v_cvt_f32_i32_e32 v13, v13
	;; [unrolled: 1-line block ×3, first 2 shown]
	v_fma_mix_f32 v12, v4, v12, 0 op_sel_hi:[1,0,0]
	v_fma_mix_f32 v77, v5, v13, v12 op_sel_hi:[1,0,0]
	v_mul_lo_u32 v12, v113, v110
	v_mul_lo_u32 v13, v115, v109
	v_cvt_f32_i32_e32 v12, v12
	v_cvt_f32_i32_e32 v13, v13
	v_fma_mix_f32 v12, v2, v12, 0 op_sel_hi:[1,0,0]
	v_fma_mix_f32 v78, v3, v13, v12 op_sel_hi:[1,0,0]
	buffer_load_dword v12, off, s[20:23], 0 offset:132 ; 4-byte Folded Reload
	s_waitcnt vmcnt(0)
	v_add3_u32 v12, v12, s17, v0
	ds_read_u16 v13, v12 offset:26112
	s_waitcnt lgkmcnt(0)
	v_and_b32_e32 v114, 0xff, v13
	v_lshrrev_b16_e32 v113, 8, v13
	v_mul_lo_u32 v13, v119, v114
	v_mul_lo_u32 v14, v22, v113
	;; [unrolled: 1-line block ×4, first 2 shown]
	v_cvt_f32_i32_e32 v13, v13
	v_cvt_f32_i32_e32 v14, v14
	;; [unrolled: 1-line block ×4, first 2 shown]
	v_fma_mix_f32 v13, v4, v13, 0 op_sel_hi:[1,0,0]
	v_fma_mix_f32 v79, v5, v14, v13 op_sel_hi:[1,0,0]
	v_mul_lo_u32 v13, v116, v114
	v_mul_lo_u32 v14, v21, v113
	v_cvt_f32_i32_e32 v13, v13
	v_cvt_f32_i32_e32 v14, v14
	v_fma_mix_f32 v13, v2, v13, 0 op_sel_hi:[1,0,0]
	v_fma_mix_f32 v80, v3, v14, v13 op_sel_hi:[1,0,0]
	buffer_load_dword v13, off, s[20:23], 0 offset:128 ; 4-byte Folded Reload
	s_waitcnt vmcnt(0)
	v_add3_u32 v0, v13, s17, v0
	ds_read_u16 v13, v0 offset:26624
	s_add_i32 s17, s16, 8
	s_mov_b32 s16, s17
	s_cmp_lt_u32 s18, 24
	s_waitcnt lgkmcnt(0)
	v_and_b32_e32 v116, 0xff, v13
	v_lshrrev_b16_e32 v115, 8, v13
	v_mul_lo_u32 v13, v118, v116
	v_mul_lo_u32 v14, v123, v115
	;; [unrolled: 1-line block ×4, first 2 shown]
	v_cvt_f32_i32_e32 v13, v13
	v_cvt_f32_i32_e32 v14, v14
	;; [unrolled: 1-line block ×4, first 2 shown]
	v_fma_mix_f32 v13, v4, v13, 0 op_sel_hi:[1,0,0]
	v_fma_mix_f32 v81, v5, v14, v13 op_sel_hi:[1,0,0]
	v_mul_lo_u32 v13, v117, v116
	v_mul_lo_u32 v14, v121, v115
	ds_read_u16 v117, v10 offset:25096
	ds_read_u16 v120, v11 offset:25608
	;; [unrolled: 1-line block ×4, first 2 shown]
	buffer_load_dword v62, off, s[20:23], 0 offset:152 ; 4-byte Folded Reload
	buffer_load_dword v63, off, s[20:23], 0 offset:196 ; 4-byte Folded Reload
	;; [unrolled: 1-line block ×3, first 2 shown]
	v_cvt_f32_i32_e32 v13, v13
	v_cvt_f32_i32_e32 v14, v14
	s_waitcnt lgkmcnt(3)
	v_cvt_f32_ubyte0_e32 v0, v117
	v_cvt_f32_ubyte1_e32 v10, v117
	v_fma_mix_f32 v15, v0, v2, 0 op_sel:[0,1,0] op_sel_hi:[0,1,0]
	s_waitcnt lgkmcnt(2)
	v_cvt_f32_ubyte0_e32 v11, v120
	v_fma_mix_f32 v123, v10, v3, v15 op_sel:[0,1,0] op_sel_hi:[0,1,0]
	v_fma_mix_f32 v15, v0, v4, 0 op_sel:[0,1,0] op_sel_hi:[0,1,0]
	v_fma_mix_f32 v13, v2, v13, 0 op_sel_hi:[1,0,0]
	v_cvt_f32_ubyte1_e32 v12, v120
	v_fma_mix_f32 v124, v10, v5, v15 op_sel:[0,1,0] op_sel_hi:[0,1,0]
	v_fma_mix_f32 v15, v11, v2, 0 op_sel:[0,1,0] op_sel_hi:[0,1,0]
	v_fma_mix_f32 v82, v3, v14, v13 op_sel_hi:[1,0,0]
	s_waitcnt lgkmcnt(1)
	v_cvt_f32_ubyte0_e32 v13, v119
	s_waitcnt lgkmcnt(0)
	v_cvt_f32_ubyte0_e32 v126, v118
	v_fma_mix_f32 v117, v12, v3, v15 op_sel:[0,1,0] op_sel_hi:[0,1,0]
	v_fma_mix_f32 v15, v11, v4, 0 op_sel:[0,1,0] op_sel_hi:[0,1,0]
	v_cvt_f32_ubyte1_e32 v14, v119
	v_cvt_f32_ubyte1_e32 v125, v118
	v_fma_mix_f32 v119, v12, v5, v15 op_sel:[0,1,0] op_sel_hi:[0,1,0]
	v_fma_mix_f32 v15, v13, v2, 0 op_sel:[0,1,0] op_sel_hi:[0,1,0]
	;; [unrolled: 1-line block ×7, first 2 shown]
	v_mul_lo_u32 v2, v112, v86
	v_mul_lo_u32 v3, v108, v85
	v_fma_mix_f32 v15, v13, v4, 0 op_sel:[0,1,0] op_sel_hi:[0,1,0]
	v_fma_mix_f32 v121, v14, v5, v15 op_sel:[0,1,0] op_sel_hi:[0,1,0]
	v_cvt_f32_i32_e32 v15, v2
	v_cvt_f32_i32_e32 v16, v3
	ds_read2_b64 v[2:5], v66 offset0:32 offset1:48
	v_mul_lo_u32 v20, v59, v115
	s_waitcnt lgkmcnt(0)
	v_fma_mix_f32 v15, v15, v4, 0 op_sel_hi:[0,1,0]
	v_fma_mix_f32 v108, v16, v5, v15 op_sel_hi:[0,1,0]
	v_mul_lo_u32 v15, v105, v86
	v_mul_lo_u32 v16, v99, v85
	v_cvt_f32_i32_e32 v15, v15
	v_cvt_f32_i32_e32 v16, v16
	v_fma_mix_f32 v15, v15, v2, 0 op_sel_hi:[0,1,0]
	v_fma_mix_f32 v105, v16, v3, v15 op_sel_hi:[0,1,0]
	v_mul_lo_u32 v15, v111, v110
	v_mul_lo_u32 v16, v107, v109
	v_cvt_f32_i32_e32 v15, v15
	v_cvt_f32_i32_e32 v16, v16
	;; [unrolled: 6-line block ×7, first 2 shown]
	v_fma_mix_f32 v15, v15, v2, 0 op_sel_hi:[0,1,0]
	v_fma_mix_f32 v26, v16, v3, v15 op_sel_hi:[0,1,0]
	v_fma_mix_f32 v15, v0, v2, 0 op_sel:[0,1,0] op_sel_hi:[0,1,0]
	v_fma_mix_f32 v101, v10, v3, v15 op_sel:[0,1,0] op_sel_hi:[0,1,0]
	;; [unrolled: 1-line block ×14, first 2 shown]
	v_mul_lo_u32 v2, v98, v86
	v_mul_lo_u32 v3, v76, v85
	v_fma_mix_f32 v15, v13, v4, 0 op_sel:[0,1,0] op_sel_hi:[0,1,0]
	v_fma_mix_f32 v99, v14, v5, v15 op_sel:[0,1,0] op_sel_hi:[0,1,0]
	v_cvt_f32_i32_e32 v15, v2
	v_cvt_f32_i32_e32 v16, v3
	ds_read2_b64 v[2:5], v66 offset0:64 offset1:80
	v_mul_f32_e32 v28, v101, v52
	v_fma_f32 v28, v105, v49, -v28
	v_add_f32_e32 v41, v41, v28
	s_waitcnt lgkmcnt(0)
	v_fma_mix_f32 v15, v15, v4, 0 op_sel_hi:[0,1,0]
	v_fma_mix_f32 v103, v16, v5, v15 op_sel_hi:[0,1,0]
	v_mul_lo_u32 v15, v95, v86
	v_mul_lo_u32 v16, v73, v85
	v_cvt_f32_i32_e32 v15, v15
	v_cvt_f32_i32_e32 v16, v16
	v_fma_mix_f32 v15, v15, v2, 0 op_sel_hi:[0,1,0]
	v_fma_mix_f32 v104, v16, v3, v15 op_sel_hi:[0,1,0]
	v_mul_lo_u32 v15, v97, v110
	v_mul_lo_u32 v16, v75, v109
	v_cvt_f32_i32_e32 v15, v15
	v_cvt_f32_i32_e32 v16, v16
	;; [unrolled: 6-line block ×7, first 2 shown]
	v_fma_mix_f32 v15, v15, v2, 0 op_sel_hi:[0,1,0]
	v_fma_mix_f32 v69, v16, v3, v15 op_sel_hi:[0,1,0]
	v_fma_mix_f32 v15, v0, v2, 0 op_sel:[0,1,0] op_sel_hi:[0,1,0]
	v_fma_mix_f32 v106, v10, v3, v15 op_sel:[0,1,0] op_sel_hi:[0,1,0]
	;; [unrolled: 1-line block ×16, first 2 shown]
	ds_read2_b64 v[2:5], v66 offset0:96 offset1:112
	v_mul_lo_u32 v16, v61, v109
	buffer_load_dword v61, off, s[20:23], 0 offset:188 ; 4-byte Folded Reload
	buffer_load_dword v33, off, s[20:23], 0 offset:176 ; 4-byte Folded Reload
	s_waitcnt vmcnt(3)
	v_mul_f32_e32 v57, v90, v63
	s_waitcnt lgkmcnt(0)
	v_fma_mix_f32 v15, v0, v4, 0 op_sel:[0,1,0] op_sel_hi:[0,1,0]
	v_fma_mix_f32 v0, v0, v2, 0 op_sel:[0,1,0] op_sel_hi:[0,1,0]
	v_fma_mix_f32 v112, v10, v3, v0 op_sel:[0,1,0] op_sel_hi:[0,1,0]
	v_fma_mix_f32 v111, v10, v5, v15 op_sel:[0,1,0] op_sel_hi:[0,1,0]
	v_fma_mix_f32 v0, v11, v4, 0 op_sel:[0,1,0] op_sel_hi:[0,1,0]
	v_fma_mix_f32 v10, v11, v2, 0 op_sel:[0,1,0] op_sel_hi:[0,1,0]
	v_fma_mix_f32 v95, v12, v3, v10 op_sel:[0,1,0] op_sel_hi:[0,1,0]
	v_fma_mix_f32 v96, v12, v5, v0 op_sel:[0,1,0] op_sel_hi:[0,1,0]
	v_fma_mix_f32 v0, v13, v4, 0 op_sel:[0,1,0] op_sel_hi:[0,1,0]
	v_fma_mix_f32 v10, v13, v2, 0 op_sel:[0,1,0] op_sel_hi:[0,1,0]
	v_fma_mix_f32 v97, v14, v3, v10 op_sel:[0,1,0] op_sel_hi:[0,1,0]
	v_fma_mix_f32 v98, v14, v5, v0 op_sel:[0,1,0] op_sel_hi:[0,1,0]
	v_mul_lo_u32 v14, v19, v110
	v_mul_lo_u32 v19, v34, v113
	buffer_load_dword v34, off, s[20:23], 0 offset:180 ; 4-byte Folded Reload
	v_mul_lo_u32 v11, v18, v86
	v_mul_lo_u32 v12, v68, v85
	v_mul_lo_u32 v13, v58, v85
	buffer_load_dword v68, off, s[20:23], 0 offset:172 ; 4-byte Folded Reload
	v_cvt_f32_i32_e32 v11, v11
	v_cvt_f32_i32_e32 v12, v12
	v_mul_f32_e32 v56, v75, v62
	s_waitcnt vmcnt(4)
	v_mul_f32_e32 v58, v76, v64
	v_fma_mix_f32 v11, v11, v4, 0 op_sel_hi:[0,1,0]
	v_fma_mix_f32 v11, v12, v5, v11 op_sel_hi:[0,1,0]
	v_cvt_f32_i32_e32 v12, v13
	v_cvt_f32_i32_e32 v14, v14
	;; [unrolled: 1-line block ×3, first 2 shown]
	v_mul_lo_u32 v18, v60, v113
	v_fma_mix_f32 v6, v6, v2, 0 op_sel_hi:[0,1,0]
	v_fma_mix_f32 v14, v14, v4, 0 op_sel_hi:[0,1,0]
	;; [unrolled: 1-line block ×3, first 2 shown]
	v_cvt_f32_i32_e32 v16, v17
	v_fma_mix_f32 v7, v7, v2, 0 op_sel_hi:[0,1,0]
	v_fma_mix_f32 v6, v12, v3, v6 op_sel_hi:[0,1,0]
	v_mul_f32_e32 v12, v123, v52
	v_fma_mix_f32 v7, v16, v3, v7 op_sel_hi:[0,1,0]
	v_cvt_f32_i32_e32 v16, v18
	v_fma_f32 v12, v84, v49, -v12
	v_fma_mix_f32 v10, v126, v2, 0 op_sel:[0,1,0] op_sel_hi:[0,1,0]
	v_fma_mix_f32 v10, v125, v3, v10 op_sel:[0,1,0] op_sel_hi:[0,1,0]
	v_fma_mix_f32 v9, v9, v4, 0 op_sel_hi:[0,1,0]
	v_fma_mix_f32 v9, v16, v5, v9 op_sel_hi:[0,1,0]
	v_cvt_f32_i32_e32 v16, v19
	v_mul_lo_u32 v15, v30, v116
	v_fma_mix_f32 v0, v126, v4, 0 op_sel:[0,1,0] op_sel_hi:[0,1,0]
	v_fma_mix_f32 v1, v1, v2, 0 op_sel_hi:[0,1,0]
	v_fma_mix_f32 v4, v8, v4, 0 op_sel_hi:[0,1,0]
	v_cvt_f32_i32_e32 v15, v15
	v_mul_f32_e32 v8, v117, v62
	v_fma_mix_f32 v1, v16, v3, v1 op_sel_hi:[0,1,0]
	v_cvt_f32_i32_e32 v16, v20
	v_fma_mix_f32 v2, v15, v2, 0 op_sel_hi:[0,1,0]
	v_fma_mix_f32 v2, v27, v3, v2 op_sel_hi:[0,1,0]
	v_fma_mix_f32 v0, v125, v5, v0 op_sel:[0,1,0] op_sel_hi:[0,1,0]
	v_fma_mix_f32 v4, v16, v5, v4 op_sel_hi:[0,1,0]
	v_mul_f32_e32 v32, v112, v52
	v_fma_f32 v6, v6, v49, -v32
	v_mul_f32_e32 v16, v121, v63
	v_mul_f32_e32 v30, v106, v52
	v_fma_f32 v30, v104, v49, -v30
	v_mul_f32_e32 v17, v118, v64
	v_add_u32_e32 v66, 8, v66
	s_waitcnt vmcnt(3)
	v_mul_f32_e32 v5, v119, v61
	v_mul_f32_e32 v55, v88, v61
	;; [unrolled: 1-line block ×4, first 2 shown]
	s_waitcnt vmcnt(1)
	v_mul_f32_e32 v13, v124, v34
	v_fma_f32 v13, v83, v33, -v13
	buffer_load_dword v83, off, s[20:23], 0 offset:204 ; 4-byte Folded Reload
	buffer_load_dword v75, off, s[20:23], 0 ; 4-byte Folded Reload
	buffer_load_dword v76, off, s[20:23], 0 offset:4 ; 4-byte Folded Reload
	s_waitcnt vmcnt(3)
	v_mul_f32_e32 v19, v120, v68
	v_mul_f32_e32 v54, v93, v68
	;; [unrolled: 1-line block ×7, first 2 shown]
	v_fma_f32 v29, v108, v33, -v29
	v_fma_f32 v31, v103, v33, -v31
	;; [unrolled: 1-line block ×3, first 2 shown]
	v_mul_f32_e32 v32, v87, v62
	v_mul_f32_e32 v33, v99, v63
	v_add_f32_e32 v42, v42, v29
	v_mul_f32_e32 v34, v91, v64
	v_mul_f32_e32 v62, v95, v62
	;; [unrolled: 1-line block ×4, first 2 shown]
	s_waitcnt vmcnt(1)
	v_add_f32_e32 v75, v75, v12
	s_waitcnt vmcnt(0)
	v_add_f32_e32 v76, v76, v13
	buffer_store_dword v75, off, s[20:23], 0 ; 4-byte Folded Spill
	s_nop 0
	buffer_store_dword v76, off, s[20:23], 0 offset:4 ; 4-byte Folded Spill
	buffer_load_dword v68, off, s[20:23], 0 offset:124 ; 4-byte Folded Reload
	v_mul_f32_e32 v0, v0, v83
	buffer_load_dword v75, off, s[20:23], 0 offset:156 ; 4-byte Folded Reload
	buffer_load_dword v76, off, s[20:23], 0 offset:168 ; 4-byte Folded Reload
	v_mul_f32_e32 v53, v100, v83
	v_mul_f32_e32 v18, v122, v83
	;; [unrolled: 1-line block ×3, first 2 shown]
	s_waitcnt vmcnt(2)
	v_fma_f32 v3, v78, v68, -v8
	buffer_load_dword v78, off, s[20:23], 0 offset:184 ; 4-byte Folded Reload
	v_add_f32_e32 v50, v50, v3
	s_waitcnt vmcnt(1)
	v_fma_f32 v13, v82, v76, -v19
	v_fma_f32 v8, v80, v75, -v17
	;; [unrolled: 1-line block ×4, first 2 shown]
	v_add_f32_e32 v35, v35, v8
	v_add_f32_e32 v37, v37, v13
	s_waitcnt vmcnt(0)
	v_fma_f32 v5, v77, v78, -v5
	buffer_load_dword v77, off, s[20:23], 0 offset:192 ; 4-byte Folded Reload
	v_fma_f32 v17, v21, v78, -v20
	v_fma_f32 v20, v26, v76, -v54
	;; [unrolled: 1-line block ×3, first 2 shown]
	v_add_f32_e32 v51, v51, v5
	v_add_f32_e32 v44, v44, v17
	;; [unrolled: 1-line block ×4, first 2 shown]
	s_waitcnt vmcnt(0)
	v_fma_f32 v12, v79, v77, -v16
	buffer_load_dword v79, off, s[20:23], 0 offset:200 ; 4-byte Folded Reload
	v_fma_f32 v16, v22, v68, -v32
	v_fma_f32 v19, v23, v77, -v33
	buffer_load_dword v22, off, s[20:23], 0 offset:16 ; 4-byte Folded Reload
	buffer_load_dword v23, off, s[20:23], 0 offset:20 ; 4-byte Folded Reload
	v_fma_f32 v9, v9, v77, -v63
	v_add_f32_e32 v36, v36, v12
	v_add_f32_e32 v43, v43, v16
	v_add_f32_e32 v46, v46, v19
	s_waitcnt vmcnt(2)
	v_fma_f32 v0, v4, v79, -v0
	v_fma_f32 v21, v25, v79, -v53
	s_waitcnt vmcnt(1)
	v_add_f32_e32 v22, v22, v30
	s_waitcnt vmcnt(0)
	v_add_f32_e32 v23, v23, v31
	buffer_load_dword v31, off, s[20:23], 0 offset:40 ; 4-byte Folded Reload
	buffer_load_dword v32, off, s[20:23], 0 offset:44 ; 4-byte Folded Reload
	s_nop 0
	buffer_store_dword v22, off, s[20:23], 0 offset:16 ; 4-byte Folded Spill
	s_nop 0
	buffer_store_dword v23, off, s[20:23], 0 offset:20 ; 4-byte Folded Spill
	buffer_load_dword v29, off, s[20:23], 0 offset:32 ; 4-byte Folded Reload
	buffer_load_dword v30, off, s[20:23], 0 offset:36 ; 4-byte Folded Reload
	;; [unrolled: 1-line block ×4, first 2 shown]
	v_fma_f32 v22, v71, v68, -v56
	v_fma_f32 v23, v73, v78, -v55
	v_add_f32_e32 v48, v48, v21
	v_fma_f32 v15, v81, v79, -v18
	v_fma_f32 v18, v24, v75, -v34
	;; [unrolled: 1-line block ×5, first 2 shown]
	v_add_f32_e32 v38, v38, v15
	v_add_f32_e32 v45, v45, v18
	;; [unrolled: 1-line block ×3, first 2 shown]
	s_waitcnt vmcnt(3)
	v_add_f32_e32 v29, v29, v6
	s_waitcnt vmcnt(1)
	v_add_f32_e32 v3, v3, v22
	;; [unrolled: 2-line block ×3, first 2 shown]
	buffer_store_dword v3, off, s[20:23], 0 offset:8 ; 4-byte Folded Spill
	s_nop 0
	buffer_store_dword v4, off, s[20:23], 0 offset:12 ; 4-byte Folded Spill
	buffer_load_dword v21, off, s[20:23], 0 offset:48 ; 4-byte Folded Reload
	buffer_load_dword v22, off, s[20:23], 0 offset:52 ; 4-byte Folded Reload
	s_nop 0
	buffer_load_dword v3, off, s[20:23], 0 offset:24 ; 4-byte Folded Reload
	buffer_load_dword v4, off, s[20:23], 0 offset:28 ; 4-byte Folded Reload
	v_fma_f32 v6, v7, v68, -v62
	v_fma_f32 v7, v14, v78, -v61
	v_add_f32_e32 v30, v30, v11
	v_add_f32_e32 v32, v32, v7
	;; [unrolled: 1-line block ×3, first 2 shown]
	s_waitcnt vmcnt(3)
	v_add_f32_e32 v21, v21, v1
	s_waitcnt vmcnt(2)
	v_add_f32_e32 v22, v22, v9
	;; [unrolled: 2-line block ×4, first 2 shown]
	buffer_store_dword v3, off, s[20:23], 0 offset:24 ; 4-byte Folded Spill
	s_nop 0
	buffer_store_dword v4, off, s[20:23], 0 offset:28 ; 4-byte Folded Spill
	buffer_load_dword v23, off, s[20:23], 0 offset:56 ; 4-byte Folded Reload
	buffer_load_dword v24, off, s[20:23], 0 offset:60 ; 4-byte Folded Reload
	s_waitcnt vmcnt(1)
	v_add_f32_e32 v23, v23, v2
	s_waitcnt vmcnt(0)
	v_add_f32_e32 v24, v24, v0
	s_cbranch_scc1 .LBB151_8
; %bb.9:                                ;   in Loop: Header=BB151_5 Depth=1
	v_mov_b32_e32 v9, v50
	v_mov_b32_e32 v10, v51
	;; [unrolled: 1-line block ×16, first 2 shown]
	buffer_load_dword v41, off, s[20:23], 0 offset:24 ; 4-byte Folded Reload
	buffer_load_dword v42, off, s[20:23], 0 offset:28 ; 4-byte Folded Reload
	;; [unrolled: 1-line block ×6, first 2 shown]
	buffer_load_dword v35, off, s[20:23], 0 ; 4-byte Folded Reload
	buffer_load_dword v36, off, s[20:23], 0 offset:4 ; 4-byte Folded Reload
	s_waitcnt vmcnt(0)
	s_barrier
	buffer_load_dword v26, off, s[20:23], 0 offset:384 ; 4-byte Folded Reload
	buffer_load_dword v33, off, s[20:23], 0 offset:120 ; 4-byte Folded Reload
	;; [unrolled: 1-line block ×3, first 2 shown]
	s_add_i32 s7, s7, 1
	s_cmp_eq_u32 s7, s4
	s_cbranch_scc0 .LBB151_5
; %bb.10:
	v_cvt_f16_f32_e32 v2, v10
	v_cvt_f16_f32_e32 v3, v9
	;; [unrolled: 1-line block ×5, first 2 shown]
	v_pack_b32_f16 v18, v3, v2
	v_cvt_f16_f32_e32 v2, v48
	v_pack_b32_f16 v17, v5, v4
	v_cvt_f16_f32_e32 v3, v47
	v_cvt_f16_f32_e32 v4, v50
	;; [unrolled: 1-line block ×4, first 2 shown]
	v_pack_b32_f16 v14, v3, v2
	v_cvt_f16_f32_e32 v2, v40
	v_pack_b32_f16 v13, v5, v4
	v_cvt_f16_f32_e32 v3, v39
	v_cvt_f16_f32_e32 v4, v42
	;; [unrolled: 1-line block ×4, first 2 shown]
	v_pack_b32_f16 v10, v3, v2
	v_cvt_f16_f32_e32 v2, v32
	v_pack_b32_f16 v9, v5, v4
	v_cvt_f16_f32_e32 v4, v31
	v_cvt_f16_f32_e32 v1, v35
	v_pack_b32_f16 v16, v7, v6
	v_cvt_f16_f32_e32 v6, v52
	v_pack_b32_f16 v2, v4, v2
	buffer_load_dword v4, off, s[20:23], 0 offset:528 ; 4-byte Folded Reload
	v_pack_b32_f16 v19, v1, v0
	v_cvt_f16_f32_e32 v0, v46
	v_cvt_f16_f32_e32 v1, v45
	;; [unrolled: 1-line block ×5, first 2 shown]
	v_pack_b32_f16 v15, v1, v0
	v_pack_b32_f16 v12, v7, v6
	v_cvt_f16_f32_e32 v0, v38
	v_cvt_f16_f32_e32 v1, v37
	;; [unrolled: 1-line block ×4, first 2 shown]
	v_pack_b32_f16 v11, v1, v0
	v_cvt_f16_f32_e32 v0, v30
	v_pack_b32_f16 v8, v7, v6
	v_cvt_f16_f32_e32 v1, v29
	v_cvt_f16_f32_e32 v6, v21
	;; [unrolled: 1-line block ×3, first 2 shown]
	v_pack_b32_f16 v3, v1, v0
	v_pack_b32_f16 v1, v6, v5
	;; [unrolled: 1-line block ×3, first 2 shown]
.LBB151_11:
	s_waitcnt vmcnt(0)
	v_cmp_gt_u32_e32 vcc, s8, v4
	s_and_saveexec_b64 s[0:1], vcc
	s_cbranch_execz .LBB151_62
; %bb.12:
	v_mul_lo_u32 v20, v4, s10
	v_add_u32_e32 v4, s6, v33
	v_cmp_gt_u32_e32 vcc, s10, v4
	s_and_saveexec_b64 s[2:3], vcc
	s_cbranch_execz .LBB151_14
; %bb.13:
	v_add_u32_e32 v5, v4, v20
	v_mov_b32_e32 v6, 0
	v_lshlrev_b64 v[5:6], 1, v[5:6]
	s_waitcnt lgkmcnt(0)
	v_mov_b32_e32 v7, s13
	v_add_co_u32_e64 v5, s[0:1], s12, v5
	v_addc_co_u32_e64 v6, s[0:1], v7, v6, s[0:1]
	global_store_short v[5:6], v19, off
.LBB151_14:
	s_or_b64 exec, exec, s[2:3]
	v_add_u32_e32 v5, 32, v4
	v_cmp_gt_u32_e64 s[0:1], s10, v5
	s_and_saveexec_b64 s[4:5], s[0:1]
	s_cbranch_execz .LBB151_16
; %bb.15:
	v_add_u32_e32 v6, v5, v20
	v_mov_b32_e32 v7, 0
	v_lshlrev_b64 v[6:7], 1, v[6:7]
	s_waitcnt lgkmcnt(0)
	v_mov_b32_e32 v21, s13
	v_add_co_u32_e64 v6, s[2:3], s12, v6
	v_addc_co_u32_e64 v7, s[2:3], v21, v7, s[2:3]
	global_store_short v[6:7], v18, off
.LBB151_16:
	s_or_b64 exec, exec, s[4:5]
	v_add_u32_e32 v6, 64, v4
	v_cmp_gt_u32_e64 s[2:3], s10, v6
	s_and_saveexec_b64 s[6:7], s[2:3]
	;; [unrolled: 15-line block ×3, first 2 shown]
	s_cbranch_execz .LBB151_20
; %bb.19:
	v_add_u32_e32 v20, v7, v20
	v_mov_b32_e32 v21, 0
	v_lshlrev_b64 v[20:21], 1, v[20:21]
	s_waitcnt lgkmcnt(0)
	v_mov_b32_e32 v22, s13
	v_add_co_u32_e64 v20, s[6:7], s12, v20
	v_addc_co_u32_e64 v21, s[6:7], v22, v21, s[6:7]
	global_store_short v[20:21], v16, off
.LBB151_20:
	s_or_b64 exec, exec, s[14:15]
	v_add3_u32 v20, v26, s11, 8
	v_cmp_gt_u32_e64 s[6:7], s8, v20
	s_and_b64 exec, exec, s[6:7]
	s_cbranch_execz .LBB151_62
; %bb.21:
	v_mul_lo_u32 v20, v20, s10
	s_and_saveexec_b64 s[14:15], vcc
	s_cbranch_execnz .LBB151_63
; %bb.22:
	s_or_b64 exec, exec, s[14:15]
	s_and_saveexec_b64 s[14:15], s[0:1]
	s_cbranch_execnz .LBB151_64
.LBB151_23:
	s_or_b64 exec, exec, s[14:15]
	s_and_saveexec_b64 s[14:15], s[2:3]
	s_cbranch_execnz .LBB151_65
.LBB151_24:
	s_or_b64 exec, exec, s[14:15]
	s_and_saveexec_b64 s[14:15], s[4:5]
	s_cbranch_execz .LBB151_26
.LBB151_25:
	v_add_u32_e32 v17, v20, v7
	v_mov_b32_e32 v18, 0
	v_lshlrev_b64 v[17:18], 1, v[17:18]
	s_waitcnt lgkmcnt(0)
	v_mov_b32_e32 v19, s13
	v_add_co_u32_e64 v17, s[6:7], s12, v17
	v_addc_co_u32_e64 v18, s[6:7], v19, v18, s[6:7]
	global_store_short_d16_hi v[17:18], v16, off
.LBB151_26:
	s_or_b64 exec, exec, s[14:15]
	v_add3_u32 v16, v26, s11, 16
	v_cmp_gt_u32_e64 s[6:7], s8, v16
	s_and_b64 exec, exec, s[6:7]
	s_cbranch_execz .LBB151_62
; %bb.27:
	v_mul_lo_u32 v16, v16, s10
	s_and_saveexec_b64 s[14:15], vcc
	s_cbranch_execnz .LBB151_66
; %bb.28:
	s_or_b64 exec, exec, s[14:15]
	s_and_saveexec_b64 s[14:15], s[0:1]
	s_cbranch_execnz .LBB151_67
.LBB151_29:
	s_or_b64 exec, exec, s[14:15]
	s_and_saveexec_b64 s[14:15], s[2:3]
	s_cbranch_execnz .LBB151_68
.LBB151_30:
	s_or_b64 exec, exec, s[14:15]
	s_and_saveexec_b64 s[14:15], s[4:5]
	s_cbranch_execz .LBB151_32
.LBB151_31:
	v_add_u32_e32 v16, v16, v7
	v_mov_b32_e32 v17, 0
	v_lshlrev_b64 v[16:17], 1, v[16:17]
	s_waitcnt lgkmcnt(0)
	v_mov_b32_e32 v18, s13
	v_add_co_u32_e64 v16, s[6:7], s12, v16
	v_addc_co_u32_e64 v17, s[6:7], v18, v17, s[6:7]
	global_store_short v[16:17], v12, off
.LBB151_32:
	s_or_b64 exec, exec, s[14:15]
	v_add3_u32 v16, v26, s11, 24
	v_cmp_gt_u32_e64 s[6:7], s8, v16
	s_and_b64 exec, exec, s[6:7]
	s_cbranch_execz .LBB151_62
; %bb.33:
	v_mul_lo_u32 v16, v16, s10
	s_and_saveexec_b64 s[14:15], vcc
	s_cbranch_execnz .LBB151_69
; %bb.34:
	s_or_b64 exec, exec, s[14:15]
	s_and_saveexec_b64 s[14:15], s[0:1]
	s_cbranch_execnz .LBB151_70
.LBB151_35:
	s_or_b64 exec, exec, s[14:15]
	s_and_saveexec_b64 s[14:15], s[2:3]
	s_cbranch_execnz .LBB151_71
.LBB151_36:
	s_or_b64 exec, exec, s[14:15]
	s_and_saveexec_b64 s[14:15], s[4:5]
	s_cbranch_execz .LBB151_38
.LBB151_37:
	v_add_u32_e32 v13, v16, v7
	v_mov_b32_e32 v14, 0
	v_lshlrev_b64 v[13:14], 1, v[13:14]
	s_waitcnt lgkmcnt(0)
	v_mov_b32_e32 v15, s13
	v_add_co_u32_e64 v13, s[6:7], s12, v13
	v_addc_co_u32_e64 v14, s[6:7], v15, v14, s[6:7]
	global_store_short_d16_hi v[13:14], v12, off
.LBB151_38:
	s_or_b64 exec, exec, s[14:15]
	v_add3_u32 v12, v26, s11, 32
	v_cmp_gt_u32_e64 s[6:7], s8, v12
	s_and_b64 exec, exec, s[6:7]
	s_cbranch_execz .LBB151_62
; %bb.39:
	v_mul_lo_u32 v12, v12, s10
	s_and_saveexec_b64 s[14:15], vcc
	s_cbranch_execnz .LBB151_72
; %bb.40:
	s_or_b64 exec, exec, s[14:15]
	s_and_saveexec_b64 s[14:15], s[0:1]
	s_cbranch_execnz .LBB151_73
.LBB151_41:
	s_or_b64 exec, exec, s[14:15]
	s_and_saveexec_b64 s[14:15], s[2:3]
	s_cbranch_execnz .LBB151_74
.LBB151_42:
	s_or_b64 exec, exec, s[14:15]
	s_and_saveexec_b64 s[14:15], s[4:5]
	s_cbranch_execz .LBB151_44
.LBB151_43:
	v_add_u32_e32 v12, v12, v7
	v_mov_b32_e32 v13, 0
	v_lshlrev_b64 v[12:13], 1, v[12:13]
	s_waitcnt lgkmcnt(0)
	v_mov_b32_e32 v14, s13
	v_add_co_u32_e64 v12, s[6:7], s12, v12
	v_addc_co_u32_e64 v13, s[6:7], v14, v13, s[6:7]
	global_store_short v[12:13], v8, off
.LBB151_44:
	s_or_b64 exec, exec, s[14:15]
	v_add3_u32 v12, v26, s11, 40
	v_cmp_gt_u32_e64 s[6:7], s8, v12
	s_and_b64 exec, exec, s[6:7]
	s_cbranch_execz .LBB151_62
; %bb.45:
	v_mul_lo_u32 v12, v12, s10
	s_and_saveexec_b64 s[14:15], vcc
	s_cbranch_execnz .LBB151_75
; %bb.46:
	s_or_b64 exec, exec, s[14:15]
	s_and_saveexec_b64 s[14:15], s[0:1]
	s_cbranch_execnz .LBB151_76
.LBB151_47:
	s_or_b64 exec, exec, s[14:15]
	s_and_saveexec_b64 s[14:15], s[2:3]
	s_cbranch_execnz .LBB151_77
.LBB151_48:
	s_or_b64 exec, exec, s[14:15]
	s_and_saveexec_b64 s[14:15], s[4:5]
	s_cbranch_execz .LBB151_50
.LBB151_49:
	v_add_u32_e32 v9, v12, v7
	v_mov_b32_e32 v10, 0
	v_lshlrev_b64 v[9:10], 1, v[9:10]
	s_waitcnt lgkmcnt(0)
	v_mov_b32_e32 v11, s13
	v_add_co_u32_e64 v9, s[6:7], s12, v9
	v_addc_co_u32_e64 v10, s[6:7], v11, v10, s[6:7]
	global_store_short_d16_hi v[9:10], v8, off
.LBB151_50:
	s_or_b64 exec, exec, s[14:15]
	v_add3_u32 v8, v26, s11, 48
	v_cmp_gt_u32_e64 s[6:7], s8, v8
	s_and_b64 exec, exec, s[6:7]
	s_cbranch_execz .LBB151_62
; %bb.51:
	v_mul_lo_u32 v8, v8, s10
	s_and_saveexec_b64 s[14:15], vcc
	s_cbranch_execnz .LBB151_78
; %bb.52:
	s_or_b64 exec, exec, s[14:15]
	s_and_saveexec_b64 s[14:15], s[0:1]
	s_cbranch_execnz .LBB151_79
.LBB151_53:
	s_or_b64 exec, exec, s[14:15]
	s_and_saveexec_b64 s[14:15], s[2:3]
	s_cbranch_execnz .LBB151_80
.LBB151_54:
	s_or_b64 exec, exec, s[14:15]
	s_and_saveexec_b64 s[14:15], s[4:5]
	s_cbranch_execz .LBB151_56
.LBB151_55:
	v_add_u32_e32 v8, v8, v7
	v_mov_b32_e32 v9, 0
	v_lshlrev_b64 v[8:9], 1, v[8:9]
	s_waitcnt lgkmcnt(0)
	v_mov_b32_e32 v10, s13
	v_add_co_u32_e64 v8, s[6:7], s12, v8
	v_addc_co_u32_e64 v9, s[6:7], v10, v9, s[6:7]
	global_store_short v[8:9], v0, off
.LBB151_56:
	s_or_b64 exec, exec, s[14:15]
	v_add3_u32 v8, v26, s11, 56
	v_cmp_gt_u32_e64 s[6:7], s8, v8
	s_and_b64 exec, exec, s[6:7]
	s_cbranch_execz .LBB151_62
; %bb.57:
	v_mul_lo_u32 v8, v8, s10
	s_and_saveexec_b64 s[6:7], vcc
	s_cbranch_execnz .LBB151_81
; %bb.58:
	s_or_b64 exec, exec, s[6:7]
	s_and_saveexec_b64 s[6:7], s[0:1]
	s_cbranch_execnz .LBB151_82
.LBB151_59:
	s_or_b64 exec, exec, s[6:7]
	s_and_saveexec_b64 s[0:1], s[2:3]
	s_cbranch_execnz .LBB151_83
.LBB151_60:
	s_or_b64 exec, exec, s[0:1]
	s_and_b64 exec, exec, s[4:5]
	s_cbranch_execz .LBB151_62
.LBB151_61:
	v_add_u32_e32 v1, v8, v7
	v_mov_b32_e32 v2, 0
	v_lshlrev_b64 v[1:2], 1, v[1:2]
	s_waitcnt lgkmcnt(0)
	v_mov_b32_e32 v3, s13
	v_add_co_u32_e32 v1, vcc, s12, v1
	v_addc_co_u32_e32 v2, vcc, v3, v2, vcc
	global_store_short_d16_hi v[1:2], v0, off
.LBB151_62:
	s_endpgm
.LBB151_63:
	v_add_u32_e32 v21, v20, v4
	v_mov_b32_e32 v22, 0
	v_lshlrev_b64 v[21:22], 1, v[21:22]
	s_waitcnt lgkmcnt(0)
	v_mov_b32_e32 v23, s13
	v_add_co_u32_e64 v21, s[6:7], s12, v21
	v_addc_co_u32_e64 v22, s[6:7], v23, v22, s[6:7]
	global_store_short_d16_hi v[21:22], v19, off
	s_or_b64 exec, exec, s[14:15]
	s_and_saveexec_b64 s[14:15], s[0:1]
	s_cbranch_execz .LBB151_23
.LBB151_64:
	v_add_u32_e32 v21, v20, v5
	v_mov_b32_e32 v22, 0
	v_lshlrev_b64 v[21:22], 1, v[21:22]
	s_waitcnt lgkmcnt(0)
	v_mov_b32_e32 v19, s13
	v_add_co_u32_e64 v21, s[6:7], s12, v21
	v_addc_co_u32_e64 v22, s[6:7], v19, v22, s[6:7]
	global_store_short_d16_hi v[21:22], v18, off
	s_or_b64 exec, exec, s[14:15]
	s_and_saveexec_b64 s[14:15], s[2:3]
	s_cbranch_execz .LBB151_24
.LBB151_65:
	v_add_u32_e32 v18, v20, v6
	v_mov_b32_e32 v19, 0
	v_lshlrev_b64 v[18:19], 1, v[18:19]
	s_waitcnt lgkmcnt(0)
	v_mov_b32_e32 v21, s13
	v_add_co_u32_e64 v18, s[6:7], s12, v18
	v_addc_co_u32_e64 v19, s[6:7], v21, v19, s[6:7]
	global_store_short_d16_hi v[18:19], v17, off
	s_or_b64 exec, exec, s[14:15]
	s_and_saveexec_b64 s[14:15], s[4:5]
	s_cbranch_execnz .LBB151_25
	s_branch .LBB151_26
.LBB151_66:
	v_add_u32_e32 v17, v16, v4
	v_mov_b32_e32 v18, 0
	v_lshlrev_b64 v[17:18], 1, v[17:18]
	s_waitcnt lgkmcnt(0)
	v_mov_b32_e32 v19, s13
	v_add_co_u32_e64 v17, s[6:7], s12, v17
	v_addc_co_u32_e64 v18, s[6:7], v19, v18, s[6:7]
	global_store_short v[17:18], v15, off
	s_or_b64 exec, exec, s[14:15]
	s_and_saveexec_b64 s[14:15], s[0:1]
	s_cbranch_execz .LBB151_29
.LBB151_67:
	v_add_u32_e32 v17, v16, v5
	v_mov_b32_e32 v18, 0
	v_lshlrev_b64 v[17:18], 1, v[17:18]
	s_waitcnt lgkmcnt(0)
	v_mov_b32_e32 v19, s13
	v_add_co_u32_e64 v17, s[6:7], s12, v17
	v_addc_co_u32_e64 v18, s[6:7], v19, v18, s[6:7]
	global_store_short v[17:18], v14, off
	s_or_b64 exec, exec, s[14:15]
	s_and_saveexec_b64 s[14:15], s[2:3]
	s_cbranch_execz .LBB151_30
.LBB151_68:
	v_add_u32_e32 v17, v16, v6
	v_mov_b32_e32 v18, 0
	v_lshlrev_b64 v[17:18], 1, v[17:18]
	s_waitcnt lgkmcnt(0)
	v_mov_b32_e32 v19, s13
	v_add_co_u32_e64 v17, s[6:7], s12, v17
	v_addc_co_u32_e64 v18, s[6:7], v19, v18, s[6:7]
	global_store_short v[17:18], v13, off
	s_or_b64 exec, exec, s[14:15]
	s_and_saveexec_b64 s[14:15], s[4:5]
	s_cbranch_execnz .LBB151_31
	s_branch .LBB151_32
.LBB151_69:
	v_add_u32_e32 v17, v16, v4
	v_mov_b32_e32 v18, 0
	v_lshlrev_b64 v[17:18], 1, v[17:18]
	s_waitcnt lgkmcnt(0)
	v_mov_b32_e32 v19, s13
	v_add_co_u32_e64 v17, s[6:7], s12, v17
	v_addc_co_u32_e64 v18, s[6:7], v19, v18, s[6:7]
	global_store_short_d16_hi v[17:18], v15, off
	s_or_b64 exec, exec, s[14:15]
	s_and_saveexec_b64 s[14:15], s[0:1]
	s_cbranch_execz .LBB151_35
.LBB151_70:
	v_add_u32_e32 v17, v16, v5
	v_mov_b32_e32 v18, 0
	v_lshlrev_b64 v[17:18], 1, v[17:18]
	s_waitcnt lgkmcnt(0)
	v_mov_b32_e32 v15, s13
	v_add_co_u32_e64 v17, s[6:7], s12, v17
	v_addc_co_u32_e64 v18, s[6:7], v15, v18, s[6:7]
	global_store_short_d16_hi v[17:18], v14, off
	s_or_b64 exec, exec, s[14:15]
	s_and_saveexec_b64 s[14:15], s[2:3]
	s_cbranch_execz .LBB151_36
.LBB151_71:
	v_add_u32_e32 v14, v16, v6
	v_mov_b32_e32 v15, 0
	v_lshlrev_b64 v[14:15], 1, v[14:15]
	s_waitcnt lgkmcnt(0)
	v_mov_b32_e32 v17, s13
	v_add_co_u32_e64 v14, s[6:7], s12, v14
	v_addc_co_u32_e64 v15, s[6:7], v17, v15, s[6:7]
	global_store_short_d16_hi v[14:15], v13, off
	s_or_b64 exec, exec, s[14:15]
	s_and_saveexec_b64 s[14:15], s[4:5]
	s_cbranch_execnz .LBB151_37
	s_branch .LBB151_38
.LBB151_72:
	v_add_u32_e32 v13, v12, v4
	v_mov_b32_e32 v14, 0
	v_lshlrev_b64 v[13:14], 1, v[13:14]
	s_waitcnt lgkmcnt(0)
	v_mov_b32_e32 v15, s13
	v_add_co_u32_e64 v13, s[6:7], s12, v13
	v_addc_co_u32_e64 v14, s[6:7], v15, v14, s[6:7]
	global_store_short v[13:14], v11, off
	s_or_b64 exec, exec, s[14:15]
	s_and_saveexec_b64 s[14:15], s[0:1]
	s_cbranch_execz .LBB151_41
.LBB151_73:
	v_add_u32_e32 v13, v12, v5
	v_mov_b32_e32 v14, 0
	v_lshlrev_b64 v[13:14], 1, v[13:14]
	s_waitcnt lgkmcnt(0)
	v_mov_b32_e32 v15, s13
	v_add_co_u32_e64 v13, s[6:7], s12, v13
	v_addc_co_u32_e64 v14, s[6:7], v15, v14, s[6:7]
	global_store_short v[13:14], v10, off
	s_or_b64 exec, exec, s[14:15]
	s_and_saveexec_b64 s[14:15], s[2:3]
	s_cbranch_execz .LBB151_42
.LBB151_74:
	v_add_u32_e32 v13, v12, v6
	v_mov_b32_e32 v14, 0
	v_lshlrev_b64 v[13:14], 1, v[13:14]
	s_waitcnt lgkmcnt(0)
	v_mov_b32_e32 v15, s13
	v_add_co_u32_e64 v13, s[6:7], s12, v13
	v_addc_co_u32_e64 v14, s[6:7], v15, v14, s[6:7]
	global_store_short v[13:14], v9, off
	s_or_b64 exec, exec, s[14:15]
	s_and_saveexec_b64 s[14:15], s[4:5]
	s_cbranch_execnz .LBB151_43
	s_branch .LBB151_44
.LBB151_75:
	v_add_u32_e32 v13, v12, v4
	v_mov_b32_e32 v14, 0
	v_lshlrev_b64 v[13:14], 1, v[13:14]
	s_waitcnt lgkmcnt(0)
	v_mov_b32_e32 v15, s13
	v_add_co_u32_e64 v13, s[6:7], s12, v13
	v_addc_co_u32_e64 v14, s[6:7], v15, v14, s[6:7]
	global_store_short_d16_hi v[13:14], v11, off
	s_or_b64 exec, exec, s[14:15]
	s_and_saveexec_b64 s[14:15], s[0:1]
	s_cbranch_execz .LBB151_47
.LBB151_76:
	v_add_u32_e32 v13, v12, v5
	v_mov_b32_e32 v14, 0
	v_lshlrev_b64 v[13:14], 1, v[13:14]
	s_waitcnt lgkmcnt(0)
	v_mov_b32_e32 v11, s13
	v_add_co_u32_e64 v13, s[6:7], s12, v13
	v_addc_co_u32_e64 v14, s[6:7], v11, v14, s[6:7]
	global_store_short_d16_hi v[13:14], v10, off
	s_or_b64 exec, exec, s[14:15]
	s_and_saveexec_b64 s[14:15], s[2:3]
	s_cbranch_execz .LBB151_48
.LBB151_77:
	v_add_u32_e32 v10, v12, v6
	v_mov_b32_e32 v11, 0
	v_lshlrev_b64 v[10:11], 1, v[10:11]
	s_waitcnt lgkmcnt(0)
	v_mov_b32_e32 v13, s13
	v_add_co_u32_e64 v10, s[6:7], s12, v10
	v_addc_co_u32_e64 v11, s[6:7], v13, v11, s[6:7]
	global_store_short_d16_hi v[10:11], v9, off
	s_or_b64 exec, exec, s[14:15]
	s_and_saveexec_b64 s[14:15], s[4:5]
	s_cbranch_execnz .LBB151_49
	s_branch .LBB151_50
.LBB151_78:
	v_add_u32_e32 v9, v8, v4
	v_mov_b32_e32 v10, 0
	v_lshlrev_b64 v[9:10], 1, v[9:10]
	s_waitcnt lgkmcnt(0)
	v_mov_b32_e32 v11, s13
	v_add_co_u32_e64 v9, s[6:7], s12, v9
	v_addc_co_u32_e64 v10, s[6:7], v11, v10, s[6:7]
	global_store_short v[9:10], v3, off
	s_or_b64 exec, exec, s[14:15]
	s_and_saveexec_b64 s[14:15], s[0:1]
	s_cbranch_execz .LBB151_53
.LBB151_79:
	v_add_u32_e32 v9, v8, v5
	v_mov_b32_e32 v10, 0
	v_lshlrev_b64 v[9:10], 1, v[9:10]
	s_waitcnt lgkmcnt(0)
	v_mov_b32_e32 v11, s13
	v_add_co_u32_e64 v9, s[6:7], s12, v9
	v_addc_co_u32_e64 v10, s[6:7], v11, v10, s[6:7]
	global_store_short v[9:10], v2, off
	s_or_b64 exec, exec, s[14:15]
	s_and_saveexec_b64 s[14:15], s[2:3]
	s_cbranch_execz .LBB151_54
.LBB151_80:
	v_add_u32_e32 v9, v8, v6
	v_mov_b32_e32 v10, 0
	v_lshlrev_b64 v[9:10], 1, v[9:10]
	s_waitcnt lgkmcnt(0)
	v_mov_b32_e32 v11, s13
	v_add_co_u32_e64 v9, s[6:7], s12, v9
	v_addc_co_u32_e64 v10, s[6:7], v11, v10, s[6:7]
	global_store_short v[9:10], v1, off
	s_or_b64 exec, exec, s[14:15]
	s_and_saveexec_b64 s[14:15], s[4:5]
	s_cbranch_execnz .LBB151_55
	s_branch .LBB151_56
.LBB151_81:
	v_add_u32_e32 v9, v8, v4
	v_mov_b32_e32 v10, 0
	v_lshlrev_b64 v[9:10], 1, v[9:10]
	s_waitcnt lgkmcnt(0)
	v_mov_b32_e32 v4, s13
	v_add_co_u32_e32 v9, vcc, s12, v9
	v_addc_co_u32_e32 v10, vcc, v4, v10, vcc
	global_store_short_d16_hi v[9:10], v3, off
	s_or_b64 exec, exec, s[6:7]
	s_and_saveexec_b64 s[6:7], s[0:1]
	s_cbranch_execz .LBB151_59
.LBB151_82:
	v_add_u32_e32 v3, v8, v5
	v_mov_b32_e32 v4, 0
	v_lshlrev_b64 v[3:4], 1, v[3:4]
	s_waitcnt lgkmcnt(0)
	v_mov_b32_e32 v5, s13
	v_add_co_u32_e32 v3, vcc, s12, v3
	v_addc_co_u32_e32 v4, vcc, v5, v4, vcc
	global_store_short_d16_hi v[3:4], v2, off
	s_or_b64 exec, exec, s[6:7]
	s_and_saveexec_b64 s[0:1], s[2:3]
	s_cbranch_execz .LBB151_60
.LBB151_83:
	v_add_u32_e32 v2, v8, v6
	v_mov_b32_e32 v3, 0
	v_lshlrev_b64 v[2:3], 1, v[2:3]
	s_waitcnt lgkmcnt(0)
	v_mov_b32_e32 v4, s13
	v_add_co_u32_e32 v2, vcc, s12, v2
	v_addc_co_u32_e32 v3, vcc, v4, v3, vcc
	global_store_short_d16_hi v[2:3], v1, off
	s_or_b64 exec, exec, s[0:1]
	s_and_b64 exec, exec, s[4:5]
	s_cbranch_execnz .LBB151_61
	s_branch .LBB151_62
	.section	.rodata,"a",@progbits
	.p2align	6, 0x0
	.amdhsa_kernel _ZL12mul_mat_q4_KIN3c104HalfELb0EEvPKvS3_PT_iiiii
		.amdhsa_group_segment_fixed_size 28752
		.amdhsa_private_segment_fixed_size 536
		.amdhsa_kernarg_size 44
		.amdhsa_user_sgpr_count 6
		.amdhsa_user_sgpr_private_segment_buffer 1
		.amdhsa_user_sgpr_dispatch_ptr 0
		.amdhsa_user_sgpr_queue_ptr 0
		.amdhsa_user_sgpr_kernarg_segment_ptr 1
		.amdhsa_user_sgpr_dispatch_id 0
		.amdhsa_user_sgpr_flat_scratch_init 0
		.amdhsa_user_sgpr_private_segment_size 0
		.amdhsa_uses_dynamic_stack 0
		.amdhsa_system_sgpr_private_segment_wavefront_offset 1
		.amdhsa_system_sgpr_workgroup_id_x 1
		.amdhsa_system_sgpr_workgroup_id_y 1
		.amdhsa_system_sgpr_workgroup_id_z 0
		.amdhsa_system_sgpr_workgroup_info 0
		.amdhsa_system_vgpr_workitem_id 1
		.amdhsa_next_free_vgpr 128
		.amdhsa_next_free_sgpr 98
		.amdhsa_reserve_vcc 1
		.amdhsa_reserve_flat_scratch 0
		.amdhsa_float_round_mode_32 0
		.amdhsa_float_round_mode_16_64 0
		.amdhsa_float_denorm_mode_32 3
		.amdhsa_float_denorm_mode_16_64 3
		.amdhsa_dx10_clamp 1
		.amdhsa_ieee_mode 1
		.amdhsa_fp16_overflow 0
		.amdhsa_exception_fp_ieee_invalid_op 0
		.amdhsa_exception_fp_denorm_src 0
		.amdhsa_exception_fp_ieee_div_zero 0
		.amdhsa_exception_fp_ieee_overflow 0
		.amdhsa_exception_fp_ieee_underflow 0
		.amdhsa_exception_fp_ieee_inexact 0
		.amdhsa_exception_int_div_zero 0
	.end_amdhsa_kernel
	.section	.text._ZL12mul_mat_q4_KIN3c104HalfELb0EEvPKvS3_PT_iiiii,"axG",@progbits,_ZL12mul_mat_q4_KIN3c104HalfELb0EEvPKvS3_PT_iiiii,comdat
.Lfunc_end151:
	.size	_ZL12mul_mat_q4_KIN3c104HalfELb0EEvPKvS3_PT_iiiii, .Lfunc_end151-_ZL12mul_mat_q4_KIN3c104HalfELb0EEvPKvS3_PT_iiiii
                                        ; -- End function
	.set _ZL12mul_mat_q4_KIN3c104HalfELb0EEvPKvS3_PT_iiiii.num_vgpr, 128
	.set _ZL12mul_mat_q4_KIN3c104HalfELb0EEvPKvS3_PT_iiiii.num_agpr, 0
	.set _ZL12mul_mat_q4_KIN3c104HalfELb0EEvPKvS3_PT_iiiii.numbered_sgpr, 24
	.set _ZL12mul_mat_q4_KIN3c104HalfELb0EEvPKvS3_PT_iiiii.num_named_barrier, 0
	.set _ZL12mul_mat_q4_KIN3c104HalfELb0EEvPKvS3_PT_iiiii.private_seg_size, 536
	.set _ZL12mul_mat_q4_KIN3c104HalfELb0EEvPKvS3_PT_iiiii.uses_vcc, 1
	.set _ZL12mul_mat_q4_KIN3c104HalfELb0EEvPKvS3_PT_iiiii.uses_flat_scratch, 0
	.set _ZL12mul_mat_q4_KIN3c104HalfELb0EEvPKvS3_PT_iiiii.has_dyn_sized_stack, 0
	.set _ZL12mul_mat_q4_KIN3c104HalfELb0EEvPKvS3_PT_iiiii.has_recursion, 0
	.set _ZL12mul_mat_q4_KIN3c104HalfELb0EEvPKvS3_PT_iiiii.has_indirect_call, 0
	.section	.AMDGPU.csdata,"",@progbits
; Kernel info:
; codeLenInByte = 25924
; TotalNumSgprs: 28
; NumVgprs: 128
; ScratchSize: 536
; MemoryBound: 0
; FloatMode: 240
; IeeeMode: 1
; LDSByteSize: 28752 bytes/workgroup (compile time only)
; SGPRBlocks: 12
; VGPRBlocks: 31
; NumSGPRsForWavesPerEU: 102
; NumVGPRsForWavesPerEU: 128
; Occupancy: 2
; WaveLimiterHint : 0
; COMPUTE_PGM_RSRC2:SCRATCH_EN: 1
; COMPUTE_PGM_RSRC2:USER_SGPR: 6
; COMPUTE_PGM_RSRC2:TRAP_HANDLER: 0
; COMPUTE_PGM_RSRC2:TGID_X_EN: 1
; COMPUTE_PGM_RSRC2:TGID_Y_EN: 1
; COMPUTE_PGM_RSRC2:TGID_Z_EN: 0
; COMPUTE_PGM_RSRC2:TIDIG_COMP_CNT: 1
	.section	.text._ZL12mul_mat_q4_KIN3c104HalfELb1EEvPKvS3_PT_iiiii,"axG",@progbits,_ZL12mul_mat_q4_KIN3c104HalfELb1EEvPKvS3_PT_iiiii,comdat
	.globl	_ZL12mul_mat_q4_KIN3c104HalfELb1EEvPKvS3_PT_iiiii ; -- Begin function _ZL12mul_mat_q4_KIN3c104HalfELb1EEvPKvS3_PT_iiiii
	.p2align	8
	.type	_ZL12mul_mat_q4_KIN3c104HalfELb1EEvPKvS3_PT_iiiii,@function
_ZL12mul_mat_q4_KIN3c104HalfELb1EEvPKvS3_PT_iiiii: ; @_ZL12mul_mat_q4_KIN3c104HalfELb1EEvPKvS3_PT_iiiii
; %bb.0:
	s_mov_b64 s[22:23], s[2:3]
	s_mov_b64 s[20:21], s[0:1]
	s_add_u32 s20, s20, s8
	s_addc_u32 s21, s21, 0
	buffer_store_dword v0, off, s[20:23], 0 offset:140 ; 4-byte Folded Spill
	s_load_dwordx4 s[8:11], s[4:5], 0x18
	s_load_dword s14, s[4:5], 0x28
	v_mov_b32_e32 v30, v1
	s_lshl_b32 s15, s7, 6
	v_add_u32_e32 v29, s15, v30
	s_waitcnt lgkmcnt(0)
	s_cmpk_gt_i32 s8, 0xff
	s_cbranch_scc1 .LBB152_2
; %bb.1:
	v_add_u32_e32 v4, s15, v30
	s_mov_b64 s[0:1], 0
	s_branch .LBB152_3
.LBB152_2:
	s_mov_b64 s[0:1], -1
                                        ; implicit-def: $vgpr4
.LBB152_3:
	s_load_dwordx2 s[12:13], s[4:5], 0x10
	s_lshl_b32 s6, s6, 7
	s_mov_b32 s7, 0
	v_mov_b32_e32 v0, 0
	s_andn2_b64 vcc, exec, s[0:1]
	v_mov_b32_e32 v8, 0
	v_mov_b32_e32 v12, 0
	;; [unrolled: 1-line block ×15, first 2 shown]
	s_cbranch_vccnz .LBB152_11
; %bb.4:
	buffer_load_dword v36, off, s[20:23], 0 offset:140 ; 4-byte Folded Reload
	s_load_dwordx4 s[0:3], s[4:5], 0x0
	s_ashr_i32 s4, s8, 31
	s_lshr_b32 s4, s4, 24
	s_add_i32 s4, s8, s4
	s_ashr_i32 s5, s11, 31
	s_ashr_i32 s4, s4, 8
	s_lshr_b32 s5, s5, 27
	s_add_i32 s5, s11, s5
	s_mul_i32 s8, s4, s6
	s_ashr_i32 s16, s5, 5
	s_mul_hi_i32 s11, s8, 0x90
	s_mulk_i32 s8, 0x90
	s_waitcnt lgkmcnt(0)
	s_add_u32 s8, s0, s8
	s_addc_u32 s11, s1, s11
	s_not_b32 s0, s6
	s_add_i32 s1, s9, s0
	s_movk_i32 s0, 0x84
	v_add_u32_e32 v13, 8, v30
	v_add_u32_e32 v14, 16, v30
	;; [unrolled: 1-line block ×7, first 2 shown]
	s_movk_i32 s9, 0x6e40
	s_movk_i32 s17, 0x6200
	v_mov_b32_e32 v7, 0x4200
	v_lshlrev_b32_e32 v27, 7, v13
	v_lshlrev_b32_e32 v28, 7, v14
	v_mov_b32_e32 v31, 0
	s_movk_i32 s5, 0x90
	s_waitcnt vmcnt(0)
	v_lshlrev_b32_e32 v33, 2, v36
	v_and_b32_e32 v0, 0x7c, v33
	buffer_store_dword v0, off, s[20:23], 0 offset:400 ; 4-byte Folded Spill
	v_min_i32_e32 v0, s1, v30
	v_mul_lo_u32 v1, v0, s4
	v_and_b32_e32 v2, 4, v33
	v_and_b32_e32 v6, 31, v36
	v_lshrrev_b32_e32 v32, 5, v36
	buffer_store_dword v1, off, s[20:23], 0 offset:404 ; 4-byte Folded Spill
	v_mad_u64_u32 v[0:1], s[18:19], v0, s0, v[33:34]
	buffer_store_dword v0, off, s[20:23], 0 offset:408 ; 4-byte Folded Spill
	s_nop 0
	buffer_store_dword v1, off, s[20:23], 0 offset:412 ; 4-byte Folded Spill
	v_min_i32_e32 v0, s1, v13
	v_mul_lo_u32 v1, v0, s4
	v_and_b32_e32 v26, 28, v33
	v_lshrrev_b32_e32 v35, 3, v36
	v_lshlrev_b32_e32 v126, 2, v35
	buffer_store_dword v1, off, s[20:23], 0 offset:416 ; 4-byte Folded Spill
	v_mad_u64_u32 v[0:1], s[18:19], v0, s0, v[33:34]
	buffer_store_dword v0, off, s[20:23], 0 offset:420 ; 4-byte Folded Spill
	s_nop 0
	buffer_store_dword v1, off, s[20:23], 0 offset:424 ; 4-byte Folded Spill
	v_min_i32_e32 v0, s1, v14
	v_mul_lo_u32 v1, v0, s4
	buffer_store_dword v1, off, s[20:23], 0 offset:428 ; 4-byte Folded Spill
	v_mad_u64_u32 v[0:1], s[18:19], v0, s0, v[33:34]
	buffer_store_dword v0, off, s[20:23], 0 offset:432 ; 4-byte Folded Spill
	s_nop 0
	buffer_store_dword v1, off, s[20:23], 0 offset:436 ; 4-byte Folded Spill
	v_min_i32_e32 v0, s1, v15
	v_mul_lo_u32 v1, v0, s4
	;; [unrolled: 7-line block ×6, first 2 shown]
	buffer_store_dword v1, off, s[20:23], 0 offset:488 ; 4-byte Folded Spill
	v_mad_u64_u32 v[0:1], s[18:19], v0, s0, v[33:34]
	buffer_store_dword v0, off, s[20:23], 0 offset:492 ; 4-byte Folded Spill
	s_nop 0
	buffer_store_dword v1, off, s[20:23], 0 offset:496 ; 4-byte Folded Spill
	v_add_u32_e32 v0, 64, v30
	v_min_i32_e32 v0, s1, v0
	v_mul_lo_u32 v1, v0, s4
	buffer_store_dword v1, off, s[20:23], 0 offset:500 ; 4-byte Folded Spill
	v_mad_u64_u32 v[0:1], s[18:19], v0, s0, v[33:34]
	buffer_store_dword v0, off, s[20:23], 0 offset:504 ; 4-byte Folded Spill
	s_nop 0
	buffer_store_dword v1, off, s[20:23], 0 offset:508 ; 4-byte Folded Spill
	v_add_u32_e32 v0, 0x48, v30
	v_min_i32_e32 v0, s1, v0
	v_mul_lo_u32 v1, v0, s4
	;; [unrolled: 8-line block ×8, first 2 shown]
	buffer_store_dword v1, off, s[20:23], 0 offset:584 ; 4-byte Folded Spill
	v_mad_u64_u32 v[0:1], s[18:19], v0, s0, v[33:34]
	buffer_store_dword v0, off, s[20:23], 0 offset:588 ; 4-byte Folded Spill
	s_nop 0
	buffer_store_dword v1, off, s[20:23], 0 offset:592 ; 4-byte Folded Spill
	v_lshlrev_b32_e32 v0, 5, v30
	buffer_store_dword v0, off, s[20:23], 0 offset:240 ; 4-byte Folded Spill
	v_add_u32_e32 v0, v0, v36
	v_and_b32_e32 v0, 0x7f, v0
	v_min_i32_e32 v0, s1, v0
	v_mul_lo_u32 v1, v0, s4
	v_lshl_or_b32 v34, v6, 2, v7
	v_add_u32_e32 v7, 16, v29
	v_cvt_f64_u32_e32 v[7:8], v7
	buffer_store_dword v1, off, s[20:23], 0 offset:596 ; 4-byte Folded Spill
	v_ashrrev_i32_e32 v1, 31, v0
	v_lshrrev_b32_e32 v1, 27, v1
	v_add_u32_e32 v1, v0, v1
	v_ashrrev_i32_e32 v1, 5, v1
	v_lshlrev_b32_e32 v1, 2, v1
	v_lshlrev_b32_e32 v0, 2, v0
	v_add3_u32 v0, v1, v0, s9
	buffer_store_dword v0, off, s[20:23], 0 offset:600 ; 4-byte Folded Spill
	v_lshrrev_b32_e32 v0, 2, v36
	v_lshl_add_u32 v5, v30, 3, v0
	v_and_b32_e32 v0, 3, v36
	v_add_u32_e32 v1, 0xfe, v0
	v_and_b32_e32 v1, 0xff, v1
	v_cmp_gt_u32_e32 vcc, 2, v0
	v_cndmask_b32_e32 v1, v1, v0, vcc
	v_cmp_ne_u32_e32 vcc, 0, v0
	v_addc_co_u32_e32 v20, vcc, 0, v1, vcc
	v_cmp_lt_u32_e32 vcc, 1, v0
	v_lshlrev_b32_e32 v1, 1, v1
	v_cndmask_b32_e32 v2, 0, v2, vcc
	buffer_store_dword v1, off, s[20:23], 0 offset:608 ; 4-byte Folded Spill
	v_and_b32_e32 v1, 0x7f, v5
	buffer_store_dword v2, off, s[20:23], 0 offset:604 ; 4-byte Folded Spill
	v_min_i32_e32 v2, s1, v1
	v_mul_lo_u32 v3, v2, s4
	v_xor_b32_e32 v1, 64, v1
	v_min_i32_e32 v1, s1, v1
	v_lshlrev_b32_e32 v23, 4, v2
	buffer_store_dword v3, off, s[20:23], 0 offset:612 ; 4-byte Folded Spill
	v_ashrrev_i32_e32 v3, 31, v2
	v_lshrrev_b32_e32 v3, 29, v3
	v_add_u32_e32 v3, v2, v3
	v_mul_lo_u32 v2, v1, s4
	v_ashrrev_i32_e32 v3, 3, v3
	v_lshlrev_b32_e32 v3, 2, v3
	v_lshlrev_b32_e32 v9, 2, v0
	buffer_store_dword v2, off, s[20:23], 0 offset:616 ; 4-byte Folded Spill
	v_ashrrev_i32_e32 v2, 31, v1
	v_lshrrev_b32_e32 v2, 29, v2
	v_add_u32_e32 v2, v1, v2
	v_ashrrev_i32_e32 v2, 3, v2
	v_lshlrev_b32_e32 v2, 2, v2
	s_add_i32 s1, s10, -1
	v_add3_u32 v22, v3, v9, s17
	v_add3_u32 v24, v2, v9, s17
	v_lshlrev_b32_e32 v25, 4, v1
	v_cvt_f64_i32_e32 v[1:2], s1
	v_cvt_f64_u32_e32 v[3:4], v29
	v_and_b32_e32 v10, 63, v5
	v_add_u32_e32 v5, 8, v29
	v_cvt_f64_u32_e32 v[5:6], v5
	v_min_f64 v[3:4], v[3:4], v[1:2]
	v_or_b32_e32 v11, s15, v10
	v_min_i32_e32 v11, s1, v11
	v_min_f64 v[5:6], v[5:6], v[1:2]
	v_min_f64 v[7:8], v[7:8], v[1:2]
	v_mad_u64_u32 v[11:12], s[18:19], v11, s16, v[0:1]
	v_lshl_or_b32 v0, v10, 4, v9
	v_cvt_i32_f64_e32 v3, v[3:4]
	v_add_u32_e32 v0, 0x6a40, v0
	buffer_store_dword v11, off, s[20:23], 0 offset:624 ; 4-byte Folded Spill
	s_nop 0
	buffer_store_dword v12, off, s[20:23], 0 offset:628 ; 4-byte Folded Spill
	buffer_store_dword v0, off, s[20:23], 0 offset:296 ; 4-byte Folded Spill
	v_cvt_i32_f64_e32 v0, v[5:6]
	v_mul_lo_u32 v3, s16, v3
	v_lshlrev_b32_e32 v4, 7, v30
	buffer_store_dword v4, off, s[20:23], 0 offset:304 ; 4-byte Folded Spill
	v_mul_lo_u32 v0, s16, v0
	buffer_store_dword v3, off, s[20:23], 0 offset:300 ; 4-byte Folded Spill
	v_cvt_i32_f64_e32 v3, v[7:8]
	buffer_store_dword v29, off, s[20:23], 0 offset:668 ; 4-byte Folded Spill
	buffer_store_dword v0, off, s[20:23], 0 offset:308 ; 4-byte Folded Spill
	;; [unrolled: 1-line block ×3, first 2 shown]
	v_mul_lo_u32 v0, s16, v3
	v_cndmask_b32_e64 v21, 0, 1, vcc
	buffer_store_dword v0, off, s[20:23], 0 offset:312 ; 4-byte Folded Spill
	v_add_u32_e32 v0, 24, v29
	v_cvt_f64_u32_e32 v[3:4], v0
	v_add_u32_e32 v0, 32, v29
	v_cvt_f64_u32_e32 v[5:6], v0
	v_add_u32_e32 v0, 40, v29
	v_cvt_f64_u32_e32 v[7:8], v0
	v_min_f64 v[3:4], v[3:4], v[1:2]
	v_add_u32_e32 v0, 48, v29
	v_min_f64 v[5:6], v[5:6], v[1:2]
	v_min_f64 v[7:8], v[7:8], v[1:2]
	v_cvt_f64_u32_e32 v[9:10], v0
	v_add_u32_e32 v0, 56, v29
	v_cvt_f64_u32_e32 v[11:12], v0
	v_cvt_i32_f64_e32 v29, v[3:4]
	v_min_f64 v[3:4], v[9:10], v[1:2]
	v_cvt_i32_f64_e32 v5, v[5:6]
	v_cvt_i32_f64_e32 v6, v[7:8]
	v_min_f64 v[0:1], v[11:12], v[1:2]
	v_mul_lo_u32 v2, s16, v29
	v_mul_lo_u32 v5, s16, v5
	v_mov_b32_e32 v11, v33
	v_cvt_i32_f64_e32 v3, v[3:4]
	v_mul_lo_u32 v4, s16, v6
	buffer_store_dword v2, off, s[20:23], 0 offset:316 ; 4-byte Folded Spill
	v_cvt_i32_f64_e32 v0, v[0:1]
	v_mul_lo_u32 v3, s16, v3
	buffer_store_dword v4, off, s[20:23], 0 offset:324 ; 4-byte Folded Spill
	v_lshlrev_b32_e32 v4, 2, v32
	v_add3_u32 v4, v33, v4, s9
	buffer_store_dword v4, off, s[20:23], 0 offset:336 ; 4-byte Folded Spill
	v_add_u32_e32 v4, 32, v36
	v_lshrrev_b32_e32 v12, 3, v4
	v_lshlrev_b32_e32 v6, 2, v4
	v_and_b32_e32 v4, 60, v12
	v_add3_u32 v4, v33, v4, s9
	v_mul_lo_u32 v0, s16, v0
	buffer_store_dword v4, off, s[20:23], 0 offset:340 ; 4-byte Folded Spill
	v_add_u32_e32 v4, 64, v36
	v_lshlrev_b32_e32 v7, 2, v4
	v_lshrrev_b32_e32 v4, 3, v4
	v_and_b32_e32 v8, 60, v4
	v_add3_u32 v8, v33, v8, s9
	buffer_store_dword v5, off, s[20:23], 0 offset:320 ; 4-byte Folded Spill
	buffer_store_dword v3, off, s[20:23], 0 offset:328 ; 4-byte Folded Spill
	;; [unrolled: 1-line block ×5, first 2 shown]
	s_nop 0
	buffer_store_dword v12, off, s[20:23], 0 offset:236 ; 4-byte Folded Spill
	v_add_u32_e32 v8, 0x60, v36
	v_lshlrev_b32_e32 v9, 2, v8
	v_lshrrev_b32_e32 v8, 3, v8
	v_and_b32_e32 v10, 60, v8
	v_add3_u32 v10, v33, v10, s9
	buffer_store_dword v10, off, s[20:23], 0 offset:348 ; 4-byte Folded Spill
	v_lshlrev_b32_e32 v10, 5, v13
	buffer_store_dword v10, off, s[20:23], 0 offset:244 ; 4-byte Folded Spill
	v_lshlrev_b32_e32 v10, 5, v14
	;; [unrolled: 2-line block ×7, first 2 shown]
	buffer_store_dword v10, off, s[20:23], 0 offset:268 ; 4-byte Folded Spill
	v_mov_b32_e32 v10, 0x1080
	v_mad_u32_u24 v10, v36, s0, v10
	buffer_store_dword v10, off, s[20:23], 0 offset:272 ; 4-byte Folded Spill
	v_mov_b32_e32 v10, 0x2100
	v_mad_u32_u24 v10, v36, s0, v10
	;; [unrolled: 3-line block ×3, first 2 shown]
	buffer_store_dword v10, off, s[20:23], 0 offset:280 ; 4-byte Folded Spill
	v_mov_b32_e32 v10, s3
	v_add_co_u32_e32 v13, vcc, s2, v26
	v_addc_co_u32_e32 v14, vcc, 0, v10, vcc
	v_lshlrev_b32_e32 v37, 2, v4
	v_lshlrev_b32_e32 v4, 2, v20
	buffer_store_dword v13, off, s[20:23], 0 offset:352 ; 4-byte Folded Spill
	s_nop 0
	buffer_store_dword v14, off, s[20:23], 0 offset:356 ; 4-byte Folded Spill
	buffer_store_dword v4, off, s[20:23], 0 offset:648 ; 4-byte Folded Spill
	v_lshlrev_b32_e32 v4, 2, v21
	buffer_store_dword v4, off, s[20:23], 0 offset:652 ; 4-byte Folded Spill
	v_add_u32_e32 v4, v22, v23
	buffer_store_dword v4, off, s[20:23], 0 offset:656 ; 4-byte Folded Spill
	v_add_u32_e32 v4, v24, v25
	v_mad_u32_u24 v10, v36, s0, 64
	buffer_store_dword v4, off, s[20:23], 0 offset:660 ; 4-byte Folded Spill
	v_lshlrev_b32_e32 v4, 2, v6
	buffer_store_dword v10, off, s[20:23], 0 offset:640 ; 4-byte Folded Spill
	v_mov_b32_e32 v10, 0x6a40
	buffer_store_dword v4, off, s[20:23], 0 offset:284 ; 4-byte Folded Spill
	v_lshlrev_b32_e32 v4, 2, v7
	v_lshlrev_b32_e32 v2, 7, v15
	;; [unrolled: 1-line block ×3, first 2 shown]
	v_lshl_add_u32 v10, v30, 4, v10
	v_mov_b32_e32 v32, v31
	buffer_store_dword v4, off, s[20:23], 0 offset:288 ; 4-byte Folded Spill
	v_lshlrev_b32_e32 v4, 2, v9
	v_lshlrev_b32_e32 v5, 7, v16
	;; [unrolled: 1-line block ×4, first 2 shown]
	buffer_store_dword v10, off, s[20:23], 0 offset:644 ; 4-byte Folded Spill
	buffer_store_dword v4, off, s[20:23], 0 offset:292 ; 4-byte Folded Spill
	v_add_u32_e32 v4, v34, v27
	v_add_u32_e32 v2, v34, v2
	;; [unrolled: 1-line block ×3, first 2 shown]
	v_mov_b32_e32 v59, v32
	v_mov_b32_e32 v55, v32
	v_mov_b32_e32 v44, v32
	v_mov_b32_e32 v67, v32
	v_mov_b32_e32 v61, v32
	v_mov_b32_e32 v48, v32
	v_mov_b32_e32 v24, v31
	v_mov_b32_e32 v69, v32
	v_mov_b32_e32 v63, v32
	v_mov_b32_e32 v50, v32
	v_mov_b32_e32 v20, v31
	v_mov_b32_e32 v9, v31
	v_mov_b32_e32 v65, v32
	v_mov_b32_e32 v57, v32
	v_mov_b32_e32 v53, v32
	v_lshlrev_b32_e32 v127, 2, v8
	v_lshlrev_b32_e32 v125, 2, v12
	s_mov_b32 s9, 0x30303030
	buffer_store_dword v4, off, s[20:23], 0 offset:360 ; 4-byte Folded Spill
	v_add_u32_e32 v4, v34, v28
	buffer_store_dword v2, off, s[20:23], 0 offset:368 ; 4-byte Folded Spill
	v_add_u32_e32 v2, v34, v5
	;; [unrolled: 2-line block ×3, first 2 shown]
	v_add_u32_e32 v0, v34, v0
	v_mov_b32_e32 v58, v31
	v_mov_b32_e32 v54, v31
	;; [unrolled: 1-line block ×15, first 2 shown]
	buffer_store_dword v30, off, s[20:23], 0 offset:664 ; 4-byte Folded Spill
	buffer_store_dword v12, off, s[20:23], 0 offset:636 ; 4-byte Folded Spill
	;; [unrolled: 1-line block ×12, first 2 shown]
.LBB152_5:                              ; =>This Loop Header: Depth=1
                                        ;     Child Loop BB152_6 Depth 2
                                        ;     Child Loop BB152_8 Depth 2
	buffer_store_dword v9, off, s[20:23], 0 offset:116 ; 4-byte Folded Spill
	s_nop 0
	buffer_store_dword v10, off, s[20:23], 0 offset:120 ; 4-byte Folded Spill
	buffer_store_dword v66, off, s[20:23], 0 offset:108 ; 4-byte Folded Spill
	s_nop 0
	buffer_store_dword v67, off, s[20:23], 0 offset:112 ; 4-byte Folded Spill
	;; [unrolled: 3-line block ×8, first 2 shown]
	buffer_store_dword v52, off, s[20:23], 0 ; 4-byte Folded Spill
	s_nop 0
	buffer_store_dword v53, off, s[20:23], 0 offset:4 ; 4-byte Folded Spill
	buffer_load_dword v0, off, s[20:23], 0 offset:396 ; 4-byte Folded Reload
	buffer_load_dword v6, off, s[20:23], 0 offset:400 ; 4-byte Folded Reload
	s_mul_i32 s0, s7, 0x90
	s_mul_hi_u32 s1, s7, 0x90
	s_add_u32 s0, s8, s0
	s_addc_u32 s1, s11, s1
	v_mov_b32_e32 v3, s1
	v_mov_b32_e32 v2, s0
	s_lshl_b32 s16, s7, 3
	v_mov_b32_e32 v65, v68
	s_mov_b32 s18, 0
	v_mov_b32_e32 v66, v69
	s_waitcnt vmcnt(1)
	v_mad_u64_u32 v[4:5], s[0:1], v0, s5, v[2:3]
	buffer_load_dword v0, off, s[20:23], 0 offset:404 ; 4-byte Folded Reload
	s_waitcnt vmcnt(0)
	v_mad_i64_i32 v[0:1], s[0:1], v0, s5, v[4:5]
	v_add_co_u32_e32 v0, vcc, v0, v6
	v_addc_co_u32_e32 v1, vcc, 0, v1, vcc
	global_load_dword v0, v[0:1], off offset:16
	s_nop 0
	buffer_load_dword v7, off, s[20:23], 0 offset:408 ; 4-byte Folded Reload
	buffer_load_dword v8, off, s[20:23], 0 offset:412 ; 4-byte Folded Reload
	s_waitcnt vmcnt(1)
	ds_write_b32 v7, v0
	buffer_load_dword v0, off, s[20:23], 0 offset:416 ; 4-byte Folded Reload
	s_waitcnt vmcnt(0)
	v_mad_i64_i32 v[0:1], s[0:1], v0, s5, v[4:5]
	v_add_co_u32_e32 v0, vcc, v0, v6
	v_addc_co_u32_e32 v1, vcc, 0, v1, vcc
	global_load_dword v0, v[0:1], off offset:16
	s_nop 0
	buffer_load_dword v7, off, s[20:23], 0 offset:420 ; 4-byte Folded Reload
	buffer_load_dword v8, off, s[20:23], 0 offset:424 ; 4-byte Folded Reload
	s_waitcnt vmcnt(1)
	ds_write_b32 v7, v0
	;; [unrolled: 11-line block ×15, first 2 shown]
	buffer_load_dword v0, off, s[20:23], 0 offset:584 ; 4-byte Folded Reload
	s_waitcnt vmcnt(0)
	v_mad_i64_i32 v[0:1], s[0:1], v0, s5, v[4:5]
	v_add_co_u32_e32 v0, vcc, v0, v6
	v_addc_co_u32_e32 v1, vcc, 0, v1, vcc
	global_load_dword v0, v[0:1], off offset:16
	s_nop 0
	buffer_load_dword v4, off, s[20:23], 0 offset:588 ; 4-byte Folded Reload
	buffer_load_dword v5, off, s[20:23], 0 offset:592 ; 4-byte Folded Reload
	buffer_load_dword v6, off, s[20:23], 0 offset:608 ; 4-byte Folded Reload
	buffer_load_dword v7, off, s[20:23], 0 offset:648 ; 4-byte Folded Reload
	buffer_load_dword v8, off, s[20:23], 0 offset:652 ; 4-byte Folded Reload
	s_waitcnt vmcnt(4)
	ds_write_b32 v4, v0
	buffer_load_dword v0, off, s[20:23], 0 offset:596 ; 4-byte Folded Reload
	s_waitcnt vmcnt(0)
	v_mad_i64_i32 v[0:1], s[0:1], v0, s5, v[2:3]
	global_load_dword v0, v[0:1], off
	s_nop 0
	buffer_load_dword v1, off, s[20:23], 0 offset:600 ; 4-byte Folded Reload
	s_waitcnt vmcnt(0)
	ds_write_b32 v1, v0
	buffer_load_dword v0, off, s[20:23], 0 offset:612 ; 4-byte Folded Reload
	s_waitcnt vmcnt(0)
	v_mad_i64_i32 v[0:1], s[0:1], v0, s5, v[2:3]
	v_add_co_u32_e32 v4, vcc, v0, v7
	v_addc_co_u32_e32 v5, vcc, 0, v1, vcc
	global_load_dword v4, v[4:5], off offset:4
	v_add_co_u32_e32 v0, vcc, v0, v8
	buffer_load_dword v5, off, s[20:23], 0 offset:604 ; 4-byte Folded Reload
	v_addc_co_u32_e32 v1, vcc, 0, v1, vcc
	global_load_dword v0, v[0:1], off offset:4
	s_waitcnt vmcnt(1)
	v_ashrrev_i32_e32 v4, v5, v4
	buffer_load_dword v1, off, s[20:23], 0 offset:656 ; 4-byte Folded Reload
	v_and_b32_e32 v4, 0xf0f0f0f, v4
	s_waitcnt vmcnt(1)
	v_ashrrev_i32_e32 v0, v6, v0
	v_and_or_b32 v0, v0, s9, v4
	s_waitcnt vmcnt(0)
	ds_write_b32 v1, v0
	buffer_load_dword v0, off, s[20:23], 0 offset:616 ; 4-byte Folded Reload
	s_waitcnt vmcnt(0)
	v_mad_i64_i32 v[0:1], s[0:1], v0, s5, v[2:3]
	v_add_co_u32_e32 v2, vcc, v0, v7
	v_addc_co_u32_e32 v3, vcc, 0, v1, vcc
	v_add_co_u32_e32 v0, vcc, v0, v8
	global_load_dword v2, v[2:3], off offset:4
	v_addc_co_u32_e32 v1, vcc, 0, v1, vcc
	global_load_dword v0, v[0:1], off offset:4
	s_waitcnt vmcnt(1)
	v_ashrrev_i32_e32 v2, v5, v2
	buffer_load_dword v1, off, s[20:23], 0 offset:660 ; 4-byte Folded Reload
	v_and_b32_e32 v2, 0xf0f0f0f, v2
	s_waitcnt vmcnt(1)
	v_ashrrev_i32_e32 v0, v6, v0
	v_and_or_b32 v0, v0, s9, v2
	s_waitcnt vmcnt(0)
	ds_write_b32 v1, v0
	buffer_load_dword v0, off, s[20:23], 0 offset:624 ; 4-byte Folded Reload
	buffer_load_dword v1, off, s[20:23], 0 offset:628 ; 4-byte Folded Reload
	s_waitcnt vmcnt(1)
	v_add_u32_e32 v6, s16, v0
	buffer_load_dword v0, off, s[20:23], 0 offset:632 ; 4-byte Folded Reload
	s_waitcnt vmcnt(0)
	v_add_u32_e32 v2, s16, v0
	buffer_load_dword v0, off, s[20:23], 0 offset:300 ; 4-byte Folded Reload
	buffer_load_dword v4, off, s[20:23], 0 offset:352 ; 4-byte Folded Reload
	;; [unrolled: 1-line block ×3, first 2 shown]
	s_waitcnt vmcnt(2)
	v_add_u32_e32 v0, v2, v0
	s_waitcnt vmcnt(0)
	v_mad_i64_i32 v[0:1], s[0:1], v0, 36, v[4:5]
	global_load_dword v0, v[0:1], off offset:4
	s_nop 0
	buffer_load_dword v1, off, s[20:23], 0 offset:620 ; 4-byte Folded Reload
	buffer_load_dword v3, off, s[20:23], 0 offset:304 ; 4-byte Folded Reload
	s_waitcnt vmcnt(0)
	v_add_u32_e32 v1, v1, v3
	ds_write_b32 v1, v0
	buffer_load_dword v0, off, s[20:23], 0 offset:308 ; 4-byte Folded Reload
	s_waitcnt vmcnt(0)
	v_add_u32_e32 v0, v2, v0
	buffer_store_dword v1, off, s[20:23], 0 offset:392 ; 4-byte Folded Spill
	v_mad_i64_i32 v[0:1], s[0:1], v0, 36, v[4:5]
	buffer_store_dword v6, off, s[20:23], 0 offset:388 ; 4-byte Folded Spill
	global_load_dword v0, v[0:1], off offset:4
	s_nop 0
	buffer_load_dword v1, off, s[20:23], 0 offset:360 ; 4-byte Folded Reload
	s_waitcnt vmcnt(0)
	ds_write_b32 v1, v0
	buffer_load_dword v0, off, s[20:23], 0 offset:312 ; 4-byte Folded Reload
	s_waitcnt vmcnt(0)
	v_add_u32_e32 v0, v2, v0
	v_mad_i64_i32 v[0:1], s[0:1], v0, 36, v[4:5]
	global_load_dword v0, v[0:1], off offset:4
	s_nop 0
	buffer_load_dword v1, off, s[20:23], 0 offset:364 ; 4-byte Folded Reload
	s_waitcnt vmcnt(0)
	ds_write_b32 v1, v0
	buffer_load_dword v0, off, s[20:23], 0 offset:316 ; 4-byte Folded Reload
	s_waitcnt vmcnt(0)
	v_add_u32_e32 v0, v2, v0
	v_mad_i64_i32 v[0:1], s[0:1], v0, 36, v[4:5]
	;; [unrolled: 9-line block ×6, first 2 shown]
	global_load_dword v0, v[0:1], off offset:4
	s_nop 0
	buffer_load_dword v1, off, s[20:23], 0 offset:384 ; 4-byte Folded Reload
	s_waitcnt vmcnt(0)
	ds_write_b32 v1, v0
	v_mad_u64_u32 v[0:1], s[0:1], v6, 36, s[2:3]
	s_mov_b64 s[0:1], -1
	global_load_dword v0, v[0:1], off
	s_nop 0
	buffer_load_dword v1, off, s[20:23], 0 offset:296 ; 4-byte Folded Reload
	s_waitcnt vmcnt(0)
	ds_write_b32 v1, v0
	s_waitcnt lgkmcnt(0)
	s_barrier
	buffer_load_dword v0, off, s[20:23], 0 offset:336 ; 4-byte Folded Reload
	s_waitcnt vmcnt(0)
	ds_read_b32 v0, v0
	s_waitcnt lgkmcnt(0)
	v_cvt_f32_f16_e32 v1, v0
	v_cvt_f32_f16_sdwa v2, v0 dst_sel:DWORD dst_unused:UNUSED_PAD src0_sel:WORD_1
	buffer_load_dword v0, off, s[20:23], 0 offset:340 ; 4-byte Folded Reload
	s_waitcnt vmcnt(0)
	ds_read_b32 v0, v0 offset:128
	s_waitcnt lgkmcnt(0)
	v_cvt_f32_f16_e32 v3, v0
	v_cvt_f32_f16_sdwa v4, v0 dst_sel:DWORD dst_unused:UNUSED_PAD src0_sel:WORD_1
	buffer_load_dword v0, off, s[20:23], 0 offset:344 ; 4-byte Folded Reload
	s_waitcnt vmcnt(0)
	ds_read_b32 v0, v0 offset:256
	;; [unrolled: 6-line block ×3, first 2 shown]
	s_waitcnt lgkmcnt(0)
	v_cvt_f32_f16_e32 v7, v0
	v_cvt_f32_f16_sdwa v0, v0 dst_sel:DWORD dst_unused:UNUSED_PAD src0_sel:WORD_1
	buffer_store_dword v1, off, s[20:23], 0 offset:188 ; 4-byte Folded Spill
	buffer_store_dword v1, off, s[20:23], 0 offset:212 ; 4-byte Folded Spill
	;; [unrolled: 1-line block ×16, first 2 shown]
.LBB152_6:                              ;   Parent Loop BB152_5 Depth=1
                                        ; =>  This Inner Loop Header: Depth=2
	buffer_store_dword v47, off, s[20:23], 0 offset:56 ; 4-byte Folded Spill
	s_nop 0
	buffer_store_dword v48, off, s[20:23], 0 offset:60 ; 4-byte Folded Spill
	buffer_store_dword v49, off, s[20:23], 0 offset:64 ; 4-byte Folded Spill
	s_nop 0
	buffer_store_dword v50, off, s[20:23], 0 offset:68 ; 4-byte Folded Spill
	;; [unrolled: 3-line block ×6, first 2 shown]
	buffer_load_dword v0, off, s[20:23], 0 offset:240 ; 4-byte Folded Reload
	s_lshl_b32 s17, s18, 1
	s_lshr_b32 s19, s18, 2
	s_addk_i32 s19, 0x6200
	s_lshl_b32 s18, s18, 2
	s_and_b64 vcc, exec, s[0:1]
	s_mov_b64 s[0:1], 0
	s_waitcnt vmcnt(0)
	v_or_b32_e32 v0, s17, v0
	v_lshlrev_b32_e32 v1, 2, v0
	v_lshrrev_b32_e32 v0, 1, v0
	ds_read_b128 v[14:17], v1 offset:16896
	ds_read_b128 v[10:13], v1 offset:16912
	;; [unrolled: 1-line block ×4, first 2 shown]
	ds_read_b64 v[70:71], v0 offset:27200
	buffer_load_dword v0, off, s[20:23], 0 offset:232 ; 4-byte Folded Reload
	buffer_load_dword v1, off, s[20:23], 0 offset:236 ; 4-byte Folded Reload
	s_waitcnt vmcnt(1)
	v_lshlrev_b32_e32 v0, 2, v0
	v_add3_u32 v18, s19, v126, v0
	buffer_load_dword v0, off, s[20:23], 0 offset:140 ; 4-byte Folded Reload
	s_waitcnt vmcnt(0)
	v_mul_u32_u24_e32 v0, 0x84, v0
	v_add_u32_e32 v19, s18, v0
	ds_read2_b32 v[0:1], v19 offset1:1
	ds_read2_b32 v[25:26], v19 offset0:6 offset1:7
	s_waitcnt lgkmcnt(1)
	v_and_b32_e32 v21, 0xf0f0f0f, v0
	v_dot4_i32_i8 v20, v21, v14, 0
	v_mov_b32_e32 v57, v21
	v_and_b32_e32 v21, 0xf0f0f0f, v1
	v_dot4_i32_i8 v22, v21, v15, v20
	v_mov_b32_e32 v49, v21
	ds_read2_b32 v[20:21], v19 offset0:2 offset1:3
	v_lshrrev_b32_e32 v0, 4, v0
	v_and_b32_e32 v112, 0xf0f0f0f, v0
	v_lshrrev_b32_e32 v1, 4, v1
	v_dot4_i32_i8 v0, v112, v6, 0
	s_waitcnt lgkmcnt(0)
	v_and_b32_e32 v23, 0xf0f0f0f, v20
	v_dot4_i32_i8 v22, v23, v16, v22
	v_and_b32_e32 v113, 0xf0f0f0f, v21
	v_mov_b32_e32 v50, v23
	v_dot4_i32_i8 v24, v113, v17, v22
	ds_read2_b32 v[22:23], v19 offset0:4 offset1:5
	v_and_b32_e32 v115, 0xf0f0f0f, v1
	v_lshrrev_b32_e32 v1, 4, v20
	v_dot4_i32_i8 v0, v115, v7, v0
	v_and_b32_e32 v116, 0xf0f0f0f, v1
	v_lshrrev_b32_e32 v1, 4, v21
	v_dot4_i32_i8 v0, v116, v8, v0
	v_and_b32_e32 v107, 0xf0f0f0f, v1
	s_waitcnt lgkmcnt(0)
	v_lshrrev_b32_e32 v1, 4, v22
	v_dot4_i32_i8 v0, v107, v9, v0
	v_and_b32_e32 v105, 0xf0f0f0f, v1
	v_lshrrev_b32_e32 v1, 4, v23
	v_dot4_i32_i8 v0, v105, v2, v0
	v_and_b32_e32 v103, 0xf0f0f0f, v1
	;; [unrolled: 3-line block ×4, first 2 shown]
	ds_read_u16 v27, v18
	ds_read_u16 v18, v18 offset:8
	v_dot4_i32_i8 v40, v100, v5, v0
	buffer_load_dword v0, off, s[20:23], 0 offset:284 ; 4-byte Folded Reload
	v_and_b32_e32 v108, 0xf0f0f0f, v22
	v_and_b32_e32 v109, 0xf0f0f0f, v23
	s_waitcnt lgkmcnt(0)
	v_cvt_f32_ubyte0_e32 v28, v18
	v_cvt_f32_ubyte1_e32 v114, v18
	v_and_b32_e32 v111, 0xf0f0f0f, v26
	v_dot4_i32_i8 v24, v108, v10, v24
	v_dot4_i32_i8 v24, v109, v11, v24
	v_and_b32_e32 v110, 0xf0f0f0f, v25
	v_dot4_i32_i8 v19, v110, v12, v24
	v_dot4_i32_i8 v19, v111, v13, v19
	v_and_b32_e32 v48, 0xff, v27
	v_lshrrev_b16_e32 v106, 8, v27
	v_mul_lo_u32 v19, v19, v48
	v_mul_lo_u32 v40, v40, v106
	v_cvt_f32_i32_e32 v19, v19
	v_cvt_f32_i32_e32 v40, v40
	v_fma_mix_f32 v19, v70, v19, 0 op_sel_hi:[1,0,0]
	v_fma_mix_f32 v19, v71, v40, v19 op_sel_hi:[1,0,0]
	s_waitcnt vmcnt(0)
	v_add3_u32 v18, s19, v125, v0
	buffer_load_dword v0, off, s[20:23], 0 offset:272 ; 4-byte Folded Reload
	s_waitcnt vmcnt(0)
	v_add_u32_e32 v20, s18, v0
	ds_read2_b32 v[0:1], v20 offset1:1
	ds_read2_b32 v[29:30], v20 offset0:4 offset1:5
	ds_read2_b32 v[31:32], v20 offset0:6 offset1:7
	s_waitcnt lgkmcnt(2)
	v_and_b32_e32 v96, 0xf0f0f0f, v0
	v_dot4_i32_i8 v22, v96, v14, 0
	v_and_b32_e32 v83, 0xf0f0f0f, v1
	v_dot4_i32_i8 v26, v83, v15, v22
	ds_read2_b32 v[22:23], v20 offset0:2 offset1:3
	v_lshrrev_b32_e32 v0, 4, v0
	v_and_b32_e32 v117, 0xf0f0f0f, v0
	v_lshrrev_b32_e32 v1, 4, v1
	v_dot4_i32_i8 v0, v117, v6, 0
	v_and_b32_e32 v119, 0xf0f0f0f, v1
	s_waitcnt lgkmcnt(0)
	v_lshrrev_b32_e32 v1, 4, v22
	v_dot4_i32_i8 v0, v119, v7, v0
	v_and_b32_e32 v120, 0xf0f0f0f, v1
	v_lshrrev_b32_e32 v1, 4, v23
	v_dot4_i32_i8 v0, v120, v8, v0
	v_and_b32_e32 v121, 0xf0f0f0f, v1
	;; [unrolled: 3-line block ×6, first 2 shown]
	ds_read_u16 v33, v18
	ds_read_u16 v18, v18 offset:8
	v_dot4_i32_i8 v42, v126, v5, v0
	buffer_load_dword v0, off, s[20:23], 0 offset:288 ; 4-byte Folded Reload
	v_and_b32_e32 v82, 0xf0f0f0f, v22
	v_and_b32_e32 v93, 0xf0f0f0f, v29
	s_waitcnt lgkmcnt(0)
	v_cvt_f32_ubyte0_e32 v97, v18
	v_cvt_f32_ubyte1_e32 v118, v18
	v_and_b32_e32 v77, 0xf0f0f0f, v30
	v_and_b32_e32 v76, 0xf0f0f0f, v31
	;; [unrolled: 1-line block ×4, first 2 shown]
	v_lshrrev_b16_e32 v122, 8, v33
	v_dot4_i32_i8 v26, v82, v16, v26
	v_and_b32_e32 v84, 0xf0f0f0f, v23
	v_dot4_i32_i8 v26, v84, v17, v26
	v_dot4_i32_i8 v26, v93, v10, v26
	v_dot4_i32_i8 v26, v77, v11, v26
	v_dot4_i32_i8 v26, v76, v12, v26
	v_dot4_i32_i8 v41, v74, v13, v26
	v_mul_lo_u32 v41, v41, v81
	v_mul_lo_u32 v42, v42, v122
	v_cvt_f32_i32_e32 v41, v41
	v_cvt_f32_i32_e32 v42, v42
	v_fma_mix_f32 v41, v70, v41, 0 op_sel_hi:[1,0,0]
	s_waitcnt vmcnt(0)
	v_add3_u32 v18, s19, v37, v0
	buffer_load_dword v0, off, s[20:23], 0 offset:276 ; 4-byte Folded Reload
	s_waitcnt vmcnt(0)
	v_add_u32_e32 v22, s18, v0
	ds_read2_b32 v[29:30], v22 offset1:1
	ds_read2_b32 v[31:32], v22 offset0:2 offset1:3
	ds_read2_b32 v[36:37], v22 offset0:4 offset1:5
	ds_read2_b32 v[44:45], v22 offset0:6 offset1:7
	s_waitcnt lgkmcnt(3)
	v_and_b32_e32 v68, 0xf0f0f0f, v29
	v_dot4_i32_i8 v0, v68, v14, 0
	v_and_b32_e32 v79, 0xf0f0f0f, v30
	v_dot4_i32_i8 v0, v79, v15, v0
	s_waitcnt lgkmcnt(2)
	v_and_b32_e32 v58, 0xf0f0f0f, v31
	v_dot4_i32_i8 v0, v58, v16, v0
	v_and_b32_e32 v80, 0xf0f0f0f, v32
	v_dot4_i32_i8 v33, v80, v17, v0
	;; [unrolled: 5-line block ×4, first 2 shown]
	ds_read_u16 v22, v18
	ds_read_u16 v18, v18 offset:8
	v_lshrrev_b32_e32 v30, 4, v30
	v_and_b32_e32 v91, 0xf0f0f0f, v30
	v_lshrrev_b32_e32 v30, 4, v31
	s_waitcnt lgkmcnt(1)
	v_and_b32_e32 v75, 0xff, v22
	s_waitcnt lgkmcnt(0)
	v_cvt_f32_ubyte0_e32 v104, v18
	v_cvt_f32_ubyte1_e32 v53, v18
	buffer_load_dword v18, off, s[20:23], 0 offset:292 ; 4-byte Folded Reload
	v_lshrrev_b16_e32 v51, 8, v22
	v_and_b32_e32 v85, 0xf0f0f0f, v30
	v_lshrrev_b32_e32 v30, 4, v32
	v_and_b32_e32 v52, 0xf0f0f0f, v30
	v_lshrrev_b32_e32 v30, 4, v36
	;; [unrolled: 2-line block ×5, first 2 shown]
	v_lshrrev_b32_e32 v29, 4, v29
	v_and_b32_e32 v90, 0xf0f0f0f, v29
	v_dot4_i32_i8 v29, v90, v6, 0
	v_dot4_i32_i8 v29, v91, v7, v29
	;; [unrolled: 1-line block ×7, first 2 shown]
	v_and_b32_e32 v38, 0xf0f0f0f, v30
	v_dot4_i32_i8 v44, v38, v5, v29
	v_mov_b32_e32 v33, v28
	v_mul_lo_u32 v44, v44, v51
	v_mov_b32_e32 v30, v57
	v_cvt_f32_i32_e32 v44, v44
	s_waitcnt vmcnt(0)
	v_add3_u32 v22, s19, v127, v18
	buffer_load_dword v18, off, s[20:23], 0 offset:280 ; 4-byte Folded Reload
	s_waitcnt vmcnt(0)
	v_add_u32_e32 v37, s18, v18
	ds_read2_b32 v[46:47], v37 offset1:1
	s_mov_b32 s18, 8
	s_waitcnt lgkmcnt(0)
	v_and_b32_e32 v34, 0xf0f0f0f, v46
	v_dot4_i32_i8 v14, v34, v14, 0
	v_and_b32_e32 v94, 0xf0f0f0f, v47
	v_dot4_i32_i8 v31, v94, v15, v14
	ds_read2_b32 v[14:15], v37 offset0:2 offset1:3
	s_waitcnt lgkmcnt(0)
	v_and_b32_e32 v88, 0xf0f0f0f, v14
	v_dot4_i32_i8 v16, v88, v16, v31
	v_and_b32_e32 v87, 0xf0f0f0f, v15
	v_dot4_i32_i8 v32, v87, v17, v16
	ds_read2_b32 v[16:17], v37 offset0:4 offset1:5
	v_mov_b32_e32 v31, v49
	v_fma_mix_f32 v49, v33, v70, 0 op_sel:[0,1,0] op_sel_hi:[0,1,0]
	v_fma_mix_f32 v40, v114, v71, v49 op_sel:[0,1,0] op_sel_hi:[0,1,0]
	s_waitcnt lgkmcnt(0)
	v_and_b32_e32 v36, 0xf0f0f0f, v16
	v_dot4_i32_i8 v10, v36, v10, v32
	v_and_b32_e32 v35, 0xf0f0f0f, v17
	v_dot4_i32_i8 v45, v35, v11, v10
	ds_read2_b32 v[10:11], v37 offset0:6 offset1:7
	v_mov_b32_e32 v32, v50
	s_waitcnt lgkmcnt(0)
	v_and_b32_e32 v98, 0xf0f0f0f, v10
	v_dot4_i32_i8 v12, v98, v12, v45
	v_and_b32_e32 v99, 0xf0f0f0f, v11
	v_dot4_i32_i8 v45, v99, v13, v12
	ds_read_u16 v12, v22
	ds_read_u16 v13, v22 offset:8
	v_lshrrev_b32_e32 v22, 4, v46
	v_and_b32_e32 v0, 0xf0f0f0f, v22
	v_lshrrev_b32_e32 v22, 4, v47
	v_dot4_i32_i8 v6, v0, v6, 0
	v_mov_b32_e32 v25, v0
	v_and_b32_e32 v0, 0xf0f0f0f, v22
	v_dot4_i32_i8 v6, v0, v7, v6
	v_lshrrev_b32_e32 v7, 4, v14
	v_mov_b32_e32 v27, v0
	v_and_b32_e32 v0, 0xf0f0f0f, v7
	v_lshrrev_b32_e32 v7, 4, v15
	v_dot4_i32_i8 v6, v0, v8, v6
	v_mov_b32_e32 v24, v0
	v_and_b32_e32 v0, 0xf0f0f0f, v7
	v_lshrrev_b32_e32 v7, 4, v16
	v_dot4_i32_i8 v6, v0, v9, v6
	v_and_b32_e32 v61, 0xf0f0f0f, v7
	v_dot4_i32_i8 v2, v61, v2, v6
	v_lshrrev_b32_e32 v6, 4, v17
	v_and_b32_e32 v20, 0xf0f0f0f, v6
	v_dot4_i32_i8 v2, v20, v3, v2
	v_lshrrev_b32_e32 v3, 4, v10
	v_and_b32_e32 v18, 0xf0f0f0f, v3
	v_lshrrev_b32_e32 v3, 4, v11
	v_dot4_i32_i8 v2, v18, v4, v2
	v_and_b32_e32 v69, 0xf0f0f0f, v3
	v_dot4_i32_i8 v46, v69, v5, v2
	buffer_load_dword v2, off, s[20:23], 0 offset:244 ; 4-byte Folded Reload
	s_waitcnt lgkmcnt(1)
	v_and_b32_e32 v63, 0xff, v12
	s_waitcnt lgkmcnt(0)
	v_cvt_f32_ubyte0_e32 v64, v13
	v_lshrrev_b16_e32 v62, 8, v12
	v_cvt_f32_ubyte1_e32 v29, v13
	v_mov_b32_e32 v1, v69
	v_mov_b32_e32 v26, v0
	s_waitcnt vmcnt(0)
	v_or_b32_e32 v2, s17, v2
	v_lshlrev_b32_e32 v3, 2, v2
	v_lshrrev_b32_e32 v47, 1, v2
	ds_read_b128 v[14:17], v3 offset:16896
	ds_read_b128 v[10:13], v3 offset:16912
	;; [unrolled: 1-line block ×4, first 2 shown]
	ds_read_b64 v[72:73], v47 offset:27200
	buffer_load_dword v21, off, s[20:23], 0 offset:216 ; 4-byte Folded Reload
	s_waitcnt lgkmcnt(4)
	v_dot4_i32_i8 v47, v57, v14, 0
	v_dot4_i32_i8 v47, v31, v15, v47
	;; [unrolled: 1-line block ×4, first 2 shown]
	s_waitcnt lgkmcnt(3)
	v_dot4_i32_i8 v47, v108, v10, v47
	v_dot4_i32_i8 v47, v109, v11, v47
	;; [unrolled: 1-line block ×4, first 2 shown]
	buffer_store_dword v48, off, s[20:23], 0 offset:184 ; 4-byte Folded Spill
	v_mul_lo_u32 v47, v47, v48
	s_waitcnt lgkmcnt(0)
	v_fma_mix_f32 v48, v33, v72, 0 op_sel:[0,1,0] op_sel_hi:[0,1,0]
	v_fma_mix_f32 v48, v114, v73, v48 op_sel:[0,1,0] op_sel_hi:[0,1,0]
	v_dot4_i32_i8 v95, v112, v6, 0
	v_dot4_i32_i8 v95, v115, v7, v95
	v_dot4_i32_i8 v95, v116, v8, v95
	v_dot4_i32_i8 v95, v107, v9, v95
	v_dot4_i32_i8 v95, v105, v2, v95
	v_dot4_i32_i8 v95, v103, v3, v95
	v_dot4_i32_i8 v95, v101, v4, v95
	v_dot4_i32_i8 v95, v100, v5, v95
	v_mul_lo_u32 v95, v95, v106
	v_cvt_f32_i32_e32 v47, v47
	v_cvt_f32_i32_e32 v95, v95
	v_fma_mix_f32 v47, v72, v47, 0 op_sel_hi:[1,0,0]
	v_fma_mix_f32 v47, v73, v95, v47 op_sel_hi:[1,0,0]
	s_waitcnt vmcnt(1)
	v_mul_f32_e32 v48, v48, v21
	v_mov_b32_e32 v56, v21
	buffer_load_dword v21, off, s[20:23], 0 offset:192 ; 4-byte Folded Reload
	v_mov_b32_e32 v57, v56
	s_waitcnt vmcnt(0)
	v_mul_f32_e32 v40, v40, v21
	v_mov_b32_e32 v37, v21
	buffer_load_dword v21, off, s[20:23], 0 offset:188 ; 4-byte Folded Reload
	s_waitcnt vmcnt(0)
	v_fma_f32 v19, v19, v21, -v40
	v_mov_b32_e32 v60, v21
	buffer_load_dword v21, off, s[20:23], 0 offset:212 ; 4-byte Folded Reload
	s_waitcnt vmcnt(0)
	v_fma_f32 v40, v47, v21, -v48
	buffer_load_dword v47, off, s[20:23], 0 ; 4-byte Folded Reload
	buffer_load_dword v48, off, s[20:23], 0 offset:4 ; 4-byte Folded Reload
	v_mov_b32_e32 v127, v21
	s_waitcnt vmcnt(1)
	v_add_f32_e32 v47, v47, v19
	s_waitcnt vmcnt(0)
	v_add_f32_e32 v48, v48, v40
	buffer_store_dword v47, off, s[20:23], 0 ; 4-byte Folded Spill
	s_nop 0
	buffer_store_dword v48, off, s[20:23], 0 offset:4 ; 4-byte Folded Spill
	buffer_load_dword v21, off, s[20:23], 0 offset:128 ; 4-byte Folded Reload
	buffer_load_dword v69, off, s[20:23], 0 offset:200 ; 4-byte Folded Reload
	;; [unrolled: 1-line block ×3, first 2 shown]
	v_dot4_i32_i8 v19, v96, v14, 0
	v_dot4_i32_i8 v19, v83, v15, v19
	;; [unrolled: 1-line block ×16, first 2 shown]
	v_mul_lo_u32 v19, v19, v81
	v_mul_lo_u32 v40, v40, v122
	v_fma_mix_f32 v47, v97, v72, 0 op_sel:[0,1,0] op_sel_hi:[0,1,0]
	v_fma_mix_f32 v48, v97, v70, 0 op_sel:[0,1,0] op_sel_hi:[0,1,0]
	v_cvt_f32_i32_e32 v19, v19
	v_cvt_f32_i32_e32 v40, v40
	v_fma_mix_f32 v19, v72, v19, 0 op_sel_hi:[1,0,0]
	v_fma_mix_f32 v19, v73, v40, v19 op_sel_hi:[1,0,0]
	;; [unrolled: 1-line block ×3, first 2 shown]
	v_fma_mix_f32 v42, v118, v73, v47 op_sel:[0,1,0] op_sel_hi:[0,1,0]
	v_fma_mix_f32 v41, v118, v71, v48 op_sel:[0,1,0] op_sel_hi:[0,1,0]
	v_mov_b32_e32 v47, v27
	v_mov_b32_e32 v27, v25
	s_waitcnt vmcnt(2)
	v_mul_f32_e32 v42, v42, v21
	v_mov_b32_e32 v59, v21
	buffer_load_dword v21, off, s[20:23], 0 offset:196 ; 4-byte Folded Reload
	s_waitcnt vmcnt(2)
	v_mul_f32_e32 v41, v41, v69
	s_waitcnt vmcnt(1)
	v_fma_f32 v19, v19, v22, -v42
	s_waitcnt vmcnt(0)
	v_fma_f32 v40, v40, v21, -v41
	buffer_load_dword v41, off, s[20:23], 0 offset:108 ; 4-byte Folded Reload
	buffer_load_dword v42, off, s[20:23], 0 offset:112 ; 4-byte Folded Reload
	v_mov_b32_e32 v28, v21
	s_waitcnt vmcnt(1)
	v_add_f32_e32 v41, v41, v40
	s_waitcnt vmcnt(0)
	v_add_f32_e32 v42, v42, v19
	buffer_store_dword v41, off, s[20:23], 0 offset:108 ; 4-byte Folded Spill
	s_nop 0
	buffer_store_dword v42, off, s[20:23], 0 offset:112 ; 4-byte Folded Spill
	buffer_load_dword v21, off, s[20:23], 0 offset:220 ; 4-byte Folded Reload
	v_fma_mix_f32 v42, v104, v72, 0 op_sel:[0,1,0] op_sel_hi:[0,1,0]
	v_fma_mix_f32 v42, v53, v73, v42 op_sel:[0,1,0] op_sel_hi:[0,1,0]
	buffer_load_dword v78, off, s[20:23], 0 offset:208 ; 4-byte Folded Reload
	buffer_load_dword v0, off, s[20:23], 0 offset:136 ; 4-byte Folded Reload
	v_dot4_i32_i8 v19, v68, v14, 0
	v_dot4_i32_i8 v19, v79, v15, v19
	;; [unrolled: 1-line block ×19, first 2 shown]
	v_mul_lo_u32 v41, v43, v75
	v_mul_lo_u32 v19, v19, v75
	v_dot4_i32_i8 v14, v88, v16, v14
	v_dot4_i32_i8 v6, v47, v7, v6
	v_mul_lo_u32 v40, v40, v51
	v_dot4_i32_i8 v14, v87, v17, v14
	v_dot4_i32_i8 v6, v24, v8, v6
	;; [unrolled: 1-line block ×6, first 2 shown]
	v_cvt_f32_i32_e32 v19, v19
	v_cvt_f32_i32_e32 v41, v41
	v_dot4_i32_i8 v10, v98, v12, v10
	v_dot4_i32_i8 v2, v20, v3, v2
	v_cvt_f32_i32_e32 v40, v40
	v_dot4_i32_i8 v10, v99, v13, v10
	v_dot4_i32_i8 v2, v18, v4, v2
	;; [unrolled: 1-line block ×3, first 2 shown]
	v_mul_lo_u32 v4, v10, v63
	v_mul_lo_u32 v2, v2, v62
	v_fma_mix_f32 v41, v70, v41, 0 op_sel_hi:[1,0,0]
	v_fma_mix_f32 v19, v72, v19, 0 op_sel_hi:[1,0,0]
	v_fma_mix_f32 v43, v104, v70, 0 op_sel:[0,1,0] op_sel_hi:[0,1,0]
	v_fma_mix_f32 v19, v73, v40, v19 op_sel_hi:[1,0,0]
	v_fma_mix_f32 v40, v71, v44, v41 op_sel_hi:[1,0,0]
	v_fma_mix_f32 v41, v53, v71, v43 op_sel:[0,1,0] op_sel_hi:[0,1,0]
	v_cvt_f32_i32_e32 v4, v4
	v_cvt_f32_i32_e32 v2, v2
	v_fma_mix_f32 v6, v64, v70, 0 op_sel:[0,1,0] op_sel_hi:[0,1,0]
	v_mul_lo_u32 v3, v45, v63
	v_fma_mix_f32 v4, v72, v4, 0 op_sel_hi:[1,0,0]
	v_fma_mix_f32 v2, v73, v2, v4 op_sel_hi:[1,0,0]
	v_mul_lo_u32 v7, v46, v62
	v_cvt_f32_i32_e32 v3, v3
	v_fma_mix_f32 v5, v64, v72, 0 op_sel:[0,1,0] op_sel_hi:[0,1,0]
	v_cvt_f32_i32_e32 v7, v7
	v_fma_mix_f32 v3, v70, v3, 0 op_sel_hi:[1,0,0]
	v_fma_mix_f32 v3, v71, v7, v3 op_sel_hi:[1,0,0]
	s_waitcnt vmcnt(2)
	v_mul_f32_e32 v42, v42, v21
	v_mov_b32_e32 v23, v21
	buffer_load_dword v21, off, s[20:23], 0 offset:204 ; 4-byte Folded Reload
	s_waitcnt vmcnt(1)
	v_fma_f32 v19, v19, v0, -v42
	v_add_f32_e32 v66, v66, v19
	s_waitcnt vmcnt(0)
	v_mul_f32_e32 v41, v41, v21
	v_fma_f32 v40, v40, v78, -v41
	v_add_f32_e32 v65, v65, v40
	buffer_store_dword v65, off, s[20:23], 0 offset:160 ; 4-byte Folded Spill
	s_nop 0
	buffer_store_dword v66, off, s[20:23], 0 offset:164 ; 4-byte Folded Spill
	v_mov_b32_e32 v66, v29
	v_fma_mix_f32 v4, v66, v71, v6 op_sel:[0,1,0] op_sel_hi:[0,1,0]
	buffer_load_dword v65, off, s[20:23], 0 offset:224 ; 4-byte Folded Reload
	buffer_load_dword v6, off, s[20:23], 0 offset:72 ; 4-byte Folded Reload
	;; [unrolled: 1-line block ×3, first 2 shown]
	v_fma_mix_f32 v5, v66, v73, v5 op_sel:[0,1,0] op_sel_hi:[0,1,0]
	v_mov_b32_e32 v29, v47
	s_waitcnt vmcnt(2)
	v_mul_f32_e32 v5, v5, v65
	s_waitcnt vmcnt(1)
	v_mul_f32_e32 v4, v4, v6
	buffer_load_dword v6, off, s[20:23], 0 offset:124 ; 4-byte Folded Reload
	s_waitcnt vmcnt(1)
	v_fma_f32 v2, v2, v67, -v5
	s_waitcnt vmcnt(0)
	v_fma_f32 v3, v3, v6, -v4
	buffer_load_dword v4, off, s[20:23], 0 offset:116 ; 4-byte Folded Reload
	buffer_load_dword v5, off, s[20:23], 0 offset:120 ; 4-byte Folded Reload
	v_mov_b32_e32 v50, v6
	s_waitcnt vmcnt(1)
	v_add_f32_e32 v4, v4, v3
	s_waitcnt vmcnt(0)
	v_add_f32_e32 v5, v5, v2
	buffer_store_dword v4, off, s[20:23], 0 offset:116 ; 4-byte Folded Spill
	s_nop 0
	buffer_store_dword v5, off, s[20:23], 0 offset:120 ; 4-byte Folded Spill
	buffer_load_dword v2, off, s[20:23], 0 offset:248 ; 4-byte Folded Reload
	s_waitcnt vmcnt(0)
	v_or_b32_e32 v2, s17, v2
	v_lshlrev_b32_e32 v3, 2, v2
	v_lshrrev_b32_e32 v19, 1, v2
	ds_read_b128 v[14:17], v3 offset:16896
	ds_read_b128 v[10:13], v3 offset:16912
	ds_read_b128 v[6:9], v3 offset:16928
	ds_read_b128 v[2:5], v3 offset:16944
	ds_read_b64 v[70:71], v19 offset:27200
	s_waitcnt lgkmcnt(4)
	v_dot4_i32_i8 v19, v30, v14, 0
	v_dot4_i32_i8 v19, v31, v15, v19
	v_dot4_i32_i8 v19, v32, v16, v19
	v_dot4_i32_i8 v19, v113, v17, v19
	s_waitcnt lgkmcnt(3)
	v_dot4_i32_i8 v19, v108, v10, v19
	v_dot4_i32_i8 v19, v109, v11, v19
	v_dot4_i32_i8 v19, v110, v12, v19
	v_dot4_i32_i8 v46, v111, v13, v19
	;; [unrolled: 5-line block ×4, first 2 shown]
	v_dot4_i32_i8 v19, v96, v14, 0
	v_dot4_i32_i8 v19, v83, v15, v19
	;; [unrolled: 1-line block ×40, first 2 shown]
	buffer_load_dword v2, off, s[20:23], 0 offset:252 ; 4-byte Folded Reload
	v_dot4_i32_i8 v14, v34, v14, 0
	v_dot4_i32_i8 v14, v94, v15, v14
	;; [unrolled: 1-line block ×8, first 2 shown]
	v_mov_b32_e32 v25, v24
	v_mov_b32_e32 v24, v26
	v_mul_lo_u32 v45, v45, v106
	s_waitcnt lgkmcnt(0)
	v_fma_mix_f32 v95, v33, v70, 0 op_sel:[0,1,0] op_sel_hi:[0,1,0]
	v_mul_lo_u32 v44, v44, v81
	v_mul_lo_u32 v43, v43, v122
	v_cvt_f32_i32_e32 v45, v45
	v_mul_lo_u32 v42, v42, v75
	v_cvt_f32_i32_e32 v44, v44
	v_cvt_f32_i32_e32 v43, v43
	v_mul_lo_u32 v41, v41, v51
	v_cvt_f32_i32_e32 v42, v42
	v_fma_mix_f32 v44, v44, v70, 0 op_sel_hi:[0,1,0]
	v_fma_mix_f32 v43, v43, v71, v44 op_sel_hi:[0,1,0]
	v_cvt_f32_i32_e32 v41, v41
	v_fma_mix_f32 v42, v42, v70, 0 op_sel_hi:[0,1,0]
	v_fma_mix_f32 v41, v41, v71, v42 op_sel_hi:[0,1,0]
	s_waitcnt vmcnt(0)
	v_or_b32_e32 v2, s17, v2
	v_lshlrev_b32_e32 v3, 2, v2
	v_lshrrev_b32_e32 v47, 1, v2
	ds_read_b128 v[14:17], v3 offset:16896
	ds_read_b128 v[10:13], v3 offset:16912
	;; [unrolled: 1-line block ×4, first 2 shown]
	ds_read_b64 v[72:73], v47 offset:27200
	buffer_load_dword v26, off, s[20:23], 0 offset:184 ; 4-byte Folded Reload
	s_waitcnt lgkmcnt(4)
	v_dot4_i32_i8 v47, v30, v14, 0
	v_dot4_i32_i8 v47, v31, v15, v47
	s_waitcnt lgkmcnt(2)
	v_dot4_i32_i8 v48, v112, v6, 0
	v_dot4_i32_i8 v47, v32, v16, v47
	;; [unrolled: 1-line block ×8, first 2 shown]
	s_waitcnt lgkmcnt(1)
	v_dot4_i32_i8 v48, v105, v2, v48
	v_dot4_i32_i8 v47, v110, v12, v47
	;; [unrolled: 1-line block ×6, first 2 shown]
	v_mul_lo_u32 v48, v48, v106
	s_waitcnt lgkmcnt(0)
	v_fma_mix_f32 v49, v33, v72, 0 op_sel:[0,1,0] op_sel_hi:[0,1,0]
	v_cvt_f32_i32_e32 v48, v48
	s_waitcnt vmcnt(0)
	v_mul_lo_u32 v46, v46, v26
	v_mul_lo_u32 v47, v47, v26
	v_cvt_f32_i32_e32 v46, v46
	v_cvt_f32_i32_e32 v47, v47
	v_fma_mix_f32 v46, v46, v70, 0 op_sel_hi:[0,1,0]
	v_fma_mix_f32 v47, v47, v72, 0 op_sel_hi:[0,1,0]
	;; [unrolled: 1-line block ×4, first 2 shown]
	v_fma_mix_f32 v46, v114, v71, v95 op_sel:[0,1,0] op_sel_hi:[0,1,0]
	v_fma_mix_f32 v48, v114, v73, v49 op_sel:[0,1,0] op_sel_hi:[0,1,0]
	v_mul_f32_e32 v48, v48, v56
	v_mul_f32_e32 v46, v46, v37
	v_fma_f32 v45, v45, v60, -v46
	v_fma_f32 v46, v47, v127, -v48
	buffer_load_dword v47, off, s[20:23], 0 offset:84 ; 4-byte Folded Reload
	buffer_load_dword v48, off, s[20:23], 0 offset:88 ; 4-byte Folded Reload
	v_mov_b32_e32 v95, v61
	v_mov_b32_e32 v61, v66
	;; [unrolled: 1-line block ×6, first 2 shown]
	s_waitcnt vmcnt(1)
	v_add_f32_e32 v47, v47, v45
	v_dot4_i32_i8 v45, v96, v14, 0
	s_waitcnt vmcnt(0)
	v_add_f32_e32 v48, v48, v46
	v_dot4_i32_i8 v45, v83, v15, v45
	v_dot4_i32_i8 v46, v117, v6, 0
	;; [unrolled: 1-line block ×15, first 2 shown]
	v_mul_lo_u32 v45, v45, v81
	v_mul_lo_u32 v46, v46, v122
	buffer_store_dword v47, off, s[20:23], 0 offset:84 ; 4-byte Folded Spill
	s_nop 0
	buffer_store_dword v48, off, s[20:23], 0 offset:88 ; 4-byte Folded Spill
	v_fma_mix_f32 v47, v97, v72, 0 op_sel:[0,1,0] op_sel_hi:[0,1,0]
	v_cvt_f32_i32_e32 v45, v45
	v_cvt_f32_i32_e32 v46, v46
	v_fma_mix_f32 v48, v97, v70, 0 op_sel:[0,1,0] op_sel_hi:[0,1,0]
	v_fma_mix_f32 v44, v118, v71, v48 op_sel:[0,1,0] op_sel_hi:[0,1,0]
	v_fma_mix_f32 v45, v45, v72, 0 op_sel_hi:[0,1,0]
	v_fma_mix_f32 v45, v46, v73, v45 op_sel_hi:[0,1,0]
	v_fma_mix_f32 v46, v118, v73, v47 op_sel:[0,1,0] op_sel_hi:[0,1,0]
	v_mul_f32_e32 v46, v46, v59
	v_mul_f32_e32 v44, v44, v69
	v_fma_f32 v43, v43, v28, -v44
	v_fma_f32 v44, v45, v22, -v46
	buffer_load_dword v45, off, s[20:23], 0 offset:92 ; 4-byte Folded Reload
	buffer_load_dword v46, off, s[20:23], 0 offset:96 ; 4-byte Folded Reload
	v_mov_b32_e32 v48, v1
	v_mov_b32_e32 v1, v20
	;; [unrolled: 1-line block ×4, first 2 shown]
	s_waitcnt vmcnt(1)
	v_add_f32_e32 v45, v45, v43
	v_dot4_i32_i8 v43, v68, v14, 0
	s_waitcnt vmcnt(0)
	v_add_f32_e32 v46, v46, v44
	v_dot4_i32_i8 v43, v79, v15, v43
	v_dot4_i32_i8 v44, v90, v6, 0
	;; [unrolled: 1-line block ×15, first 2 shown]
	v_mul_lo_u32 v43, v43, v75
	v_mul_lo_u32 v44, v44, v51
	buffer_store_dword v45, off, s[20:23], 0 offset:92 ; 4-byte Folded Spill
	s_nop 0
	buffer_store_dword v46, off, s[20:23], 0 offset:96 ; 4-byte Folded Spill
	v_fma_mix_f32 v45, v104, v72, 0 op_sel:[0,1,0] op_sel_hi:[0,1,0]
	v_cvt_f32_i32_e32 v43, v43
	v_cvt_f32_i32_e32 v44, v44
	v_fma_mix_f32 v46, v104, v70, 0 op_sel:[0,1,0] op_sel_hi:[0,1,0]
	v_fma_mix_f32 v42, v53, v71, v46 op_sel:[0,1,0] op_sel_hi:[0,1,0]
	v_fma_mix_f32 v43, v43, v72, 0 op_sel_hi:[0,1,0]
	v_fma_mix_f32 v43, v44, v73, v43 op_sel_hi:[0,1,0]
	v_fma_mix_f32 v44, v53, v73, v45 op_sel:[0,1,0] op_sel_hi:[0,1,0]
	v_mul_f32_e32 v44, v44, v23
	v_mul_f32_e32 v42, v42, v21
	v_fma_f32 v41, v41, v78, -v42
	v_fma_f32 v42, v43, v0, -v44
	buffer_load_dword v43, off, s[20:23], 0 offset:100 ; 4-byte Folded Reload
	buffer_load_dword v44, off, s[20:23], 0 offset:104 ; 4-byte Folded Reload
	v_dot4_i32_i8 v14, v34, v14, 0
	v_dot4_i32_i8 v14, v94, v15, v14
	;; [unrolled: 1-line block ×13, first 2 shown]
	v_mov_b32_e32 v0, v18
	v_dot4_i32_i8 v10, v99, v13, v10
	v_dot4_i32_i8 v2, v0, v4, v2
	;; [unrolled: 1-line block ×3, first 2 shown]
	v_mul_lo_u32 v4, v10, v63
	v_mul_lo_u32 v2, v2, v62
	v_fma_mix_f32 v5, v64, v72, 0 op_sel:[0,1,0] op_sel_hi:[0,1,0]
	v_fma_mix_f32 v6, v64, v70, 0 op_sel:[0,1,0] op_sel_hi:[0,1,0]
	v_cvt_f32_i32_e32 v4, v4
	v_cvt_f32_i32_e32 v2, v2
	v_fma_mix_f32 v5, v66, v73, v5 op_sel:[0,1,0] op_sel_hi:[0,1,0]
	v_mul_lo_u32 v3, v40, v63
	v_fma_mix_f32 v4, v4, v72, 0 op_sel_hi:[0,1,0]
	v_fma_mix_f32 v2, v2, v73, v4 op_sel_hi:[0,1,0]
	v_fma_mix_f32 v4, v66, v71, v6 op_sel:[0,1,0] op_sel_hi:[0,1,0]
	v_mul_lo_u32 v7, v19, v62
	v_cvt_f32_i32_e32 v3, v3
	v_mul_f32_e32 v5, v5, v65
	v_fma_f32 v2, v2, v67, -v5
	v_cvt_f32_i32_e32 v7, v7
	v_fma_mix_f32 v3, v3, v70, 0 op_sel_hi:[0,1,0]
	v_mov_b32_e32 v21, v26
	v_mov_b32_e32 v18, v95
	v_fma_mix_f32 v3, v7, v71, v3 op_sel_hi:[0,1,0]
	v_mov_b32_e32 v26, v60
	s_waitcnt vmcnt(1)
	v_add_f32_e32 v43, v43, v41
	s_waitcnt vmcnt(0)
	v_add_f32_e32 v44, v44, v42
	buffer_store_dword v43, off, s[20:23], 0 offset:100 ; 4-byte Folded Spill
	s_nop 0
	buffer_store_dword v44, off, s[20:23], 0 offset:104 ; 4-byte Folded Spill
	buffer_load_dword v66, off, s[20:23], 0 offset:72 ; 4-byte Folded Reload
	s_waitcnt vmcnt(0)
	v_mul_f32_e32 v4, v4, v66
	v_fma_f32 v3, v3, v50, -v4
	buffer_load_dword v4, off, s[20:23], 0 offset:16 ; 4-byte Folded Reload
	buffer_load_dword v5, off, s[20:23], 0 offset:20 ; 4-byte Folded Reload
	s_waitcnt vmcnt(1)
	v_add_f32_e32 v4, v4, v3
	s_waitcnt vmcnt(0)
	v_add_f32_e32 v5, v5, v2
	buffer_store_dword v4, off, s[20:23], 0 offset:16 ; 4-byte Folded Spill
	s_nop 0
	buffer_store_dword v5, off, s[20:23], 0 offset:20 ; 4-byte Folded Spill
	buffer_load_dword v2, off, s[20:23], 0 offset:256 ; 4-byte Folded Reload
	s_waitcnt vmcnt(0)
	v_or_b32_e32 v2, s17, v2
	v_lshlrev_b32_e32 v3, 2, v2
	v_lshrrev_b32_e32 v19, 1, v2
	ds_read_b128 v[14:17], v3 offset:16896
	ds_read_b128 v[10:13], v3 offset:16912
	;; [unrolled: 1-line block ×4, first 2 shown]
	ds_read_b64 v[70:71], v19 offset:27200
	s_waitcnt lgkmcnt(4)
	v_dot4_i32_i8 v19, v30, v14, 0
	v_dot4_i32_i8 v19, v31, v15, v19
	v_dot4_i32_i8 v19, v32, v16, v19
	v_dot4_i32_i8 v19, v113, v17, v19
	s_waitcnt lgkmcnt(3)
	v_dot4_i32_i8 v19, v108, v10, v19
	v_dot4_i32_i8 v19, v109, v11, v19
	v_dot4_i32_i8 v19, v110, v12, v19
	v_dot4_i32_i8 v46, v111, v13, v19
	;; [unrolled: 5-line block ×4, first 2 shown]
	v_dot4_i32_i8 v19, v96, v14, 0
	v_dot4_i32_i8 v19, v83, v15, v19
	;; [unrolled: 1-line block ×37, first 2 shown]
	buffer_load_dword v2, off, s[20:23], 0 offset:260 ; 4-byte Folded Reload
	v_dot4_i32_i8 v14, v34, v14, 0
	v_dot4_i32_i8 v14, v94, v15, v14
	v_dot4_i32_i8 v14, v88, v16, v14
	v_dot4_i32_i8 v14, v87, v17, v14
	v_dot4_i32_i8 v10, v36, v10, v14
	v_dot4_i32_i8 v19, v39, v3, v19
	v_dot4_i32_i8 v10, v35, v11, v10
	v_dot4_i32_i8 v19, v86, v4, v19
	v_dot4_i32_i8 v10, v98, v12, v10
	v_dot4_i32_i8 v41, v38, v5, v19
	v_dot4_i32_i8 v40, v99, v13, v10
	v_mov_b32_e32 v19, v48
	v_mul_lo_u32 v46, v46, v21
	v_mul_lo_u32 v45, v45, v106
	s_waitcnt lgkmcnt(0)
	v_fma_mix_f32 v95, v33, v70, 0 op_sel:[0,1,0] op_sel_hi:[0,1,0]
	v_mul_lo_u32 v44, v44, v81
	v_cvt_f32_i32_e32 v46, v46
	v_cvt_f32_i32_e32 v45, v45
	v_mul_lo_u32 v43, v43, v122
	v_cvt_f32_i32_e32 v44, v44
	v_fma_mix_f32 v46, v46, v70, 0 op_sel_hi:[0,1,0]
	v_fma_mix_f32 v45, v45, v71, v46 op_sel_hi:[0,1,0]
	v_fma_mix_f32 v46, v114, v71, v95 op_sel:[0,1,0] op_sel_hi:[0,1,0]
	v_mul_f32_e32 v46, v46, v56
	v_fma_f32 v45, v45, v37, -v46
	v_cvt_f32_i32_e32 v43, v43
	v_fma_mix_f32 v44, v44, v70, 0 op_sel_hi:[0,1,0]
	v_mov_b32_e32 v95, v28
	v_mul_lo_u32 v42, v42, v75
	v_fma_mix_f32 v43, v43, v71, v44 op_sel_hi:[0,1,0]
	v_mul_lo_u32 v41, v41, v51
	v_cvt_f32_i32_e32 v42, v42
	v_cvt_f32_i32_e32 v41, v41
	v_fma_mix_f32 v42, v42, v70, 0 op_sel_hi:[0,1,0]
	v_fma_mix_f32 v41, v41, v71, v42 op_sel_hi:[0,1,0]
	s_waitcnt vmcnt(0)
	v_or_b32_e32 v2, s17, v2
	v_lshlrev_b32_e32 v3, 2, v2
	v_lshrrev_b32_e32 v47, 1, v2
	ds_read_b128 v[14:17], v3 offset:16896
	ds_read_b128 v[10:13], v3 offset:16912
	;; [unrolled: 1-line block ×4, first 2 shown]
	ds_read_b64 v[72:73], v47 offset:27200
	s_waitcnt lgkmcnt(4)
	v_dot4_i32_i8 v47, v30, v14, 0
	v_dot4_i32_i8 v47, v31, v15, v47
	s_waitcnt lgkmcnt(2)
	v_dot4_i32_i8 v48, v112, v6, 0
	v_dot4_i32_i8 v47, v32, v16, v47
	;; [unrolled: 1-line block ×8, first 2 shown]
	s_waitcnt lgkmcnt(1)
	v_dot4_i32_i8 v48, v105, v2, v48
	v_dot4_i32_i8 v47, v110, v12, v47
	;; [unrolled: 1-line block ×6, first 2 shown]
	v_mul_lo_u32 v47, v47, v21
	v_mul_lo_u32 v48, v48, v106
	s_waitcnt lgkmcnt(0)
	v_fma_mix_f32 v49, v33, v72, 0 op_sel:[0,1,0] op_sel_hi:[0,1,0]
	v_cvt_f32_i32_e32 v47, v47
	v_cvt_f32_i32_e32 v48, v48
	v_fma_mix_f32 v47, v47, v72, 0 op_sel_hi:[0,1,0]
	v_fma_mix_f32 v47, v48, v73, v47 op_sel_hi:[0,1,0]
	v_fma_mix_f32 v48, v114, v73, v49 op_sel:[0,1,0] op_sel_hi:[0,1,0]
	v_mul_f32_e32 v48, v48, v57
	v_fma_f32 v46, v47, v26, -v48
	buffer_load_dword v47, off, s[20:23], 0 offset:8 ; 4-byte Folded Reload
	buffer_load_dword v48, off, s[20:23], 0 offset:12 ; 4-byte Folded Reload
	s_waitcnt vmcnt(1)
	v_add_f32_e32 v47, v47, v45
	v_dot4_i32_i8 v45, v96, v14, 0
	s_waitcnt vmcnt(0)
	v_add_f32_e32 v48, v48, v46
	v_dot4_i32_i8 v45, v83, v15, v45
	v_dot4_i32_i8 v46, v117, v6, 0
	;; [unrolled: 1-line block ×15, first 2 shown]
	v_mul_lo_u32 v45, v45, v81
	v_mul_lo_u32 v46, v46, v122
	buffer_store_dword v47, off, s[20:23], 0 offset:8 ; 4-byte Folded Spill
	s_nop 0
	buffer_store_dword v48, off, s[20:23], 0 offset:12 ; 4-byte Folded Spill
	v_fma_mix_f32 v47, v97, v72, 0 op_sel:[0,1,0] op_sel_hi:[0,1,0]
	v_cvt_f32_i32_e32 v45, v45
	v_cvt_f32_i32_e32 v46, v46
	v_fma_mix_f32 v48, v97, v70, 0 op_sel:[0,1,0] op_sel_hi:[0,1,0]
	v_fma_mix_f32 v44, v118, v71, v48 op_sel:[0,1,0] op_sel_hi:[0,1,0]
	v_fma_mix_f32 v45, v45, v72, 0 op_sel_hi:[0,1,0]
	v_fma_mix_f32 v45, v46, v73, v45 op_sel_hi:[0,1,0]
	v_fma_mix_f32 v46, v118, v73, v47 op_sel:[0,1,0] op_sel_hi:[0,1,0]
	buffer_load_dword v47, off, s[20:23], 0 offset:56 ; 4-byte Folded Reload
	buffer_load_dword v48, off, s[20:23], 0 offset:60 ; 4-byte Folded Reload
	;; [unrolled: 1-line block ×6, first 2 shown]
	v_mul_f32_e32 v44, v44, v69
	v_fma_f32 v43, v43, v28, -v44
	buffer_load_dword v28, off, s[20:23], 0 offset:136 ; 4-byte Folded Reload
	s_waitcnt vmcnt(6)
	v_add_f32_e32 v47, v47, v43
	v_dot4_i32_i8 v43, v68, v14, 0
	v_dot4_i32_i8 v43, v79, v15, v43
	;; [unrolled: 1-line block ×3, first 2 shown]
	s_waitcnt vmcnt(2)
	v_mul_f32_e32 v46, v46, v60
	s_waitcnt vmcnt(1)
	v_fma_f32 v44, v45, v23, -v46
	v_add_f32_e32 v48, v48, v44
	v_dot4_i32_i8 v44, v90, v6, 0
	v_dot4_i32_i8 v44, v91, v7, v44
	;; [unrolled: 1-line block ×13, first 2 shown]
	v_mul_lo_u32 v43, v43, v75
	v_mul_lo_u32 v44, v44, v51
	v_dot4_i32_i8 v14, v34, v14, 0
	v_dot4_i32_i8 v14, v94, v15, v14
	v_cvt_f32_i32_e32 v43, v43
	v_cvt_f32_i32_e32 v44, v44
	v_dot4_i32_i8 v6, v27, v6, 0
	v_dot4_i32_i8 v14, v88, v16, v14
	;; [unrolled: 1-line block ×5, first 2 shown]
	v_fma_mix_f32 v43, v43, v72, 0 op_sel_hi:[0,1,0]
	v_fma_mix_f32 v45, v104, v72, 0 op_sel:[0,1,0] op_sel_hi:[0,1,0]
	v_dot4_i32_i8 v10, v36, v10, v14
	v_dot4_i32_i8 v6, v24, v9, v6
	v_fma_mix_f32 v43, v44, v73, v43 op_sel_hi:[0,1,0]
	v_fma_mix_f32 v44, v53, v73, v45 op_sel:[0,1,0] op_sel_hi:[0,1,0]
	v_dot4_i32_i8 v10, v35, v11, v10
	v_dot4_i32_i8 v2, v18, v2, v6
	v_mov_b32_e32 v45, v1
	v_dot4_i32_i8 v10, v98, v12, v10
	v_dot4_i32_i8 v2, v45, v3, v2
	;; [unrolled: 1-line block ×4, first 2 shown]
	v_mov_b32_e32 v1, v19
	v_dot4_i32_i8 v2, v1, v5, v2
	v_mul_lo_u32 v4, v10, v63
	v_mul_lo_u32 v3, v40, v63
	;; [unrolled: 1-line block ×4, first 2 shown]
	v_cvt_f32_i32_e32 v4, v4
	v_cvt_f32_i32_e32 v3, v3
	;; [unrolled: 1-line block ×4, first 2 shown]
	v_fma_mix_f32 v4, v4, v72, 0 op_sel_hi:[0,1,0]
	v_fma_mix_f32 v5, v64, v72, 0 op_sel:[0,1,0] op_sel_hi:[0,1,0]
	v_fma_mix_f32 v6, v64, v70, 0 op_sel:[0,1,0] op_sel_hi:[0,1,0]
	v_fma_mix_f32 v3, v3, v70, 0 op_sel_hi:[0,1,0]
	v_fma_mix_f32 v2, v2, v73, v4 op_sel_hi:[0,1,0]
	v_fma_mix_f32 v4, v61, v71, v6 op_sel:[0,1,0] op_sel_hi:[0,1,0]
	v_fma_mix_f32 v5, v61, v73, v5 op_sel:[0,1,0] op_sel_hi:[0,1,0]
	buffer_store_dword v63, off, s[20:23], 0 offset:180 ; 4-byte Folded Spill
	buffer_store_dword v64, off, s[20:23], 0 offset:176 ; 4-byte Folded Spill
	;; [unrolled: 1-line block ×3, first 2 shown]
	v_fma_mix_f32 v3, v7, v71, v3 op_sel_hi:[0,1,0]
	buffer_store_dword v61, off, s[20:23], 0 offset:168 ; 4-byte Folded Spill
	v_mul_f32_e32 v5, v5, v65
	v_mul_f32_e32 v4, v4, v66
	v_fma_f32 v3, v3, v22, -v4
	v_fma_f32 v2, v2, v67, -v5
	buffer_load_dword v4, off, s[20:23], 0 offset:76 ; 4-byte Folded Reload
	buffer_load_dword v5, off, s[20:23], 0 offset:80 ; 4-byte Folded Reload
	v_fma_mix_f32 v46, v104, v70, 0 op_sel:[0,1,0] op_sel_hi:[0,1,0]
	v_fma_mix_f32 v42, v53, v71, v46 op_sel:[0,1,0] op_sel_hi:[0,1,0]
	v_mul_f32_e32 v44, v44, v59
	v_mul_f32_e32 v42, v42, v127
	v_fma_f32 v41, v41, v78, -v42
	s_waitcnt vmcnt(6)
	v_fma_f32 v42, v43, v28, -v44
	v_add_f32_e32 v50, v50, v42
	v_add_f32_e32 v49, v49, v41
	v_mov_b32_e32 v66, v0
	v_mov_b32_e32 v63, v45
	;; [unrolled: 1-line block ×6, first 2 shown]
	s_waitcnt vmcnt(1)
	v_add_f32_e32 v4, v4, v3
	s_waitcnt vmcnt(0)
	v_add_f32_e32 v5, v5, v2
	buffer_store_dword v4, off, s[20:23], 0 offset:76 ; 4-byte Folded Spill
	s_nop 0
	buffer_store_dword v5, off, s[20:23], 0 offset:80 ; 4-byte Folded Spill
	buffer_load_dword v2, off, s[20:23], 0 offset:264 ; 4-byte Folded Reload
	s_waitcnt vmcnt(0)
	v_or_b32_e32 v2, s17, v2
	v_lshlrev_b32_e32 v3, 2, v2
	v_lshrrev_b32_e32 v19, 1, v2
	ds_read_b128 v[14:17], v3 offset:16896
	ds_read_b128 v[10:13], v3 offset:16912
	;; [unrolled: 1-line block ×4, first 2 shown]
	ds_read_b64 v[70:71], v19 offset:27200
	s_waitcnt lgkmcnt(4)
	v_dot4_i32_i8 v19, v30, v14, 0
	v_dot4_i32_i8 v19, v31, v15, v19
	v_dot4_i32_i8 v19, v32, v16, v19
	v_dot4_i32_i8 v19, v113, v17, v19
	s_waitcnt lgkmcnt(3)
	v_dot4_i32_i8 v19, v108, v10, v19
	v_dot4_i32_i8 v19, v109, v11, v19
	v_dot4_i32_i8 v19, v110, v12, v19
	v_dot4_i32_i8 v44, v111, v13, v19
	;; [unrolled: 5-line block ×4, first 2 shown]
	v_dot4_i32_i8 v19, v96, v14, 0
	v_dot4_i32_i8 v19, v83, v15, v19
	;; [unrolled: 1-line block ×37, first 2 shown]
	buffer_load_dword v2, off, s[20:23], 0 offset:268 ; 4-byte Folded Reload
	v_dot4_i32_i8 v14, v34, v14, 0
	v_dot4_i32_i8 v14, v94, v15, v14
	;; [unrolled: 1-line block ×10, first 2 shown]
	buffer_store_dword v10, off, s[20:23], 0 offset:64 ; 4-byte Folded Spill
	buffer_store_dword v0, off, s[20:23], 0 offset:56 ; 4-byte Folded Spill
	v_dot4_i32_i8 v19, v38, v5, v19
	v_mul_lo_u32 v25, v44, v21
	v_mul_lo_u32 v27, v41, v122
	;; [unrolled: 1-line block ×3, first 2 shown]
	v_cvt_f32_i32_e32 v25, v25
	v_cvt_f32_i32_e32 v27, v27
	;; [unrolled: 1-line block ×3, first 2 shown]
	s_waitcnt lgkmcnt(0)
	v_fma_mix_f32 v25, v25, v70, 0 op_sel_hi:[0,1,0]
	s_waitcnt vmcnt(2)
	v_or_b32_e32 v2, s17, v2
	v_lshlrev_b32_e32 v3, 2, v2
	v_lshrrev_b32_e32 v45, 1, v2
	ds_read_b128 v[14:17], v3 offset:16896
	ds_read_b128 v[10:13], v3 offset:16912
	;; [unrolled: 1-line block ×4, first 2 shown]
	ds_read_b64 v[72:73], v45 offset:27200
	s_waitcnt lgkmcnt(4)
	v_dot4_i32_i8 v45, v30, v14, 0
	v_dot4_i32_i8 v45, v31, v15, v45
	s_waitcnt lgkmcnt(2)
	v_dot4_i32_i8 v46, v112, v6, 0
	v_dot4_i32_i8 v45, v32, v16, v45
	;; [unrolled: 1-line block ×8, first 2 shown]
	s_waitcnt lgkmcnt(1)
	v_dot4_i32_i8 v24, v105, v2, v46
	v_dot4_i32_i8 v45, v110, v12, v45
	v_dot4_i32_i8 v24, v103, v3, v24
	v_dot4_i32_i8 v45, v111, v13, v45
	v_dot4_i32_i8 v24, v101, v4, v24
	v_dot4_i32_i8 v24, v100, v5, v24
	v_mul_lo_u32 v44, v45, v21
	v_mul_lo_u32 v21, v43, v106
	;; [unrolled: 1-line block ×3, first 2 shown]
	s_waitcnt lgkmcnt(0)
	v_fma_mix_f32 v45, v33, v72, 0 op_sel:[0,1,0] op_sel_hi:[0,1,0]
	v_cvt_f32_i32_e32 v44, v44
	v_cvt_f32_i32_e32 v21, v21
	;; [unrolled: 1-line block ×3, first 2 shown]
	v_fma_mix_f32 v46, v33, v70, 0 op_sel:[0,1,0] op_sel_hi:[0,1,0]
	v_fma_mix_f32 v44, v44, v72, 0 op_sel_hi:[0,1,0]
	v_fma_mix_f32 v21, v21, v71, v25 op_sel_hi:[0,1,0]
	v_fma_mix_f32 v25, v114, v71, v46 op_sel:[0,1,0] op_sel_hi:[0,1,0]
	v_fma_mix_f32 v43, v114, v73, v45 op_sel:[0,1,0] op_sel_hi:[0,1,0]
	v_fma_mix_f32 v24, v24, v73, v44 op_sel_hi:[0,1,0]
	v_mul_f32_e32 v43, v43, v57
	v_mul_f32_e32 v25, v25, v56
	v_fma_f32 v21, v21, v37, -v25
	v_fma_f32 v24, v24, v26, -v43
	buffer_load_dword v43, off, s[20:23], 0 offset:24 ; 4-byte Folded Reload
	buffer_load_dword v44, off, s[20:23], 0 offset:28 ; 4-byte Folded Reload
	;; [unrolled: 1-line block ×3, first 2 shown]
	v_fma_mix_f32 v25, v97, v72, 0 op_sel:[0,1,0] op_sel_hi:[0,1,0]
	v_fma_mix_f32 v26, v97, v70, 0 op_sel:[0,1,0] op_sel_hi:[0,1,0]
	;; [unrolled: 1-line block ×3, first 2 shown]
	v_mul_f32_e32 v25, v25, v60
	v_dot4_i32_i8 v1, v68, v14, 0
	v_dot4_i32_i8 v1, v79, v15, v1
	;; [unrolled: 1-line block ×16, first 2 shown]
	v_mul_lo_u32 v0, v0, v75
	v_mul_lo_u32 v1, v1, v51
	v_cvt_f32_i32_e32 v0, v0
	v_cvt_f32_i32_e32 v1, v1
	v_fma_mix_f32 v0, v0, v72, 0 op_sel_hi:[0,1,0]
	v_fma_mix_f32 v0, v1, v73, v0 op_sel_hi:[0,1,0]
	s_waitcnt vmcnt(2)
	v_add_f32_e32 v43, v43, v21
	v_dot4_i32_i8 v21, v96, v14, 0
	v_dot4_i32_i8 v21, v83, v15, v21
	;; [unrolled: 1-line block ×15, first 2 shown]
	s_waitcnt vmcnt(1)
	v_add_f32_e32 v44, v44, v24
	v_dot4_i32_i8 v21, v126, v5, v21
	v_mul_lo_u32 v24, v42, v81
	v_mul_lo_u32 v20, v20, v81
	;; [unrolled: 1-line block ×3, first 2 shown]
	buffer_load_dword v125, off, s[20:23], 0 offset:152 ; 4-byte Folded Reload
	buffer_load_dword v126, off, s[20:23], 0 offset:156 ; 4-byte Folded Reload
	v_cvt_f32_i32_e32 v20, v20
	v_cvt_f32_i32_e32 v24, v24
	v_cvt_f32_i32_e32 v21, v21
	v_fma_mix_f32 v20, v20, v72, 0 op_sel_hi:[0,1,0]
	v_fma_mix_f32 v24, v24, v70, 0 op_sel_hi:[0,1,0]
	;; [unrolled: 1-line block ×4, first 2 shown]
	v_fma_mix_f32 v24, v118, v71, v26 op_sel:[0,1,0] op_sel_hi:[0,1,0]
	v_mul_f32_e32 v24, v24, v69
	v_fma_f32 v21, v21, v95, -v24
	v_fma_f32 v20, v20, v23, -v25
	buffer_load_dword v24, off, s[20:23], 0 offset:32 ; 4-byte Folded Reload
	buffer_load_dword v25, off, s[20:23], 0 offset:36 ; 4-byte Folded Reload
	v_fma_mix_f32 v23, v104, v70, 0 op_sel:[0,1,0] op_sel_hi:[0,1,0]
	s_waitcnt vmcnt(1)
	v_add_f32_e32 v24, v24, v21
	s_waitcnt vmcnt(0)
	v_add_f32_e32 v25, v25, v20
	v_mul_lo_u32 v20, v40, v75
	v_fma_mix_f32 v21, v104, v72, 0 op_sel:[0,1,0] op_sel_hi:[0,1,0]
	v_cvt_f32_i32_e32 v20, v20
	v_fma_mix_f32 v20, v20, v70, 0 op_sel_hi:[0,1,0]
	v_fma_mix_f32 v1, v19, v71, v20 op_sel_hi:[0,1,0]
	v_fma_mix_f32 v20, v53, v73, v21 op_sel:[0,1,0] op_sel_hi:[0,1,0]
	v_mul_f32_e32 v20, v20, v59
	v_fma_f32 v0, v0, v28, -v20
	buffer_load_dword v20, off, s[20:23], 0 offset:40 ; 4-byte Folded Reload
	buffer_load_dword v21, off, s[20:23], 0 offset:44 ; 4-byte Folded Reload
	v_fma_mix_f32 v19, v53, v71, v23 op_sel:[0,1,0] op_sel_hi:[0,1,0]
	v_mul_f32_e32 v19, v19, v127
	v_fma_f32 v1, v1, v78, -v19
	buffer_load_dword v127, off, s[20:23], 0 offset:144 ; 4-byte Folded Reload
	buffer_load_dword v31, off, s[20:23], 0 offset:48 ; 4-byte Folded Reload
	;; [unrolled: 1-line block ×3, first 2 shown]
	s_waitcnt vmcnt(4)
	v_add_f32_e32 v20, v20, v1
	v_dot4_i32_i8 v1, v61, v6, 0
	v_dot4_i32_i8 v1, v29, v7, v1
	;; [unrolled: 1-line block ×7, first 2 shown]
	buffer_load_dword v2, off, s[20:23], 0 offset:64 ; 4-byte Folded Reload
	buffer_load_dword v3, off, s[20:23], 0 offset:180 ; 4-byte Folded Reload
	v_dot4_i32_i8 v1, v64, v5, v1
	buffer_load_dword v6, off, s[20:23], 0 offset:172 ; 4-byte Folded Reload
	buffer_load_dword v5, off, s[20:23], 0 offset:56 ; 4-byte Folded Reload
	s_waitcnt vmcnt(7)
	v_add_f32_e32 v21, v21, v0
	v_dot4_i32_i8 v0, v34, v14, 0
	v_dot4_i32_i8 v0, v94, v15, v0
	;; [unrolled: 1-line block ×8, first 2 shown]
	buffer_load_dword v4, off, s[20:23], 0 offset:176 ; 4-byte Folded Reload
	s_waitcnt vmcnt(3)
	v_mul_lo_u32 v2, v2, v3
	v_mul_lo_u32 v0, v0, v3
	s_waitcnt vmcnt(2)
	v_mul_lo_u32 v1, v1, v6
	s_waitcnt vmcnt(1)
	v_mul_lo_u32 v5, v5, v6
	v_cvt_f32_i32_e32 v2, v2
	v_cvt_f32_i32_e32 v0, v0
	;; [unrolled: 1-line block ×4, first 2 shown]
	v_fma_mix_f32 v2, v2, v70, 0 op_sel_hi:[0,1,0]
	v_fma_mix_f32 v0, v0, v72, 0 op_sel_hi:[0,1,0]
	;; [unrolled: 1-line block ×4, first 2 shown]
	buffer_load_dword v5, off, s[20:23], 0 offset:168 ; 4-byte Folded Reload
	s_waitcnt vmcnt(1)
	v_fma_mix_f32 v3, v4, v72, 0 op_sel:[0,1,0] op_sel_hi:[0,1,0]
	v_fma_mix_f32 v4, v4, v70, 0 op_sel:[0,1,0] op_sel_hi:[0,1,0]
	s_waitcnt vmcnt(0)
	v_fma_mix_f32 v3, v5, v73, v3 op_sel:[0,1,0] op_sel_hi:[0,1,0]
	v_fma_mix_f32 v2, v5, v71, v4 op_sel:[0,1,0] op_sel_hi:[0,1,0]
	v_mul_f32_e32 v3, v3, v65
	buffer_load_dword v65, off, s[20:23], 0 offset:160 ; 4-byte Folded Reload
	buffer_load_dword v66, off, s[20:23], 0 offset:164 ; 4-byte Folded Reload
	;; [unrolled: 1-line block ×3, first 2 shown]
	v_fma_f32 v0, v0, v67, -v3
	v_add_f32_e32 v32, v32, v0
	s_waitcnt vmcnt(0)
	v_mul_f32_e32 v2, v2, v4
	buffer_load_dword v4, off, s[20:23], 0 offset:124 ; 4-byte Folded Reload
	s_waitcnt vmcnt(0)
	v_fma_f32 v1, v1, v4, -v2
	v_add_f32_e32 v31, v31, v1
	s_cbranch_vccnz .LBB152_6
; %bb.7:                                ;   in Loop: Header=BB152_5 Depth=1
	s_barrier
	buffer_load_dword v0, off, s[20:23], 0 offset:636 ; 4-byte Folded Reload
	s_waitcnt vmcnt(0)
	v_add_u32_e32 v2, s16, v0
	buffer_load_dword v0, off, s[20:23], 0 offset:300 ; 4-byte Folded Reload
	buffer_load_dword v3, off, s[20:23], 0 offset:352 ; 4-byte Folded Reload
	;; [unrolled: 1-line block ×3, first 2 shown]
	s_mov_b32 s16, 0
	s_waitcnt vmcnt(2)
	v_add_u32_e32 v0, v2, v0
	s_waitcnt vmcnt(0)
	v_mad_i64_i32 v[0:1], s[0:1], v0, 36, v[3:4]
	global_load_dword v0, v[0:1], off offset:4
	s_nop 0
	buffer_load_dword v1, off, s[20:23], 0 offset:392 ; 4-byte Folded Reload
	s_waitcnt vmcnt(0)
	ds_write_b32 v1, v0
	buffer_load_dword v0, off, s[20:23], 0 offset:308 ; 4-byte Folded Reload
	s_waitcnt vmcnt(0)
	v_add_u32_e32 v0, v2, v0
	v_mad_i64_i32 v[0:1], s[0:1], v0, 36, v[3:4]
	global_load_dword v0, v[0:1], off offset:4
	s_nop 0
	buffer_load_dword v1, off, s[20:23], 0 offset:360 ; 4-byte Folded Reload
	s_waitcnt vmcnt(0)
	ds_write_b32 v1, v0
	buffer_load_dword v0, off, s[20:23], 0 offset:312 ; 4-byte Folded Reload
	s_waitcnt vmcnt(0)
	v_add_u32_e32 v0, v2, v0
	;; [unrolled: 9-line block ×8, first 2 shown]
	v_mad_u64_u32 v[0:1], s[0:1], v0, 36, s[2:3]
	s_mov_b32 s0, 16
	s_mov_b32 s1, 0
	global_load_dword v0, v[0:1], off
	s_nop 0
	buffer_load_dword v1, off, s[20:23], 0 offset:296 ; 4-byte Folded Reload
	s_waitcnt vmcnt(0)
	ds_write_b32 v1, v0
	s_waitcnt lgkmcnt(0)
	s_barrier
	buffer_load_dword v0, off, s[20:23], 0 offset:336 ; 4-byte Folded Reload
	s_waitcnt vmcnt(0)
	ds_read_b32 v0, v0
	s_waitcnt lgkmcnt(0)
	v_cvt_f32_f16_e32 v60, v0
	v_cvt_f32_f16_sdwa v61, v0 dst_sel:DWORD dst_unused:UNUSED_PAD src0_sel:WORD_1
	buffer_load_dword v0, off, s[20:23], 0 offset:340 ; 4-byte Folded Reload
	s_waitcnt vmcnt(0)
	ds_read_b32 v0, v0 offset:128
	s_waitcnt lgkmcnt(0)
	v_cvt_f32_f16_e32 v1, v0
	v_cvt_f32_f16_sdwa v2, v0 dst_sel:DWORD dst_unused:UNUSED_PAD src0_sel:WORD_1
	buffer_load_dword v0, off, s[20:23], 0 offset:344 ; 4-byte Folded Reload
	s_waitcnt vmcnt(0)
	ds_read_b32 v0, v0 offset:256
	;; [unrolled: 6-line block ×3, first 2 shown]
	s_waitcnt lgkmcnt(0)
	v_cvt_f32_f16_e32 v5, v0
	v_cvt_f32_f16_sdwa v0, v0 dst_sel:DWORD dst_unused:UNUSED_PAD src0_sel:WORD_1
	buffer_store_dword v60, off, s[20:23], 0 offset:172 ; 4-byte Folded Spill
	buffer_store_dword v61, off, s[20:23], 0 offset:176 ; 4-byte Folded Spill
	;; [unrolled: 1-line block ×14, first 2 shown]
	buffer_load_dword v0, off, s[20:23], 0 offset:304 ; 4-byte Folded Reload
	s_nop 0
	buffer_load_dword v70, off, s[20:23], 0 offset:644 ; 4-byte Folded Reload
	buffer_load_dword v71, off, s[20:23], 0 offset:640 ; 4-byte Folded Reload
	buffer_load_dword v52, off, s[20:23], 0 offset:76 ; 4-byte Folded Reload
	buffer_load_dword v53, off, s[20:23], 0 offset:80 ; 4-byte Folded Reload
	buffer_load_dword v54, off, s[20:23], 0 offset:84 ; 4-byte Folded Reload
	buffer_load_dword v55, off, s[20:23], 0 offset:88 ; 4-byte Folded Reload
	buffer_load_dword v56, off, s[20:23], 0 offset:92 ; 4-byte Folded Reload
	buffer_load_dword v57, off, s[20:23], 0 offset:96 ; 4-byte Folded Reload
	buffer_load_dword v58, off, s[20:23], 0 offset:100 ; 4-byte Folded Reload
	buffer_load_dword v59, off, s[20:23], 0 offset:104 ; 4-byte Folded Reload
	buffer_load_dword v62, off, s[20:23], 0 offset:108 ; 4-byte Folded Reload
	buffer_load_dword v63, off, s[20:23], 0 offset:112 ; 4-byte Folded Reload
	buffer_load_dword v67, off, s[20:23], 0 offset:116 ; 4-byte Folded Reload
	buffer_load_dword v68, off, s[20:23], 0 offset:120 ; 4-byte Folded Reload
	s_waitcnt vmcnt(14)
	v_add_u32_e32 v36, 0x4200, v0
.LBB152_8:                              ;   Parent Loop BB152_5 Depth=1
                                        ; =>  This Inner Loop Header: Depth=2
	buffer_store_dword v49, off, s[20:23], 0 offset:64 ; 4-byte Folded Spill
	s_nop 0
	buffer_store_dword v50, off, s[20:23], 0 offset:68 ; 4-byte Folded Spill
	buffer_store_dword v47, off, s[20:23], 0 offset:56 ; 4-byte Folded Spill
	s_nop 0
	buffer_store_dword v48, off, s[20:23], 0 offset:60 ; 4-byte Folded Spill
	;; [unrolled: 3-line block ×6, first 2 shown]
	ds_read_b128 v[2:5], v36
	s_waitcnt vmcnt(24)
	ds_read2_b32 v[8:9], v71 offset1:1
	ds_read2_b32 v[6:7], v71 offset0:2 offset1:3
	v_add_u32_e32 v0, 0x1080, v71
	v_add_u32_e32 v1, 0x1088, v71
	;; [unrolled: 1-line block ×6, first 2 shown]
	ds_read_b128 v[18:21], v36 offset:1024
	ds_read_b128 v[22:25], v36 offset:2048
	;; [unrolled: 1-line block ×5, first 2 shown]
	ds_read2_b32 v[26:27], v0 offset1:1
	ds_read2_b32 v[45:46], v1 offset1:1
	;; [unrolled: 1-line block ×6, first 2 shown]
	s_waitcnt lgkmcnt(12)
	v_and_b32_e32 v28, 0xf0f0f0f, v8
	s_waitcnt lgkmcnt(5)
	v_and_b32_e32 v32, 0xf0f0f0f, v26
	;; [unrolled: 2-line block ×4, first 2 shown]
	v_and_b32_e32 v29, 0xf0f0f0f, v9
	v_dot4_i32_i8 v0, v28, v2, 0
	v_and_b32_e32 v84, 0xf0f0f0f, v77
	v_and_b32_e32 v91, 0xf0f0f0f, v81
	v_dot4_i32_i8 v88, v32, v2, 0
	v_dot4_i32_i8 v89, v49, v2, 0
	;; [unrolled: 1-line block ×3, first 2 shown]
	v_and_b32_e32 v30, 0xf0f0f0f, v6
	v_and_b32_e32 v33, 0xf0f0f0f, v27
	;; [unrolled: 1-line block ×3, first 2 shown]
	s_waitcnt lgkmcnt(0)
	v_and_b32_e32 v92, 0xf0f0f0f, v82
	v_dot4_i32_i8 v0, v29, v3, v0
	v_dot4_i32_i8 v89, v84, v3, v89
	;; [unrolled: 1-line block ×3, first 2 shown]
	v_and_b32_e32 v31, 0xf0f0f0f, v7
	v_and_b32_e32 v47, 0xf0f0f0f, v45
	;; [unrolled: 1-line block ×4, first 2 shown]
	v_dot4_i32_i8 v1, v28, v18, 0
	v_dot4_i32_i8 v0, v30, v4, v0
	;; [unrolled: 1-line block ×13, first 2 shown]
	v_and_b32_e32 v48, 0xf0f0f0f, v46
	v_dot4_i32_i8 v1, v30, v20, v1
	v_dot4_i32_i8 v2, v33, v19, v2
	;; [unrolled: 1-line block ×75, first 2 shown]
	ds_read_b128 v[2:5], v36 offset:6144
	ds_read_b128 v[20:23], v36 offset:7168
	v_lshrrev_b32_e32 v37, 4, v8
	v_lshrrev_b32_e32 v39, 4, v6
	;; [unrolled: 1-line block ×3, first 2 shown]
	s_waitcnt lgkmcnt(1)
	v_dot4_i32_i8 v8, v32, v2, 0
	v_dot4_i32_i8 v6, v28, v2, 0
	s_waitcnt lgkmcnt(0)
	v_dot4_i32_i8 v7, v28, v20, 0
	v_dot4_i32_i8 v24, v33, v3, v8
	;; [unrolled: 1-line block ×4, first 2 shown]
	v_lshrrev_b32_e32 v38, 4, v9
	v_lshrrev_b32_e32 v41, 4, v26
	v_dot4_i32_i8 v6, v29, v3, v6
	v_dot4_i32_i8 v7, v29, v21, v7
	;; [unrolled: 1-line block ×20, first 2 shown]
	ds_read_b128 v[2:5], v36 offset:32
	v_lshrrev_b32_e32 v42, 4, v27
	v_dot4_i32_i8 v21, v85, v22, v25
	ds_read_b128 v[24:27], v36 offset:1056
	v_lshrrev_b32_e32 v43, 4, v45
	v_lshrrev_b32_e32 v45, 4, v76
	;; [unrolled: 1-line block ×3, first 2 shown]
	v_dot4_i32_i8 v20, v92, v22, v20
	v_and_b32_e32 v28, 0xf0f0f0f, v37
	v_dot4_i32_i8 v1, v48, v75, v1
	v_lshrrev_b32_e32 v44, 4, v46
	v_lshrrev_b32_e32 v46, 4, v77
	;; [unrolled: 1-line block ×3, first 2 shown]
	v_dot4_i32_i8 v9, v47, v22, v9
	v_and_b32_e32 v29, 0xf0f0f0f, v38
	v_dot4_i32_i8 v108, v93, v23, v20
	s_waitcnt lgkmcnt(1)
	v_dot4_i32_i8 v20, v28, v2, 0
	v_and_b32_e32 v32, 0xf0f0f0f, v41
	v_and_b32_e32 v45, 0xf0f0f0f, v45
	;; [unrolled: 1-line block ×3, first 2 shown]
	v_lshrrev_b32_e32 v72, 4, v78
	v_lshrrev_b32_e32 v76, 4, v82
	v_dot4_i32_i8 v9, v48, v23, v9
	v_dot4_i32_i8 v107, v86, v23, v21
	v_and_b32_e32 v30, 0xf0f0f0f, v39
	v_and_b32_e32 v33, 0xf0f0f0f, v42
	;; [unrolled: 1-line block ×4, first 2 shown]
	v_dot4_i32_i8 v20, v29, v3, v20
	v_dot4_i32_i8 v22, v32, v2, 0
	;; [unrolled: 1-line block ×4, first 2 shown]
	v_lshrrev_b32_e32 v73, 4, v79
	v_lshrrev_b32_e32 v77, 4, v83
	v_and_b32_e32 v31, 0xf0f0f0f, v40
	v_and_b32_e32 v47, 0xf0f0f0f, v43
	;; [unrolled: 1-line block ×4, first 2 shown]
	s_waitcnt lgkmcnt(0)
	v_dot4_i32_i8 v21, v28, v24, 0
	v_dot4_i32_i8 v20, v30, v4, v20
	;; [unrolled: 1-line block ×5, first 2 shown]
	v_and_b32_e32 v44, 0xf0f0f0f, v44
	v_and_b32_e32 v49, 0xf0f0f0f, v73
	;; [unrolled: 1-line block ×3, first 2 shown]
	v_dot4_i32_i8 v21, v29, v25, v21
	v_dot4_i32_i8 v87, v31, v5, v20
	;; [unrolled: 1-line block ×13, first 2 shown]
	ds_read_b128 v[20:23], v36 offset:2080
	ds_read2_b32 v[125:126], v71 offset0:6 offset1:7
	v_dot4_i32_i8 v2, v32, v24, 0
	v_dot4_i32_i8 v3, v45, v24, 0
	;; [unrolled: 1-line block ×9, first 2 shown]
	s_waitcnt lgkmcnt(1)
	v_dot4_i32_i8 v2, v28, v20, 0
	v_dot4_i32_i8 v5, v45, v20, 0
	v_dot4_i32_i8 v2, v29, v21, v2
	v_dot4_i32_i8 v3, v32, v20, 0
	v_dot4_i32_i8 v24, v46, v21, v5
	v_dot4_i32_i8 v5, v84, v20, 0
	v_dot4_i32_i8 v2, v30, v22, v2
	v_dot4_i32_i8 v3, v33, v21, v3
	v_dot4_i32_i8 v20, v85, v21, v5
	v_dot4_i32_i8 v5, v31, v23, v2
	v_dot4_i32_i8 v2, v47, v22, v3
	v_dot4_i32_i8 v3, v48, v22, v24
	v_dot4_i32_i8 v20, v86, v22, v20
	v_dot4_i32_i8 v37, v44, v23, v2
	v_dot4_i32_i8 v38, v49, v23, v3
	v_dot4_i32_i8 v39, v115, v23, v20
	ds_read_b128 v[20:23], v36 offset:3104
	s_waitcnt lgkmcnt(1)
	v_and_b32_e32 v34, 0xf0f0f0f, v125
	v_and_b32_e32 v13, 0xf0f0f0f, v126
	s_lshr_b32 s17, s0, 2
	s_and_b32 s17, s17, 0x3ffffffc
	s_waitcnt lgkmcnt(0)
	v_dot4_i32_i8 v2, v28, v20, 0
	v_dot4_i32_i8 v2, v29, v21, v2
	;; [unrolled: 1-line block ×16, first 2 shown]
	ds_read_b128 v[21:24], v36 offset:4128
	s_add_i32 s0, s0, 8
	s_add_i32 s18, s16, 16
	s_waitcnt lgkmcnt(0)
	v_dot4_i32_i8 v2, v28, v21, 0
	v_dot4_i32_i8 v2, v29, v22, v2
	;; [unrolled: 1-line block ×12, first 2 shown]
	ds_read_b128 v[40:43], v36 offset:5152
	v_dot4_i32_i8 v22, v86, v23, v22
	v_dot4_i32_i8 v75, v44, v24, v2
	;; [unrolled: 1-line block ×4, first 2 shown]
	s_waitcnt lgkmcnt(0)
	v_dot4_i32_i8 v2, v28, v40, 0
	v_dot4_i32_i8 v22, v45, v40, 0
	;; [unrolled: 1-line block ×16, first 2 shown]
	ds_read_b128 v[40:43], v36 offset:6176
	s_waitcnt lgkmcnt(0)
	v_dot4_i32_i8 v2, v28, v40, 0
	v_dot4_i32_i8 v23, v45, v40, 0
	v_dot4_i32_i8 v2, v29, v41, v2
	v_dot4_i32_i8 v3, v32, v40, 0
	v_dot4_i32_i8 v24, v46, v41, v23
	v_dot4_i32_i8 v23, v84, v40, 0
	v_dot4_i32_i8 v2, v30, v42, v2
	v_dot4_i32_i8 v3, v33, v41, v3
	v_dot4_i32_i8 v40, v85, v41, v23
	v_dot4_i32_i8 v23, v31, v43, v2
	v_dot4_i32_i8 v2, v47, v42, v3
	v_dot4_i32_i8 v3, v48, v42, v24
	v_dot4_i32_i8 v24, v86, v42, v40
	v_dot4_i32_i8 v81, v44, v43, v2
	v_dot4_i32_i8 v82, v49, v43, v3
	v_dot4_i32_i8 v83, v115, v43, v24
	ds_read_b128 v[40:43], v36 offset:7200
	s_waitcnt lgkmcnt(0)
	v_dot4_i32_i8 v2, v28, v40, 0
	v_dot4_i32_i8 v2, v29, v41, v2
	;; [unrolled: 1-line block ×15, first 2 shown]
	ds_read2_b32 v[2:3], v71 offset0:4 offset1:5
	v_dot4_i32_i8 v86, v115, v43, v28
	ds_read_b128 v[40:43], v36 offset:16
	v_add_u32_e32 v29, 0x1090, v71
	ds_read2_b32 v[46:47], v29 offset1:1
	v_add_u32_e32 v30, 0x2110, v71
	s_waitcnt lgkmcnt(2)
	v_and_b32_e32 v115, 0xf0f0f0f, v2
	ds_read2_b32 v[121:122], v30 offset1:1
	v_add_u32_e32 v31, 0x3190, v71
	s_waitcnt lgkmcnt(2)
	v_dot4_i32_i8 v28, v115, v40, v114
	v_and_b32_e32 v48, 0xf0f0f0f, v3
	ds_read2_b32 v[123:124], v31 offset1:1
	v_dot4_i32_i8 v28, v48, v41, v28
	s_waitcnt lgkmcnt(2)
	v_and_b32_e32 v49, 0xf0f0f0f, v46
	v_dot4_i32_i8 v28, v34, v42, v28
	v_dot4_i32_i8 v29, v49, v40, v113
	v_and_b32_e32 v35, 0xf0f0f0f, v47
	v_dot4_i32_i8 v114, v13, v43, v28
	v_add_u32_e32 v28, 0x1098, v71
	v_dot4_i32_i8 v32, v35, v41, v29
	ds_read2_b32 v[28:29], v28 offset1:1
	s_waitcnt lgkmcnt(2)
	v_and_b32_e32 v127, 0xf0f0f0f, v121
	v_dot4_i32_i8 v30, v127, v40, v112
	s_waitcnt lgkmcnt(1)
	v_and_b32_e32 v10, 0xf0f0f0f, v123
	v_and_b32_e32 v11, 0xf0f0f0f, v122
	v_dot4_i32_i8 v31, v10, v40, v111
	v_dot4_i32_i8 v33, v11, v41, v30
	v_and_b32_e32 v12, 0xf0f0f0f, v124
	v_add_u32_e32 v30, 0x2118, v71
	v_dot4_i32_i8 v40, v12, v41, v31
	ds_read2_b32 v[30:31], v30 offset1:1
	s_waitcnt lgkmcnt(1)
	v_and_b32_e32 v14, 0xf0f0f0f, v28
	v_dot4_i32_i8 v41, v14, v42, v32
	v_add_u32_e32 v32, 0x3198, v71
	v_and_b32_e32 v17, 0xf0f0f0f, v29
	s_waitcnt lgkmcnt(0)
	v_and_b32_e32 v15, 0xf0f0f0f, v30
	v_dot4_i32_i8 v44, v15, v42, v33
	ds_read2_b32 v[32:33], v32 offset1:1
	v_and_b32_e32 v0, 0xf0f0f0f, v31
	v_dot4_i32_i8 v113, v17, v43, v41
	v_dot4_i32_i8 v116, v0, v43, v44
	v_add_u32_e32 v71, 32, v71
	s_waitcnt lgkmcnt(0)
	v_and_b32_e32 v16, 0xf0f0f0f, v32
	v_dot4_i32_i8 v40, v16, v42, v40
	v_and_b32_e32 v50, 0xf0f0f0f, v33
	v_dot4_i32_i8 v117, v50, v43, v40
	ds_read_b128 v[40:43], v36 offset:1040
	s_waitcnt lgkmcnt(0)
	v_dot4_i32_i8 v44, v115, v40, v94
	v_dot4_i32_i8 v44, v48, v41, v44
	v_dot4_i32_i8 v45, v49, v40, v104
	v_dot4_i32_i8 v51, v127, v40, v105
	v_dot4_i32_i8 v40, v10, v40, v106
	v_dot4_i32_i8 v44, v34, v42, v44
	v_dot4_i32_i8 v45, v35, v41, v45
	v_dot4_i32_i8 v51, v11, v41, v51
	v_dot4_i32_i8 v40, v12, v41, v40
	v_dot4_i32_i8 v41, v13, v43, v44
	v_dot4_i32_i8 v44, v14, v42, v45
	v_dot4_i32_i8 v45, v15, v42, v51
	v_dot4_i32_i8 v40, v16, v42, v40
	v_dot4_i32_i8 v120, v17, v43, v44
	v_dot4_i32_i8 v119, v0, v43, v45
	v_dot4_i32_i8 v118, v50, v43, v40
	ds_read_b128 v[42:45], v36 offset:2064
	s_waitcnt lgkmcnt(0)
	v_dot4_i32_i8 v40, v115, v42, v90
	v_dot4_i32_i8 v40, v48, v43, v40
	v_dot4_i32_i8 v51, v49, v42, v101
	v_dot4_i32_i8 v90, v127, v42, v102
	v_dot4_i32_i8 v42, v10, v42, v103
	v_dot4_i32_i8 v40, v34, v44, v40
	v_dot4_i32_i8 v51, v35, v43, v51
	v_dot4_i32_i8 v90, v11, v43, v90
	v_dot4_i32_i8 v42, v12, v43, v42
	v_dot4_i32_i8 v105, v13, v45, v40
	v_dot4_i32_i8 v40, v14, v44, v51
	v_dot4_i32_i8 v43, v15, v44, v90
	v_dot4_i32_i8 v42, v16, v44, v42
	v_dot4_i32_i8 v103, v17, v45, v40
	v_dot4_i32_i8 v102, v0, v45, v43
	;; [unrolled: 18-line block ×4, first 2 shown]
	v_dot4_i32_i8 v88, v50, v45, v42
	ds_read_b128 v[42:45], v36 offset:5136
	buffer_load_dword v51, off, s[20:23], 0 offset:140 ; 4-byte Folded Reload
	s_waitcnt lgkmcnt(0)
	v_dot4_i32_i8 v40, v115, v42, v64
	v_dot4_i32_i8 v1, v49, v42, v1
	;; [unrolled: 1-line block ×16, first 2 shown]
	ds_read_b128 v[42:45], v36 offset:6160
	s_waitcnt lgkmcnt(0)
	v_dot4_i32_i8 v1, v115, v42, v6
	v_dot4_i32_i8 v1, v48, v43, v1
	;; [unrolled: 1-line block ×16, first 2 shown]
	ds_read_b128 v[42:45], v36 offset:7184
	s_waitcnt lgkmcnt(0)
	v_dot4_i32_i8 v8, v115, v42, v8
	v_dot4_i32_i8 v8, v48, v43, v8
	;; [unrolled: 1-line block ×16, first 2 shown]
	v_lshrrev_b32_e32 v11, 4, v46
	ds_read_b128 v[43:46], v36 offset:48
	ds_read_b128 v[107:110], v36 offset:1072
	v_lshrrev_b32_e32 v0, 4, v2
	v_lshrrev_b32_e32 v2, 4, v3
	v_and_b32_e32 v0, 0xf0f0f0f, v0
	v_lshrrev_b32_e32 v3, 4, v125
	v_lshrrev_b32_e32 v12, 4, v47
	;; [unrolled: 1-line block ×9, first 2 shown]
	v_and_b32_e32 v33, 0xf0f0f0f, v2
	v_and_b32_e32 v11, 0xf0f0f0f, v11
	s_waitcnt lgkmcnt(1)
	v_dot4_i32_i8 v2, v0, v43, v87
	v_lshrrev_b32_e32 v10, 4, v126
	v_lshrrev_b32_e32 v16, 4, v122
	;; [unrolled: 1-line block ×4, first 2 shown]
	v_and_b32_e32 v3, 0xf0f0f0f, v3
	v_and_b32_e32 v12, 0xf0f0f0f, v12
	;; [unrolled: 1-line block ×4, first 2 shown]
	v_dot4_i32_i8 v2, v33, v44, v2
	v_dot4_i32_i8 v34, v11, v43, v91
	v_and_b32_e32 v10, 0xf0f0f0f, v10
	v_and_b32_e32 v13, 0xf0f0f0f, v13
	;; [unrolled: 1-line block ×4, first 2 shown]
	v_dot4_i32_i8 v35, v15, v43, v92
	v_dot4_i32_i8 v40, v29, v43, v93
	;; [unrolled: 1-line block ×4, first 2 shown]
	v_and_b32_e32 v14, 0xf0f0f0f, v14
	v_dot4_i32_i8 v35, v16, v44, v35
	v_dot4_i32_i8 v40, v30, v44, v40
	;; [unrolled: 1-line block ×5, first 2 shown]
	s_waitcnt lgkmcnt(0)
	v_dot4_i32_i8 v2, v0, v107, v4
	v_dot4_i32_i8 v4, v11, v107, v25
	;; [unrolled: 1-line block ×4, first 2 shown]
	v_and_b32_e32 v17, 0xf0f0f0f, v17
	v_and_b32_e32 v31, 0xf0f0f0f, v31
	v_dot4_i32_i8 v2, v33, v108, v2
	v_dot4_i32_i8 v4, v12, v108, v4
	v_dot4_i32_i8 v25, v16, v108, v25
	v_dot4_i32_i8 v26, v30, v108, v26
	v_and_b32_e32 v28, 0xf0f0f0f, v28
	v_and_b32_e32 v32, 0xf0f0f0f, v32
	v_dot4_i32_i8 v2, v3, v109, v2
	v_dot4_i32_i8 v4, v13, v109, v4
	;; [unrolled: 1-line block ×8, first 2 shown]
	ds_read_b128 v[107:110], v36 offset:2096
	ds_read_b128 v[123:126], v36 offset:4144
	buffer_load_dword v127, off, s[20:23], 0 offset:144 ; 4-byte Folded Reload
	v_dot4_i32_i8 v34, v17, v45, v35
	v_dot4_i32_i8 v115, v28, v46, v34
	s_waitcnt lgkmcnt(1)
	v_dot4_i32_i8 v4, v0, v107, v5
	v_dot4_i32_i8 v4, v33, v108, v4
	;; [unrolled: 1-line block ×16, first 2 shown]
	ds_read_b128 v[107:110], v36 offset:3120
	v_dot4_i32_i8 v35, v31, v45, v40
	v_dot4_i32_i8 v40, v32, v46, v35
	s_waitcnt lgkmcnt(0)
	v_dot4_i32_i8 v4, v0, v107, v20
	v_dot4_i32_i8 v4, v33, v108, v4
	;; [unrolled: 1-line block ×32, first 2 shown]
	ds_read_b128 v[123:126], v36 offset:5168
	s_waitcnt lgkmcnt(0)
	v_dot4_i32_i8 v4, v0, v123, v22
	v_dot4_i32_i8 v4, v33, v124, v4
	;; [unrolled: 1-line block ×16, first 2 shown]
	buffer_load_dword v126, off, s[20:23], 0 offset:156 ; 4-byte Folded Reload
	buffer_load_dword v125, off, s[20:23], 0 offset:152 ; 4-byte Folded Reload
	ds_read_b128 v[77:80], v36 offset:6192
	s_waitcnt lgkmcnt(0)
	v_dot4_i32_i8 v4, v0, v77, v23
	v_dot4_i32_i8 v4, v33, v78, v4
	;; [unrolled: 1-line block ×16, first 2 shown]
	ds_read_b128 v[77:80], v36 offset:7216
	v_add_u32_e32 v36, 64, v36
	s_waitcnt lgkmcnt(0)
	v_dot4_i32_i8 v0, v0, v77, v24
	v_dot4_i32_i8 v0, v33, v78, v0
	v_dot4_i32_i8 v4, v11, v77, v84
	v_dot4_i32_i8 v0, v3, v79, v0
	v_dot4_i32_i8 v3, v12, v78, v4
	v_dot4_i32_i8 v27, v10, v80, v0
	v_dot4_i32_i8 v0, v13, v79, v3
	v_dot4_i32_i8 v26, v14, v80, v0
	s_waitcnt vmcnt(3)
	v_lshlrev_b32_e32 v0, 4, v51
	buffer_load_dword v51, off, s[20:23], 0 offset:148 ; 4-byte Folded Reload
	v_dot4_i32_i8 v5, v15, v77, v85
	v_dot4_i32_i8 v4, v16, v78, v5
	v_add_u32_e32 v0, s1, v0
	v_dot4_i32_i8 v3, v17, v79, v4
	v_dot4_i32_i8 v25, v28, v80, v3
	;; [unrolled: 1-line block ×6, first 2 shown]
	s_add_i32 s1, s1, 2
	s_waitcnt vmcnt(2)
	v_add3_u32 v10, v126, s17, v0
	ds_read_u16 v3, v10 offset:25088
	s_waitcnt lgkmcnt(0)
	v_and_b32_e32 v86, 0xff, v3
	v_lshrrev_b16_e32 v85, 8, v3
	v_mul_lo_u32 v3, v41, v86
	v_mul_lo_u32 v2, v2, v85
	;; [unrolled: 1-line block ×3, first 2 shown]
	v_cvt_f32_i32_e32 v11, v3
	v_cvt_f32_i32_e32 v12, v2
	ds_read2_b64 v[2:5], v70 offset1:16
	v_cvt_f32_i32_e32 v6, v6
	s_waitcnt lgkmcnt(0)
	v_fma_mix_f32 v11, v4, v11, 0 op_sel_hi:[1,0,0]
	v_fma_mix_f32 v83, v5, v12, v11 op_sel_hi:[1,0,0]
	v_mul_lo_u32 v11, v114, v86
	v_mul_lo_u32 v12, v44, v85
	v_cvt_f32_i32_e32 v11, v11
	v_cvt_f32_i32_e32 v12, v12
	v_fma_mix_f32 v11, v2, v11, 0 op_sel_hi:[1,0,0]
	v_fma_mix_f32 v84, v3, v12, v11 op_sel_hi:[1,0,0]
	s_waitcnt vmcnt(1)
	v_add3_u32 v11, v125, s17, v0
	ds_read_u16 v12, v11 offset:25600
	s_waitcnt lgkmcnt(0)
	v_and_b32_e32 v110, 0xff, v12
	v_lshrrev_b16_e32 v109, 8, v12
	v_mul_lo_u32 v12, v120, v110
	v_mul_lo_u32 v13, v122, v109
	;; [unrolled: 1-line block ×4, first 2 shown]
	v_cvt_f32_i32_e32 v12, v12
	v_cvt_f32_i32_e32 v13, v13
	;; [unrolled: 1-line block ×3, first 2 shown]
	v_fma_mix_f32 v12, v4, v12, 0 op_sel_hi:[1,0,0]
	v_fma_mix_f32 v77, v5, v13, v12 op_sel_hi:[1,0,0]
	v_mul_lo_u32 v12, v113, v110
	v_mul_lo_u32 v13, v43, v109
	v_cvt_f32_i32_e32 v12, v12
	v_cvt_f32_i32_e32 v13, v13
	v_fma_mix_f32 v12, v2, v12, 0 op_sel_hi:[1,0,0]
	v_fma_mix_f32 v78, v3, v13, v12 op_sel_hi:[1,0,0]
	s_waitcnt vmcnt(0)
	v_add3_u32 v12, v51, s17, v0
	ds_read_u16 v13, v12 offset:26112
	v_add3_u32 v0, v127, s17, v0
	s_add_i32 s17, s16, 8
	s_mov_b32 s16, s17
	s_cmp_lt_u32 s18, 24
	s_waitcnt lgkmcnt(0)
	v_and_b32_e32 v114, 0xff, v13
	v_lshrrev_b16_e32 v113, 8, v13
	v_mul_lo_u32 v13, v119, v114
	v_mul_lo_u32 v14, v42, v113
	;; [unrolled: 1-line block ×4, first 2 shown]
	v_cvt_f32_i32_e32 v13, v13
	v_cvt_f32_i32_e32 v14, v14
	;; [unrolled: 1-line block ×4, first 2 shown]
	v_fma_mix_f32 v13, v4, v13, 0 op_sel_hi:[1,0,0]
	v_fma_mix_f32 v79, v5, v14, v13 op_sel_hi:[1,0,0]
	v_mul_lo_u32 v13, v116, v114
	v_mul_lo_u32 v14, v115, v113
	v_cvt_f32_i32_e32 v13, v13
	v_cvt_f32_i32_e32 v14, v14
	v_fma_mix_f32 v13, v2, v13, 0 op_sel_hi:[1,0,0]
	v_fma_mix_f32 v80, v3, v14, v13 op_sel_hi:[1,0,0]
	ds_read_u16 v13, v0 offset:26624
	s_waitcnt lgkmcnt(0)
	v_and_b32_e32 v116, 0xff, v13
	v_lshrrev_b16_e32 v115, 8, v13
	v_mul_lo_u32 v13, v118, v116
	v_mul_lo_u32 v14, v121, v115
	;; [unrolled: 1-line block ×4, first 2 shown]
	v_cvt_f32_i32_e32 v13, v13
	v_cvt_f32_i32_e32 v14, v14
	;; [unrolled: 1-line block ×4, first 2 shown]
	v_fma_mix_f32 v13, v4, v13, 0 op_sel_hi:[1,0,0]
	v_fma_mix_f32 v81, v5, v14, v13 op_sel_hi:[1,0,0]
	v_mul_lo_u32 v13, v117, v116
	v_mul_lo_u32 v14, v40, v115
	ds_read_u16 v117, v10 offset:25096
	ds_read_u16 v120, v11 offset:25608
	ds_read_u16 v119, v12 offset:26120
	ds_read_u16 v118, v0 offset:26632
	buffer_load_dword v28, off, s[20:23], 0 offset:176 ; 4-byte Folded Reload
	v_cvt_f32_i32_e32 v13, v13
	v_cvt_f32_i32_e32 v14, v14
	s_waitcnt lgkmcnt(3)
	v_cvt_f32_ubyte0_e32 v0, v117
	v_cvt_f32_ubyte1_e32 v10, v117
	v_fma_mix_f32 v15, v0, v2, 0 op_sel:[0,1,0] op_sel_hi:[0,1,0]
	s_waitcnt lgkmcnt(2)
	v_cvt_f32_ubyte0_e32 v11, v120
	v_fma_mix_f32 v121, v10, v3, v15 op_sel:[0,1,0] op_sel_hi:[0,1,0]
	v_fma_mix_f32 v15, v0, v4, 0 op_sel:[0,1,0] op_sel_hi:[0,1,0]
	v_fma_mix_f32 v13, v2, v13, 0 op_sel_hi:[1,0,0]
	v_cvt_f32_ubyte1_e32 v12, v120
	v_fma_mix_f32 v122, v10, v5, v15 op_sel:[0,1,0] op_sel_hi:[0,1,0]
	v_fma_mix_f32 v15, v11, v2, 0 op_sel:[0,1,0] op_sel_hi:[0,1,0]
	v_fma_mix_f32 v82, v3, v14, v13 op_sel_hi:[1,0,0]
	s_waitcnt lgkmcnt(1)
	v_cvt_f32_ubyte0_e32 v13, v119
	s_waitcnt lgkmcnt(0)
	v_cvt_f32_ubyte0_e32 v124, v118
	v_fma_mix_f32 v46, v12, v3, v15 op_sel:[0,1,0] op_sel_hi:[0,1,0]
	v_fma_mix_f32 v15, v11, v4, 0 op_sel:[0,1,0] op_sel_hi:[0,1,0]
	v_cvt_f32_ubyte1_e32 v123, v118
	v_fma_mix_f32 v117, v12, v5, v15 op_sel:[0,1,0] op_sel_hi:[0,1,0]
	v_fma_mix_f32 v15, v13, v2, 0 op_sel:[0,1,0] op_sel_hi:[0,1,0]
	;; [unrolled: 1-line block ×3, first 2 shown]
	v_cvt_f32_ubyte1_e32 v14, v119
	v_fma_mix_f32 v118, v123, v3, v2 op_sel:[0,1,0] op_sel_hi:[0,1,0]
	v_fma_mix_f32 v2, v124, v4, 0 op_sel:[0,1,0] op_sel_hi:[0,1,0]
	;; [unrolled: 1-line block ×4, first 2 shown]
	v_mul_lo_u32 v2, v112, v86
	v_mul_lo_u32 v3, v108, v85
	v_fma_mix_f32 v15, v13, v4, 0 op_sel:[0,1,0] op_sel_hi:[0,1,0]
	v_fma_mix_f32 v119, v14, v5, v15 op_sel:[0,1,0] op_sel_hi:[0,1,0]
	v_cvt_f32_i32_e32 v15, v2
	v_cvt_f32_i32_e32 v16, v3
	ds_read2_b64 v[2:5], v70 offset0:32 offset1:48
	buffer_load_dword v48, off, s[20:23], 0 offset:124 ; 4-byte Folded Reload
	buffer_load_dword v50, off, s[20:23], 0 offset:132 ; 4-byte Folded Reload
	;; [unrolled: 1-line block ×3, first 2 shown]
	s_waitcnt lgkmcnt(0)
	v_fma_mix_f32 v15, v15, v4, 0 op_sel_hi:[0,1,0]
	v_fma_mix_f32 v108, v16, v5, v15 op_sel_hi:[0,1,0]
	v_mul_lo_u32 v15, v105, v86
	v_mul_lo_u32 v16, v99, v85
	v_cvt_f32_i32_e32 v15, v15
	v_cvt_f32_i32_e32 v16, v16
	v_fma_mix_f32 v15, v15, v2, 0 op_sel_hi:[0,1,0]
	v_fma_mix_f32 v105, v16, v3, v15 op_sel_hi:[0,1,0]
	v_mul_lo_u32 v15, v111, v110
	v_mul_lo_u32 v16, v107, v109
	v_cvt_f32_i32_e32 v15, v15
	v_cvt_f32_i32_e32 v16, v16
	;; [unrolled: 6-line block ×7, first 2 shown]
	v_fma_mix_f32 v15, v15, v2, 0 op_sel_hi:[0,1,0]
	v_fma_mix_f32 v45, v16, v3, v15 op_sel_hi:[0,1,0]
	v_fma_mix_f32 v15, v0, v2, 0 op_sel:[0,1,0] op_sel_hi:[0,1,0]
	v_fma_mix_f32 v101, v10, v3, v15 op_sel:[0,1,0] op_sel_hi:[0,1,0]
	;; [unrolled: 1-line block ×14, first 2 shown]
	v_mul_lo_u32 v2, v98, v86
	v_mul_lo_u32 v3, v76, v85
	v_fma_mix_f32 v15, v13, v4, 0 op_sel:[0,1,0] op_sel_hi:[0,1,0]
	v_fma_mix_f32 v99, v14, v5, v15 op_sel:[0,1,0] op_sel_hi:[0,1,0]
	v_cvt_f32_i32_e32 v15, v2
	v_cvt_f32_i32_e32 v16, v3
	ds_read2_b64 v[2:5], v70 offset0:64 offset1:80
	v_mul_f32_e32 v22, v101, v61
	v_fma_f32 v22, v105, v60, -v22
	v_add_f32_e32 v54, v54, v22
	s_waitcnt lgkmcnt(0)
	v_fma_mix_f32 v15, v15, v4, 0 op_sel_hi:[0,1,0]
	v_fma_mix_f32 v103, v16, v5, v15 op_sel_hi:[0,1,0]
	v_mul_lo_u32 v15, v95, v86
	v_mul_lo_u32 v16, v73, v85
	v_cvt_f32_i32_e32 v15, v15
	v_cvt_f32_i32_e32 v16, v16
	v_fma_mix_f32 v15, v15, v2, 0 op_sel_hi:[0,1,0]
	v_fma_mix_f32 v104, v16, v3, v15 op_sel_hi:[0,1,0]
	v_mul_lo_u32 v15, v97, v110
	v_mul_lo_u32 v16, v75, v109
	v_cvt_f32_i32_e32 v15, v15
	v_cvt_f32_i32_e32 v16, v16
	;; [unrolled: 6-line block ×7, first 2 shown]
	v_fma_mix_f32 v15, v15, v2, 0 op_sel_hi:[0,1,0]
	v_fma_mix_f32 v37, v16, v3, v15 op_sel_hi:[0,1,0]
	v_fma_mix_f32 v15, v0, v2, 0 op_sel:[0,1,0] op_sel_hi:[0,1,0]
	v_fma_mix_f32 v106, v10, v3, v15 op_sel:[0,1,0] op_sel_hi:[0,1,0]
	;; [unrolled: 1-line block ×16, first 2 shown]
	ds_read2_b64 v[2:5], v70 offset0:96 offset1:112
	v_mul_lo_u32 v16, v26, v109
	v_add_u32_e32 v70, 8, v70
	s_waitcnt lgkmcnt(0)
	v_fma_mix_f32 v15, v0, v4, 0 op_sel:[0,1,0] op_sel_hi:[0,1,0]
	v_fma_mix_f32 v0, v0, v2, 0 op_sel:[0,1,0] op_sel_hi:[0,1,0]
	;; [unrolled: 1-line block ×6, first 2 shown]
	v_mul_lo_u32 v11, v18, v86
	v_fma_mix_f32 v95, v12, v3, v10 op_sel:[0,1,0] op_sel_hi:[0,1,0]
	v_fma_mix_f32 v96, v12, v5, v0 op_sel:[0,1,0] op_sel_hi:[0,1,0]
	v_mul_lo_u32 v12, v27, v85
	v_cvt_f32_i32_e32 v11, v11
	v_fma_mix_f32 v0, v13, v4, 0 op_sel:[0,1,0] op_sel_hi:[0,1,0]
	v_fma_mix_f32 v10, v13, v2, 0 op_sel:[0,1,0] op_sel_hi:[0,1,0]
	v_mul_lo_u32 v13, v23, v85
	v_cvt_f32_i32_e32 v12, v12
	v_fma_mix_f32 v11, v11, v4, 0 op_sel_hi:[0,1,0]
	v_fma_mix_f32 v6, v6, v2, 0 op_sel_hi:[0,1,0]
	buffer_load_dword v85, off, s[20:23], 0 offset:200 ; 4-byte Folded Reload
	v_fma_mix_f32 v11, v12, v5, v11 op_sel_hi:[0,1,0]
	v_cvt_f32_i32_e32 v12, v13
	v_fma_mix_f32 v97, v14, v3, v10 op_sel:[0,1,0] op_sel_hi:[0,1,0]
	v_fma_mix_f32 v98, v14, v5, v0 op_sel:[0,1,0] op_sel_hi:[0,1,0]
	v_mul_lo_u32 v14, v19, v110
	v_fma_mix_f32 v6, v12, v3, v6 op_sel_hi:[0,1,0]
	v_mul_f32_e32 v12, v121, v61
	v_fma_f32 v12, v84, v60, -v12
	buffer_load_dword v84, off, s[20:23], 0 offset:192 ; 4-byte Folded Reload
	buffer_load_dword v27, off, s[20:23], 0 offset:172 ; 4-byte Folded Reload
	s_waitcnt vmcnt(6)
	v_mul_f32_e32 v13, v122, v28
	v_cvt_f32_i32_e32 v14, v14
	v_cvt_f32_i32_e32 v16, v16
	v_mul_lo_u32 v18, v25, v113
	v_mul_lo_u32 v15, v64, v116
	v_fma_mix_f32 v14, v14, v4, 0 op_sel_hi:[0,1,0]
	v_fma_mix_f32 v14, v16, v5, v14 op_sel_hi:[0,1,0]
	v_cvt_f32_i32_e32 v16, v17
	v_fma_mix_f32 v7, v7, v2, 0 op_sel_hi:[0,1,0]
	v_mul_lo_u32 v19, v21, v113
	v_fma_mix_f32 v9, v9, v4, 0 op_sel_hi:[0,1,0]
	v_fma_mix_f32 v7, v16, v3, v7 op_sel_hi:[0,1,0]
	v_cvt_f32_i32_e32 v16, v18
	v_cvt_f32_i32_e32 v15, v15
	v_fma_mix_f32 v0, v124, v4, 0 op_sel:[0,1,0] op_sel_hi:[0,1,0]
	v_fma_mix_f32 v10, v124, v2, 0 op_sel:[0,1,0] op_sel_hi:[0,1,0]
	v_fma_mix_f32 v9, v16, v5, v9 op_sel_hi:[0,1,0]
	v_cvt_f32_i32_e32 v16, v19
	v_fma_mix_f32 v1, v1, v2, 0 op_sel_hi:[0,1,0]
	v_fma_mix_f32 v4, v8, v4, 0 op_sel_hi:[0,1,0]
	;; [unrolled: 1-line block ×3, first 2 shown]
	v_fma_mix_f32 v10, v123, v3, v10 op_sel:[0,1,0] op_sel_hi:[0,1,0]
	v_fma_mix_f32 v1, v16, v3, v1 op_sel_hi:[0,1,0]
	v_fma_mix_f32 v2, v20, v3, v2 op_sel_hi:[0,1,0]
	v_mul_lo_u32 v21, v24, v115
	v_fma_mix_f32 v0, v123, v5, v0 op_sel:[0,1,0] op_sel_hi:[0,1,0]
	v_mul_f32_e32 v23, v102, v28
	v_mul_f32_e32 v26, v112, v61
	v_cvt_f32_i32_e32 v16, v21
	v_mul_f32_e32 v25, v107, v28
	v_fma_f32 v6, v6, v60, -v26
	v_mul_f32_e32 v26, v111, v28
	v_fma_mix_f32 v4, v16, v5, v4 op_sel_hi:[0,1,0]
	v_mul_f32_e32 v24, v106, v61
	v_fma_f32 v24, v104, v60, -v24
	s_waitcnt vmcnt(2)
	v_mul_f32_e32 v18, v120, v85
	v_mul_f32_e32 v29, v100, v85
	;; [unrolled: 1-line block ×4, first 2 shown]
	s_waitcnt vmcnt(1)
	v_mul_f32_e32 v16, v119, v84
	s_waitcnt vmcnt(0)
	v_fma_f32 v13, v83, v27, -v13
	buffer_load_dword v83, off, s[20:23], 0 offset:168 ; 4-byte Folded Reload
	v_mul_f32_e32 v32, v75, v48
	v_mul_f32_e32 v34, v76, v50
	buffer_load_dword v75, off, s[20:23], 0 ; 4-byte Folded Reload
	buffer_load_dword v76, off, s[20:23], 0 offset:4 ; 4-byte Folded Reload
	v_mul_f32_e32 v8, v46, v48
	v_mul_f32_e32 v17, v47, v50
	;; [unrolled: 1-line block ×3, first 2 shown]
	v_fma_f32 v23, v108, v27, -v23
	v_mul_f32_e32 v21, v92, v49
	v_mul_f32_e32 v28, v91, v50
	v_add_f32_e32 v55, v55, v23
	v_fma_f32 v25, v103, v27, -v25
	v_fma_f32 v11, v11, v27, -v26
	v_mul_f32_e32 v26, v87, v48
	v_mul_f32_e32 v31, v88, v49
	;; [unrolled: 1-line block ×8, first 2 shown]
	s_waitcnt vmcnt(2)
	v_mul_f32_e32 v30, v93, v83
	v_mul_f32_e32 v19, v118, v83
	s_waitcnt vmcnt(1)
	v_add_f32_e32 v75, v75, v12
	s_waitcnt vmcnt(0)
	v_add_f32_e32 v76, v76, v13
	buffer_store_dword v75, off, s[20:23], 0 ; 4-byte Folded Spill
	s_nop 0
	buffer_store_dword v76, off, s[20:23], 0 offset:4 ; 4-byte Folded Spill
	buffer_load_dword v75, off, s[20:23], 0 offset:72 ; 4-byte Folded Reload
	v_mul_f32_e32 v46, v89, v83
	buffer_load_dword v76, off, s[20:23], 0 offset:128 ; 4-byte Folded Reload
	v_mul_f32_e32 v10, v10, v83
	s_waitcnt vmcnt(1)
	v_fma_f32 v3, v78, v75, -v8
	buffer_load_dword v78, off, s[20:23], 0 offset:180 ; 4-byte Folded Reload
	s_waitcnt vmcnt(1)
	v_fma_f32 v8, v80, v76, -v17
	buffer_load_dword v80, off, s[20:23], 0 offset:188 ; 4-byte Folded Reload
	v_fma_f32 v1, v1, v76, -v50
	v_add_f32_e32 v62, v62, v3
	v_add_f32_e32 v65, v65, v8
	s_waitcnt vmcnt(1)
	v_fma_f32 v5, v77, v78, -v5
	buffer_load_dword v77, off, s[20:23], 0 offset:136 ; 4-byte Folded Reload
	s_waitcnt vmcnt(1)
	v_fma_f32 v12, v79, v80, -v16
	buffer_load_dword v79, off, s[20:23], 0 offset:196 ; 4-byte Folded Reload
	v_fma_f32 v17, v40, v78, -v21
	v_fma_f32 v9, v9, v80, -v49
	;; [unrolled: 1-line block ×3, first 2 shown]
	v_add_f32_e32 v63, v63, v5
	v_add_f32_e32 v66, v66, v12
	;; [unrolled: 1-line block ×4, first 2 shown]
	s_waitcnt vmcnt(1)
	v_fma_f32 v20, v45, v77, -v30
	v_fma_f32 v13, v82, v77, -v19
	s_waitcnt vmcnt(0)
	v_fma_f32 v15, v81, v79, -v18
	v_fma_f32 v18, v43, v76, -v28
	;; [unrolled: 1-line block ×3, first 2 shown]
	buffer_load_dword v43, off, s[20:23], 0 offset:24 ; 4-byte Folded Reload
	buffer_load_dword v44, off, s[20:23], 0 offset:28 ; 4-byte Folded Reload
	;; [unrolled: 1-line block ×4, first 2 shown]
	v_fma_f32 v0, v4, v79, -v0
	v_fma_f32 v19, v42, v80, -v27
	;; [unrolled: 1-line block ×5, first 2 shown]
	v_add_f32_e32 v68, v68, v15
	v_add_f32_e32 v67, v67, v13
	;; [unrolled: 1-line block ×6, first 2 shown]
	s_waitcnt vmcnt(3)
	v_add_f32_e32 v43, v43, v6
	v_fma_f32 v6, v7, v75, -v48
	s_waitcnt vmcnt(1)
	v_add_f32_e32 v22, v22, v24
	s_waitcnt vmcnt(0)
	v_add_f32_e32 v23, v23, v25
	buffer_store_dword v22, off, s[20:23], 0 offset:8 ; 4-byte Folded Spill
	s_nop 0
	buffer_store_dword v23, off, s[20:23], 0 offset:12 ; 4-byte Folded Spill
	v_fma_f32 v7, v14, v78, -v47
	buffer_load_dword v47, off, s[20:23], 0 offset:56 ; 4-byte Folded Reload
	buffer_load_dword v48, off, s[20:23], 0 offset:60 ; 4-byte Folded Reload
	;; [unrolled: 1-line block ×6, first 2 shown]
	v_fma_f32 v24, v38, v76, -v34
	v_fma_f32 v25, v74, v80, -v33
	;; [unrolled: 1-line block ×4, first 2 shown]
	v_add_f32_e32 v44, v44, v11
	s_waitcnt vmcnt(5)
	v_add_f32_e32 v47, v47, v22
	s_waitcnt vmcnt(3)
	v_add_f32_e32 v49, v49, v24
	s_waitcnt vmcnt(1)
	v_add_f32_e32 v3, v3, v20
	s_waitcnt vmcnt(0)
	v_add_f32_e32 v4, v4, v21
	buffer_store_dword v3, off, s[20:23], 0 offset:16 ; 4-byte Folded Spill
	s_nop 0
	buffer_store_dword v4, off, s[20:23], 0 offset:20 ; 4-byte Folded Spill
	buffer_load_dword v20, off, s[20:23], 0 offset:40 ; 4-byte Folded Reload
	buffer_load_dword v21, off, s[20:23], 0 offset:44 ; 4-byte Folded Reload
	;; [unrolled: 1-line block ×4, first 2 shown]
	v_add_f32_e32 v50, v50, v25
	buffer_load_dword v24, off, s[20:23], 0 offset:32 ; 4-byte Folded Reload
	buffer_load_dword v25, off, s[20:23], 0 offset:36 ; 4-byte Folded Reload
	v_add_f32_e32 v48, v48, v23
	s_waitcnt vmcnt(5)
	v_add_f32_e32 v20, v20, v1
	s_waitcnt vmcnt(4)
	;; [unrolled: 2-line block ×5, first 2 shown]
	v_add_f32_e32 v25, v25, v7
	v_add_f32_e32 v31, v31, v2
	s_cbranch_scc1 .LBB152_8
; %bb.9:                                ;   in Loop: Header=BB152_5 Depth=1
	v_mov_b32_e32 v9, v67
	v_mov_b32_e32 v10, v68
	;; [unrolled: 1-line block ×12, first 2 shown]
	buffer_load_dword v64, off, s[20:23], 0 offset:16 ; 4-byte Folded Reload
	buffer_load_dword v65, off, s[20:23], 0 offset:20 ; 4-byte Folded Reload
	v_mov_b32_e32 v58, v54
	v_mov_b32_e32 v56, v52
	buffer_load_dword v54, off, s[20:23], 0 offset:8 ; 4-byte Folded Reload
	buffer_load_dword v55, off, s[20:23], 0 offset:12 ; 4-byte Folded Reload
	buffer_load_dword v52, off, s[20:23], 0 ; 4-byte Folded Reload
	buffer_load_dword v53, off, s[20:23], 0 offset:4 ; 4-byte Folded Reload
	s_add_i32 s7, s7, 1
	s_cmp_eq_u32 s7, s4
	v_mov_b32_e32 v37, v51
	s_waitcnt vmcnt(0)
	s_barrier
	s_cbranch_scc0 .LBB152_5
; %bb.10:
	v_cvt_f16_f32_e32 v2, v67
	v_cvt_f16_f32_e32 v3, v66
	;; [unrolled: 1-line block ×5, first 2 shown]
	v_pack_b32_f16 v18, v3, v2
	v_cvt_f16_f32_e32 v2, v61
	v_pack_b32_f16 v17, v5, v4
	v_cvt_f16_f32_e32 v3, v60
	v_cvt_f16_f32_e32 v4, v63
	;; [unrolled: 1-line block ×4, first 2 shown]
	v_pack_b32_f16 v14, v3, v2
	v_cvt_f16_f32_e32 v2, v48
	v_pack_b32_f16 v13, v5, v4
	v_cvt_f16_f32_e32 v3, v47
	v_cvt_f16_f32_e32 v4, v50
	;; [unrolled: 1-line block ×4, first 2 shown]
	v_pack_b32_f16 v10, v3, v2
	v_cvt_f16_f32_e32 v2, v25
	v_pack_b32_f16 v9, v5, v4
	v_cvt_f16_f32_e32 v4, v24
	v_cvt_f16_f32_e32 v1, v52
	v_pack_b32_f16 v16, v7, v6
	v_cvt_f16_f32_e32 v6, v65
	v_pack_b32_f16 v2, v4, v2
	buffer_load_dword v4, off, s[20:23], 0 offset:668 ; 4-byte Folded Reload
	buffer_load_dword v30, off, s[20:23], 0 offset:664 ; 4-byte Folded Reload
	v_pack_b32_f16 v19, v1, v0
	v_cvt_f16_f32_e32 v0, v59
	v_cvt_f16_f32_e32 v1, v58
	;; [unrolled: 1-line block ×4, first 2 shown]
	v_pack_b32_f16 v15, v1, v0
	v_pack_b32_f16 v12, v7, v6
	v_cvt_f16_f32_e32 v0, v55
	v_cvt_f16_f32_e32 v1, v54
	;; [unrolled: 1-line block ×4, first 2 shown]
	v_pack_b32_f16 v11, v1, v0
	v_cvt_f16_f32_e32 v0, v44
	v_pack_b32_f16 v8, v7, v6
	v_cvt_f16_f32_e32 v1, v43
	v_cvt_f16_f32_e32 v6, v20
	;; [unrolled: 1-line block ×4, first 2 shown]
	v_pack_b32_f16 v3, v1, v0
	v_pack_b32_f16 v1, v6, v5
	;; [unrolled: 1-line block ×3, first 2 shown]
.LBB152_11:
	s_waitcnt vmcnt(1)
	v_cmp_gt_u32_e32 vcc, s10, v4
	s_and_saveexec_b64 s[0:1], vcc
	s_cbranch_execz .LBB152_62
; %bb.12:
	v_mul_lo_u32 v20, v4, s14
	buffer_load_dword v4, off, s[20:23], 0 offset:140 ; 4-byte Folded Reload
	s_waitcnt vmcnt(0)
	v_add_u32_e32 v4, s6, v4
	v_cmp_gt_u32_e32 vcc, s14, v4
	s_and_saveexec_b64 s[2:3], vcc
	s_cbranch_execz .LBB152_14
; %bb.13:
	v_add_u32_e32 v5, v4, v20
	v_mov_b32_e32 v6, 0
	v_lshlrev_b64 v[5:6], 1, v[5:6]
	s_waitcnt lgkmcnt(0)
	v_mov_b32_e32 v7, s13
	v_add_co_u32_e64 v5, s[0:1], s12, v5
	v_addc_co_u32_e64 v6, s[0:1], v7, v6, s[0:1]
	global_store_short v[5:6], v19, off
.LBB152_14:
	s_or_b64 exec, exec, s[2:3]
	v_add_u32_e32 v5, 32, v4
	v_cmp_gt_u32_e64 s[0:1], s14, v5
	s_and_saveexec_b64 s[4:5], s[0:1]
	s_cbranch_execz .LBB152_16
; %bb.15:
	v_add_u32_e32 v6, v5, v20
	v_mov_b32_e32 v7, 0
	v_lshlrev_b64 v[6:7], 1, v[6:7]
	s_waitcnt lgkmcnt(0)
	v_mov_b32_e32 v21, s13
	v_add_co_u32_e64 v6, s[2:3], s12, v6
	v_addc_co_u32_e64 v7, s[2:3], v21, v7, s[2:3]
	global_store_short v[6:7], v18, off
.LBB152_16:
	s_or_b64 exec, exec, s[4:5]
	v_add_u32_e32 v6, 64, v4
	v_cmp_gt_u32_e64 s[2:3], s14, v6
	s_and_saveexec_b64 s[6:7], s[2:3]
	s_cbranch_execz .LBB152_18
; %bb.17:
	v_add_u32_e32 v21, v6, v20
	v_mov_b32_e32 v22, 0
	v_lshlrev_b64 v[21:22], 1, v[21:22]
	s_waitcnt lgkmcnt(0)
	v_mov_b32_e32 v7, s13
	v_add_co_u32_e64 v21, s[4:5], s12, v21
	v_addc_co_u32_e64 v22, s[4:5], v7, v22, s[4:5]
	global_store_short v[21:22], v17, off
.LBB152_18:
	s_or_b64 exec, exec, s[6:7]
	v_add_u32_e32 v7, 0x60, v4
	v_cmp_gt_u32_e64 s[4:5], s14, v7
	s_and_saveexec_b64 s[8:9], s[4:5]
	s_cbranch_execz .LBB152_20
; %bb.19:
	v_add_u32_e32 v20, v7, v20
	v_mov_b32_e32 v21, 0
	v_lshlrev_b64 v[20:21], 1, v[20:21]
	s_waitcnt lgkmcnt(0)
	v_mov_b32_e32 v22, s13
	v_add_co_u32_e64 v20, s[6:7], s12, v20
	v_addc_co_u32_e64 v21, s[6:7], v22, v21, s[6:7]
	global_store_short v[20:21], v16, off
.LBB152_20:
	s_or_b64 exec, exec, s[8:9]
	v_add3_u32 v20, v30, s15, 8
	v_cmp_gt_u32_e64 s[6:7], s10, v20
	s_and_b64 exec, exec, s[6:7]
	s_cbranch_execz .LBB152_62
; %bb.21:
	v_mul_lo_u32 v20, v20, s14
	s_and_saveexec_b64 s[8:9], vcc
	s_cbranch_execnz .LBB152_63
; %bb.22:
	s_or_b64 exec, exec, s[8:9]
	s_and_saveexec_b64 s[8:9], s[0:1]
	s_cbranch_execnz .LBB152_64
.LBB152_23:
	s_or_b64 exec, exec, s[8:9]
	s_and_saveexec_b64 s[8:9], s[2:3]
	s_cbranch_execnz .LBB152_65
.LBB152_24:
	s_or_b64 exec, exec, s[8:9]
	s_and_saveexec_b64 s[8:9], s[4:5]
	s_cbranch_execz .LBB152_26
.LBB152_25:
	v_add_u32_e32 v17, v20, v7
	v_mov_b32_e32 v18, 0
	v_lshlrev_b64 v[17:18], 1, v[17:18]
	s_waitcnt lgkmcnt(0)
	v_mov_b32_e32 v19, s13
	v_add_co_u32_e64 v17, s[6:7], s12, v17
	v_addc_co_u32_e64 v18, s[6:7], v19, v18, s[6:7]
	global_store_short_d16_hi v[17:18], v16, off
.LBB152_26:
	s_or_b64 exec, exec, s[8:9]
	v_add3_u32 v16, v30, s15, 16
	v_cmp_gt_u32_e64 s[6:7], s10, v16
	s_and_b64 exec, exec, s[6:7]
	s_cbranch_execz .LBB152_62
; %bb.27:
	v_mul_lo_u32 v16, v16, s14
	s_and_saveexec_b64 s[8:9], vcc
	s_cbranch_execnz .LBB152_66
; %bb.28:
	s_or_b64 exec, exec, s[8:9]
	s_and_saveexec_b64 s[8:9], s[0:1]
	s_cbranch_execnz .LBB152_67
.LBB152_29:
	s_or_b64 exec, exec, s[8:9]
	s_and_saveexec_b64 s[8:9], s[2:3]
	s_cbranch_execnz .LBB152_68
.LBB152_30:
	s_or_b64 exec, exec, s[8:9]
	s_and_saveexec_b64 s[8:9], s[4:5]
	s_cbranch_execz .LBB152_32
.LBB152_31:
	v_add_u32_e32 v16, v16, v7
	v_mov_b32_e32 v17, 0
	v_lshlrev_b64 v[16:17], 1, v[16:17]
	s_waitcnt lgkmcnt(0)
	v_mov_b32_e32 v18, s13
	v_add_co_u32_e64 v16, s[6:7], s12, v16
	v_addc_co_u32_e64 v17, s[6:7], v18, v17, s[6:7]
	global_store_short v[16:17], v12, off
.LBB152_32:
	s_or_b64 exec, exec, s[8:9]
	v_add3_u32 v16, v30, s15, 24
	v_cmp_gt_u32_e64 s[6:7], s10, v16
	s_and_b64 exec, exec, s[6:7]
	s_cbranch_execz .LBB152_62
; %bb.33:
	v_mul_lo_u32 v16, v16, s14
	s_and_saveexec_b64 s[8:9], vcc
	s_cbranch_execnz .LBB152_69
; %bb.34:
	s_or_b64 exec, exec, s[8:9]
	s_and_saveexec_b64 s[8:9], s[0:1]
	s_cbranch_execnz .LBB152_70
.LBB152_35:
	s_or_b64 exec, exec, s[8:9]
	s_and_saveexec_b64 s[8:9], s[2:3]
	s_cbranch_execnz .LBB152_71
.LBB152_36:
	s_or_b64 exec, exec, s[8:9]
	s_and_saveexec_b64 s[8:9], s[4:5]
	s_cbranch_execz .LBB152_38
.LBB152_37:
	v_add_u32_e32 v13, v16, v7
	v_mov_b32_e32 v14, 0
	v_lshlrev_b64 v[13:14], 1, v[13:14]
	s_waitcnt lgkmcnt(0)
	v_mov_b32_e32 v15, s13
	v_add_co_u32_e64 v13, s[6:7], s12, v13
	v_addc_co_u32_e64 v14, s[6:7], v15, v14, s[6:7]
	global_store_short_d16_hi v[13:14], v12, off
.LBB152_38:
	s_or_b64 exec, exec, s[8:9]
	v_add3_u32 v12, v30, s15, 32
	v_cmp_gt_u32_e64 s[6:7], s10, v12
	s_and_b64 exec, exec, s[6:7]
	s_cbranch_execz .LBB152_62
; %bb.39:
	v_mul_lo_u32 v12, v12, s14
	s_and_saveexec_b64 s[8:9], vcc
	s_cbranch_execnz .LBB152_72
; %bb.40:
	s_or_b64 exec, exec, s[8:9]
	s_and_saveexec_b64 s[8:9], s[0:1]
	s_cbranch_execnz .LBB152_73
.LBB152_41:
	s_or_b64 exec, exec, s[8:9]
	s_and_saveexec_b64 s[8:9], s[2:3]
	s_cbranch_execnz .LBB152_74
.LBB152_42:
	s_or_b64 exec, exec, s[8:9]
	s_and_saveexec_b64 s[8:9], s[4:5]
	s_cbranch_execz .LBB152_44
.LBB152_43:
	v_add_u32_e32 v12, v12, v7
	v_mov_b32_e32 v13, 0
	v_lshlrev_b64 v[12:13], 1, v[12:13]
	s_waitcnt lgkmcnt(0)
	v_mov_b32_e32 v14, s13
	v_add_co_u32_e64 v12, s[6:7], s12, v12
	v_addc_co_u32_e64 v13, s[6:7], v14, v13, s[6:7]
	global_store_short v[12:13], v8, off
.LBB152_44:
	s_or_b64 exec, exec, s[8:9]
	v_add3_u32 v12, v30, s15, 40
	v_cmp_gt_u32_e64 s[6:7], s10, v12
	s_and_b64 exec, exec, s[6:7]
	s_cbranch_execz .LBB152_62
; %bb.45:
	v_mul_lo_u32 v12, v12, s14
	s_and_saveexec_b64 s[8:9], vcc
	s_cbranch_execnz .LBB152_75
; %bb.46:
	s_or_b64 exec, exec, s[8:9]
	s_and_saveexec_b64 s[8:9], s[0:1]
	s_cbranch_execnz .LBB152_76
.LBB152_47:
	s_or_b64 exec, exec, s[8:9]
	s_and_saveexec_b64 s[8:9], s[2:3]
	s_cbranch_execnz .LBB152_77
.LBB152_48:
	s_or_b64 exec, exec, s[8:9]
	s_and_saveexec_b64 s[8:9], s[4:5]
	s_cbranch_execz .LBB152_50
.LBB152_49:
	v_add_u32_e32 v9, v12, v7
	v_mov_b32_e32 v10, 0
	v_lshlrev_b64 v[9:10], 1, v[9:10]
	s_waitcnt lgkmcnt(0)
	v_mov_b32_e32 v11, s13
	v_add_co_u32_e64 v9, s[6:7], s12, v9
	v_addc_co_u32_e64 v10, s[6:7], v11, v10, s[6:7]
	global_store_short_d16_hi v[9:10], v8, off
.LBB152_50:
	s_or_b64 exec, exec, s[8:9]
	v_add3_u32 v8, v30, s15, 48
	v_cmp_gt_u32_e64 s[6:7], s10, v8
	s_and_b64 exec, exec, s[6:7]
	s_cbranch_execz .LBB152_62
; %bb.51:
	v_mul_lo_u32 v8, v8, s14
	s_and_saveexec_b64 s[8:9], vcc
	s_cbranch_execnz .LBB152_78
; %bb.52:
	s_or_b64 exec, exec, s[8:9]
	s_and_saveexec_b64 s[8:9], s[0:1]
	s_cbranch_execnz .LBB152_79
.LBB152_53:
	s_or_b64 exec, exec, s[8:9]
	s_and_saveexec_b64 s[8:9], s[2:3]
	s_cbranch_execnz .LBB152_80
.LBB152_54:
	s_or_b64 exec, exec, s[8:9]
	s_and_saveexec_b64 s[8:9], s[4:5]
	s_cbranch_execz .LBB152_56
.LBB152_55:
	v_add_u32_e32 v8, v8, v7
	v_mov_b32_e32 v9, 0
	v_lshlrev_b64 v[8:9], 1, v[8:9]
	s_waitcnt lgkmcnt(0)
	v_mov_b32_e32 v10, s13
	v_add_co_u32_e64 v8, s[6:7], s12, v8
	v_addc_co_u32_e64 v9, s[6:7], v10, v9, s[6:7]
	global_store_short v[8:9], v0, off
.LBB152_56:
	s_or_b64 exec, exec, s[8:9]
	v_add3_u32 v8, v30, s15, 56
	v_cmp_gt_u32_e64 s[6:7], s10, v8
	s_and_b64 exec, exec, s[6:7]
	s_cbranch_execz .LBB152_62
; %bb.57:
	v_mul_lo_u32 v8, v8, s14
	s_and_saveexec_b64 s[6:7], vcc
	s_cbranch_execnz .LBB152_81
; %bb.58:
	s_or_b64 exec, exec, s[6:7]
	s_and_saveexec_b64 s[6:7], s[0:1]
	s_cbranch_execnz .LBB152_82
.LBB152_59:
	s_or_b64 exec, exec, s[6:7]
	s_and_saveexec_b64 s[0:1], s[2:3]
	s_cbranch_execnz .LBB152_83
.LBB152_60:
	s_or_b64 exec, exec, s[0:1]
	s_and_b64 exec, exec, s[4:5]
	s_cbranch_execz .LBB152_62
.LBB152_61:
	v_add_u32_e32 v1, v8, v7
	v_mov_b32_e32 v2, 0
	v_lshlrev_b64 v[1:2], 1, v[1:2]
	s_waitcnt lgkmcnt(0)
	v_mov_b32_e32 v3, s13
	v_add_co_u32_e32 v1, vcc, s12, v1
	v_addc_co_u32_e32 v2, vcc, v3, v2, vcc
	global_store_short_d16_hi v[1:2], v0, off
.LBB152_62:
	s_endpgm
.LBB152_63:
	v_add_u32_e32 v21, v20, v4
	v_mov_b32_e32 v22, 0
	v_lshlrev_b64 v[21:22], 1, v[21:22]
	s_waitcnt lgkmcnt(0)
	v_mov_b32_e32 v23, s13
	v_add_co_u32_e64 v21, s[6:7], s12, v21
	v_addc_co_u32_e64 v22, s[6:7], v23, v22, s[6:7]
	global_store_short_d16_hi v[21:22], v19, off
	s_or_b64 exec, exec, s[8:9]
	s_and_saveexec_b64 s[8:9], s[0:1]
	s_cbranch_execz .LBB152_23
.LBB152_64:
	v_add_u32_e32 v21, v20, v5
	v_mov_b32_e32 v22, 0
	v_lshlrev_b64 v[21:22], 1, v[21:22]
	s_waitcnt lgkmcnt(0)
	v_mov_b32_e32 v19, s13
	v_add_co_u32_e64 v21, s[6:7], s12, v21
	v_addc_co_u32_e64 v22, s[6:7], v19, v22, s[6:7]
	global_store_short_d16_hi v[21:22], v18, off
	s_or_b64 exec, exec, s[8:9]
	s_and_saveexec_b64 s[8:9], s[2:3]
	s_cbranch_execz .LBB152_24
.LBB152_65:
	v_add_u32_e32 v18, v20, v6
	v_mov_b32_e32 v19, 0
	v_lshlrev_b64 v[18:19], 1, v[18:19]
	s_waitcnt lgkmcnt(0)
	v_mov_b32_e32 v21, s13
	v_add_co_u32_e64 v18, s[6:7], s12, v18
	v_addc_co_u32_e64 v19, s[6:7], v21, v19, s[6:7]
	global_store_short_d16_hi v[18:19], v17, off
	s_or_b64 exec, exec, s[8:9]
	s_and_saveexec_b64 s[8:9], s[4:5]
	s_cbranch_execnz .LBB152_25
	s_branch .LBB152_26
.LBB152_66:
	v_add_u32_e32 v17, v16, v4
	v_mov_b32_e32 v18, 0
	v_lshlrev_b64 v[17:18], 1, v[17:18]
	s_waitcnt lgkmcnt(0)
	v_mov_b32_e32 v19, s13
	v_add_co_u32_e64 v17, s[6:7], s12, v17
	v_addc_co_u32_e64 v18, s[6:7], v19, v18, s[6:7]
	global_store_short v[17:18], v15, off
	s_or_b64 exec, exec, s[8:9]
	s_and_saveexec_b64 s[8:9], s[0:1]
	s_cbranch_execz .LBB152_29
.LBB152_67:
	v_add_u32_e32 v17, v16, v5
	v_mov_b32_e32 v18, 0
	v_lshlrev_b64 v[17:18], 1, v[17:18]
	s_waitcnt lgkmcnt(0)
	v_mov_b32_e32 v19, s13
	v_add_co_u32_e64 v17, s[6:7], s12, v17
	v_addc_co_u32_e64 v18, s[6:7], v19, v18, s[6:7]
	global_store_short v[17:18], v14, off
	s_or_b64 exec, exec, s[8:9]
	s_and_saveexec_b64 s[8:9], s[2:3]
	s_cbranch_execz .LBB152_30
.LBB152_68:
	v_add_u32_e32 v17, v16, v6
	v_mov_b32_e32 v18, 0
	v_lshlrev_b64 v[17:18], 1, v[17:18]
	s_waitcnt lgkmcnt(0)
	v_mov_b32_e32 v19, s13
	v_add_co_u32_e64 v17, s[6:7], s12, v17
	v_addc_co_u32_e64 v18, s[6:7], v19, v18, s[6:7]
	global_store_short v[17:18], v13, off
	s_or_b64 exec, exec, s[8:9]
	s_and_saveexec_b64 s[8:9], s[4:5]
	s_cbranch_execnz .LBB152_31
	s_branch .LBB152_32
.LBB152_69:
	v_add_u32_e32 v17, v16, v4
	v_mov_b32_e32 v18, 0
	v_lshlrev_b64 v[17:18], 1, v[17:18]
	s_waitcnt lgkmcnt(0)
	v_mov_b32_e32 v19, s13
	v_add_co_u32_e64 v17, s[6:7], s12, v17
	v_addc_co_u32_e64 v18, s[6:7], v19, v18, s[6:7]
	global_store_short_d16_hi v[17:18], v15, off
	s_or_b64 exec, exec, s[8:9]
	s_and_saveexec_b64 s[8:9], s[0:1]
	s_cbranch_execz .LBB152_35
.LBB152_70:
	v_add_u32_e32 v17, v16, v5
	v_mov_b32_e32 v18, 0
	v_lshlrev_b64 v[17:18], 1, v[17:18]
	s_waitcnt lgkmcnt(0)
	v_mov_b32_e32 v15, s13
	v_add_co_u32_e64 v17, s[6:7], s12, v17
	v_addc_co_u32_e64 v18, s[6:7], v15, v18, s[6:7]
	global_store_short_d16_hi v[17:18], v14, off
	s_or_b64 exec, exec, s[8:9]
	s_and_saveexec_b64 s[8:9], s[2:3]
	s_cbranch_execz .LBB152_36
.LBB152_71:
	v_add_u32_e32 v14, v16, v6
	v_mov_b32_e32 v15, 0
	v_lshlrev_b64 v[14:15], 1, v[14:15]
	s_waitcnt lgkmcnt(0)
	v_mov_b32_e32 v17, s13
	v_add_co_u32_e64 v14, s[6:7], s12, v14
	v_addc_co_u32_e64 v15, s[6:7], v17, v15, s[6:7]
	global_store_short_d16_hi v[14:15], v13, off
	s_or_b64 exec, exec, s[8:9]
	s_and_saveexec_b64 s[8:9], s[4:5]
	s_cbranch_execnz .LBB152_37
	s_branch .LBB152_38
.LBB152_72:
	v_add_u32_e32 v13, v12, v4
	v_mov_b32_e32 v14, 0
	v_lshlrev_b64 v[13:14], 1, v[13:14]
	s_waitcnt lgkmcnt(0)
	v_mov_b32_e32 v15, s13
	v_add_co_u32_e64 v13, s[6:7], s12, v13
	v_addc_co_u32_e64 v14, s[6:7], v15, v14, s[6:7]
	global_store_short v[13:14], v11, off
	s_or_b64 exec, exec, s[8:9]
	s_and_saveexec_b64 s[8:9], s[0:1]
	s_cbranch_execz .LBB152_41
.LBB152_73:
	v_add_u32_e32 v13, v12, v5
	v_mov_b32_e32 v14, 0
	v_lshlrev_b64 v[13:14], 1, v[13:14]
	s_waitcnt lgkmcnt(0)
	v_mov_b32_e32 v15, s13
	v_add_co_u32_e64 v13, s[6:7], s12, v13
	v_addc_co_u32_e64 v14, s[6:7], v15, v14, s[6:7]
	global_store_short v[13:14], v10, off
	s_or_b64 exec, exec, s[8:9]
	s_and_saveexec_b64 s[8:9], s[2:3]
	s_cbranch_execz .LBB152_42
.LBB152_74:
	v_add_u32_e32 v13, v12, v6
	v_mov_b32_e32 v14, 0
	v_lshlrev_b64 v[13:14], 1, v[13:14]
	s_waitcnt lgkmcnt(0)
	v_mov_b32_e32 v15, s13
	v_add_co_u32_e64 v13, s[6:7], s12, v13
	v_addc_co_u32_e64 v14, s[6:7], v15, v14, s[6:7]
	global_store_short v[13:14], v9, off
	s_or_b64 exec, exec, s[8:9]
	s_and_saveexec_b64 s[8:9], s[4:5]
	s_cbranch_execnz .LBB152_43
	s_branch .LBB152_44
.LBB152_75:
	v_add_u32_e32 v13, v12, v4
	v_mov_b32_e32 v14, 0
	v_lshlrev_b64 v[13:14], 1, v[13:14]
	s_waitcnt lgkmcnt(0)
	v_mov_b32_e32 v15, s13
	v_add_co_u32_e64 v13, s[6:7], s12, v13
	v_addc_co_u32_e64 v14, s[6:7], v15, v14, s[6:7]
	global_store_short_d16_hi v[13:14], v11, off
	s_or_b64 exec, exec, s[8:9]
	s_and_saveexec_b64 s[8:9], s[0:1]
	s_cbranch_execz .LBB152_47
.LBB152_76:
	v_add_u32_e32 v13, v12, v5
	v_mov_b32_e32 v14, 0
	v_lshlrev_b64 v[13:14], 1, v[13:14]
	s_waitcnt lgkmcnt(0)
	v_mov_b32_e32 v11, s13
	v_add_co_u32_e64 v13, s[6:7], s12, v13
	v_addc_co_u32_e64 v14, s[6:7], v11, v14, s[6:7]
	global_store_short_d16_hi v[13:14], v10, off
	s_or_b64 exec, exec, s[8:9]
	s_and_saveexec_b64 s[8:9], s[2:3]
	s_cbranch_execz .LBB152_48
.LBB152_77:
	v_add_u32_e32 v10, v12, v6
	v_mov_b32_e32 v11, 0
	v_lshlrev_b64 v[10:11], 1, v[10:11]
	s_waitcnt lgkmcnt(0)
	v_mov_b32_e32 v13, s13
	v_add_co_u32_e64 v10, s[6:7], s12, v10
	v_addc_co_u32_e64 v11, s[6:7], v13, v11, s[6:7]
	global_store_short_d16_hi v[10:11], v9, off
	s_or_b64 exec, exec, s[8:9]
	s_and_saveexec_b64 s[8:9], s[4:5]
	s_cbranch_execnz .LBB152_49
	s_branch .LBB152_50
.LBB152_78:
	v_add_u32_e32 v9, v8, v4
	v_mov_b32_e32 v10, 0
	v_lshlrev_b64 v[9:10], 1, v[9:10]
	s_waitcnt lgkmcnt(0)
	v_mov_b32_e32 v11, s13
	v_add_co_u32_e64 v9, s[6:7], s12, v9
	v_addc_co_u32_e64 v10, s[6:7], v11, v10, s[6:7]
	global_store_short v[9:10], v3, off
	s_or_b64 exec, exec, s[8:9]
	s_and_saveexec_b64 s[8:9], s[0:1]
	s_cbranch_execz .LBB152_53
.LBB152_79:
	v_add_u32_e32 v9, v8, v5
	v_mov_b32_e32 v10, 0
	v_lshlrev_b64 v[9:10], 1, v[9:10]
	s_waitcnt lgkmcnt(0)
	v_mov_b32_e32 v11, s13
	v_add_co_u32_e64 v9, s[6:7], s12, v9
	v_addc_co_u32_e64 v10, s[6:7], v11, v10, s[6:7]
	global_store_short v[9:10], v2, off
	s_or_b64 exec, exec, s[8:9]
	s_and_saveexec_b64 s[8:9], s[2:3]
	s_cbranch_execz .LBB152_54
.LBB152_80:
	v_add_u32_e32 v9, v8, v6
	v_mov_b32_e32 v10, 0
	v_lshlrev_b64 v[9:10], 1, v[9:10]
	s_waitcnt lgkmcnt(0)
	v_mov_b32_e32 v11, s13
	v_add_co_u32_e64 v9, s[6:7], s12, v9
	v_addc_co_u32_e64 v10, s[6:7], v11, v10, s[6:7]
	global_store_short v[9:10], v1, off
	s_or_b64 exec, exec, s[8:9]
	s_and_saveexec_b64 s[8:9], s[4:5]
	s_cbranch_execnz .LBB152_55
	s_branch .LBB152_56
.LBB152_81:
	v_add_u32_e32 v9, v8, v4
	v_mov_b32_e32 v10, 0
	v_lshlrev_b64 v[9:10], 1, v[9:10]
	s_waitcnt lgkmcnt(0)
	v_mov_b32_e32 v4, s13
	v_add_co_u32_e32 v9, vcc, s12, v9
	v_addc_co_u32_e32 v10, vcc, v4, v10, vcc
	global_store_short_d16_hi v[9:10], v3, off
	s_or_b64 exec, exec, s[6:7]
	s_and_saveexec_b64 s[6:7], s[0:1]
	s_cbranch_execz .LBB152_59
.LBB152_82:
	v_add_u32_e32 v3, v8, v5
	v_mov_b32_e32 v4, 0
	v_lshlrev_b64 v[3:4], 1, v[3:4]
	s_waitcnt lgkmcnt(0)
	v_mov_b32_e32 v5, s13
	v_add_co_u32_e32 v3, vcc, s12, v3
	v_addc_co_u32_e32 v4, vcc, v5, v4, vcc
	global_store_short_d16_hi v[3:4], v2, off
	s_or_b64 exec, exec, s[6:7]
	s_and_saveexec_b64 s[0:1], s[2:3]
	s_cbranch_execz .LBB152_60
.LBB152_83:
	v_add_u32_e32 v2, v8, v6
	v_mov_b32_e32 v3, 0
	v_lshlrev_b64 v[2:3], 1, v[2:3]
	s_waitcnt lgkmcnt(0)
	v_mov_b32_e32 v4, s13
	v_add_co_u32_e32 v2, vcc, s12, v2
	v_addc_co_u32_e32 v3, vcc, v4, v3, vcc
	global_store_short_d16_hi v[2:3], v1, off
	s_or_b64 exec, exec, s[0:1]
	s_and_b64 exec, exec, s[4:5]
	s_cbranch_execnz .LBB152_61
	s_branch .LBB152_62
	.section	.rodata,"a",@progbits
	.p2align	6, 0x0
	.amdhsa_kernel _ZL12mul_mat_q4_KIN3c104HalfELb1EEvPKvS3_PT_iiiii
		.amdhsa_group_segment_fixed_size 28752
		.amdhsa_private_segment_fixed_size 676
		.amdhsa_kernarg_size 44
		.amdhsa_user_sgpr_count 6
		.amdhsa_user_sgpr_private_segment_buffer 1
		.amdhsa_user_sgpr_dispatch_ptr 0
		.amdhsa_user_sgpr_queue_ptr 0
		.amdhsa_user_sgpr_kernarg_segment_ptr 1
		.amdhsa_user_sgpr_dispatch_id 0
		.amdhsa_user_sgpr_flat_scratch_init 0
		.amdhsa_user_sgpr_private_segment_size 0
		.amdhsa_uses_dynamic_stack 0
		.amdhsa_system_sgpr_private_segment_wavefront_offset 1
		.amdhsa_system_sgpr_workgroup_id_x 1
		.amdhsa_system_sgpr_workgroup_id_y 1
		.amdhsa_system_sgpr_workgroup_id_z 0
		.amdhsa_system_sgpr_workgroup_info 0
		.amdhsa_system_vgpr_workitem_id 1
		.amdhsa_next_free_vgpr 128
		.amdhsa_next_free_sgpr 98
		.amdhsa_reserve_vcc 1
		.amdhsa_reserve_flat_scratch 0
		.amdhsa_float_round_mode_32 0
		.amdhsa_float_round_mode_16_64 0
		.amdhsa_float_denorm_mode_32 3
		.amdhsa_float_denorm_mode_16_64 3
		.amdhsa_dx10_clamp 1
		.amdhsa_ieee_mode 1
		.amdhsa_fp16_overflow 0
		.amdhsa_exception_fp_ieee_invalid_op 0
		.amdhsa_exception_fp_denorm_src 0
		.amdhsa_exception_fp_ieee_div_zero 0
		.amdhsa_exception_fp_ieee_overflow 0
		.amdhsa_exception_fp_ieee_underflow 0
		.amdhsa_exception_fp_ieee_inexact 0
		.amdhsa_exception_int_div_zero 0
	.end_amdhsa_kernel
	.section	.text._ZL12mul_mat_q4_KIN3c104HalfELb1EEvPKvS3_PT_iiiii,"axG",@progbits,_ZL12mul_mat_q4_KIN3c104HalfELb1EEvPKvS3_PT_iiiii,comdat
.Lfunc_end152:
	.size	_ZL12mul_mat_q4_KIN3c104HalfELb1EEvPKvS3_PT_iiiii, .Lfunc_end152-_ZL12mul_mat_q4_KIN3c104HalfELb1EEvPKvS3_PT_iiiii
                                        ; -- End function
	.set _ZL12mul_mat_q4_KIN3c104HalfELb1EEvPKvS3_PT_iiiii.num_vgpr, 128
	.set _ZL12mul_mat_q4_KIN3c104HalfELb1EEvPKvS3_PT_iiiii.num_agpr, 0
	.set _ZL12mul_mat_q4_KIN3c104HalfELb1EEvPKvS3_PT_iiiii.numbered_sgpr, 24
	.set _ZL12mul_mat_q4_KIN3c104HalfELb1EEvPKvS3_PT_iiiii.num_named_barrier, 0
	.set _ZL12mul_mat_q4_KIN3c104HalfELb1EEvPKvS3_PT_iiiii.private_seg_size, 676
	.set _ZL12mul_mat_q4_KIN3c104HalfELb1EEvPKvS3_PT_iiiii.uses_vcc, 1
	.set _ZL12mul_mat_q4_KIN3c104HalfELb1EEvPKvS3_PT_iiiii.uses_flat_scratch, 0
	.set _ZL12mul_mat_q4_KIN3c104HalfELb1EEvPKvS3_PT_iiiii.has_dyn_sized_stack, 0
	.set _ZL12mul_mat_q4_KIN3c104HalfELb1EEvPKvS3_PT_iiiii.has_recursion, 0
	.set _ZL12mul_mat_q4_KIN3c104HalfELb1EEvPKvS3_PT_iiiii.has_indirect_call, 0
	.section	.AMDGPU.csdata,"",@progbits
; Kernel info:
; codeLenInByte = 27076
; TotalNumSgprs: 28
; NumVgprs: 128
; ScratchSize: 676
; MemoryBound: 0
; FloatMode: 240
; IeeeMode: 1
; LDSByteSize: 28752 bytes/workgroup (compile time only)
; SGPRBlocks: 12
; VGPRBlocks: 31
; NumSGPRsForWavesPerEU: 102
; NumVGPRsForWavesPerEU: 128
; Occupancy: 2
; WaveLimiterHint : 0
; COMPUTE_PGM_RSRC2:SCRATCH_EN: 1
; COMPUTE_PGM_RSRC2:USER_SGPR: 6
; COMPUTE_PGM_RSRC2:TRAP_HANDLER: 0
; COMPUTE_PGM_RSRC2:TGID_X_EN: 1
; COMPUTE_PGM_RSRC2:TGID_Y_EN: 1
; COMPUTE_PGM_RSRC2:TGID_Z_EN: 0
; COMPUTE_PGM_RSRC2:TIDIG_COMP_CNT: 1
	.section	.text._ZL12mul_mat_q5_KIN3c104HalfELb0EEvPKvS3_PT_iiiii,"axG",@progbits,_ZL12mul_mat_q5_KIN3c104HalfELb0EEvPKvS3_PT_iiiii,comdat
	.globl	_ZL12mul_mat_q5_KIN3c104HalfELb0EEvPKvS3_PT_iiiii ; -- Begin function _ZL12mul_mat_q5_KIN3c104HalfELb0EEvPKvS3_PT_iiiii
	.p2align	8
	.type	_ZL12mul_mat_q5_KIN3c104HalfELb0EEvPKvS3_PT_iiiii,@function
_ZL12mul_mat_q5_KIN3c104HalfELb0EEvPKvS3_PT_iiiii: ; @_ZL12mul_mat_q5_KIN3c104HalfELb0EEvPKvS3_PT_iiiii
; %bb.0:
	s_load_dword s14, s[4:5], 0x18
	s_load_dwordx4 s[8:11], s[4:5], 0x20
	s_waitcnt lgkmcnt(0)
	s_lshl_b32 s11, s7, 6
	v_add_u32_e32 v103, s11, v1
	s_cmpk_gt_i32 s14, 0xff
	s_cbranch_scc1 .LBB153_2
; %bb.1:
	v_add_u32_e32 v6, s11, v1
	s_mov_b64 s[0:1], 0
	s_branch .LBB153_3
.LBB153_2:
	s_mov_b64 s[0:1], -1
                                        ; implicit-def: $vgpr6
.LBB153_3:
	s_load_dwordx2 s[12:13], s[4:5], 0x10
	s_lshl_b32 s6, s6, 7
	s_mov_b32 s7, 0
	v_mov_b32_e32 v2, 0
	s_andn2_b64 vcc, exec, s[0:1]
	v_mov_b32_e32 v13, 0
	v_mov_b32_e32 v23, 0
	;; [unrolled: 1-line block ×15, first 2 shown]
	s_cbranch_vccnz .LBB153_11
; %bb.4:
	s_load_dwordx4 s[0:3], s[4:5], 0x0
	s_ashr_i32 s4, s14, 31
	s_lshr_b32 s4, s4, 24
	s_add_i32 s14, s14, s4
	s_ashr_i32 s5, s9, 31
	s_ashr_i32 s4, s14, 8
	s_lshr_b32 s5, s5, 27
	s_add_i32 s5, s9, s5
	s_mul_i32 s9, s4, s6
	s_ashr_i32 s15, s5, 5
	s_mul_hi_i32 s14, s9, 0xb0
	s_mulk_i32 s9, 0xb0
	v_and_b32_e32 v3, 7, v0
	s_waitcnt lgkmcnt(0)
	s_add_u32 s9, s0, s9
	v_lshlrev_b32_e32 v6, 3, v0
	v_lshlrev_b32_e32 v3, 2, v3
	s_movk_i32 s0, 0xc0
	s_addc_u32 s14, s1, s14
	v_mul_u32_u24_e32 v5, 0x41, v1
	v_and_or_b32 v3, v6, s0, v3
	s_lshl_b32 s0, s4, 3
	v_lshl_add_u32 v110, v5, 2, v3
	v_mov_b32_e32 v3, s0
	v_mad_i32_i24 v111, s4, v1, v3
	v_add_u32_e32 v112, s0, v111
	v_add_u32_e32 v113, s0, v112
	;; [unrolled: 1-line block ×4, first 2 shown]
	v_lshlrev_b32_e32 v126, 5, v1
	v_add_u32_e32 v116, s0, v115
	v_add_u32_e32 v3, v126, v0
	v_add_u32_e32 v117, s0, v116
	v_and_b32_e32 v5, 0x7f, v3
	v_lshrrev_b32_e32 v3, 3, v3
	v_add_u32_e32 v118, s0, v117
	v_mul_i32_i24_e32 v127, s4, v5
	v_and_b32_e32 v3, 12, v3
	v_lshlrev_b32_e32 v5, 2, v5
	s_mov_b32 s16, 0xae40
	v_add_u32_e32 v119, s0, v118
	v_add3_u32 v128, v5, v3, s16
	v_and_b32_e32 v3, 3, v0
	v_add_u32_e32 v120, s0, v119
	v_add_u32_e32 v6, 0xfe, v3
	;; [unrolled: 1-line block ×3, first 2 shown]
	v_and_b32_e32 v6, 0xff, v6
	v_cmp_gt_u32_e32 vcc, 2, v3
	v_lshrrev_b32_e32 v4, 2, v0
	v_add_u32_e32 v122, s0, v121
	v_lshlrev_b32_e32 v5, 3, v1
	v_cndmask_b32_e32 v6, v6, v3, vcc
	v_cmp_ne_u32_e32 vcc, 0, v3
	v_lshlrev_b32_e32 v105, 2, v0
	v_and_b32_e32 v108, 6, v4
	v_add_u32_e32 v123, s0, v122
	v_add_u32_e32 v8, v4, v5
	v_addc_co_u32_e32 v25, vcc, 0, v6, vcc
	v_add_u16_e32 v4, v4, v5
	v_add_u32_e32 v124, s0, v123
	v_and_b32_e32 v7, 4, v105
	v_cmp_lt_u32_e32 vcc, 1, v3
	v_lshlrev_b32_e32 v130, 1, v6
	v_and_b32_e32 v6, 0x7f, v8
	v_lshlrev_b32_e32 v14, 2, v3
	v_lshrrev_b16_e32 v4, 1, v4
	v_add_u32_e32 v125, s0, v124
	v_cndmask_b32_e32 v129, 0, v7, vcc
	v_lshl_or_b32 v7, v6, 4, v14
	v_and_b32_e32 v4, 60, v4
	s_mov_b32 s0, 0xa200
	v_add3_u32 v132, v7, v4, s0
	v_xor_b32_e32 v4, 64, v6
	v_mul_i32_i24_e32 v133, s4, v4
	v_lshl_or_b32 v5, v4, 4, v14
	v_lshrrev_b32_e32 v4, 1, v4
	v_and_b32_e32 v4, 60, v4
	v_add3_u32 v134, v5, v4, s0
	s_add_i32 s0, s8, -1
	v_mul_i32_i24_e32 v131, s4, v6
	v_cvt_f64_i32_e32 v[6:7], s0
	v_cvt_f64_u32_e32 v[4:5], v103
	v_and_b32_e32 v9, 31, v0
	v_mov_b32_e32 v10, 0x8200
	v_lshl_or_b32 v27, v9, 2, v10
	v_and_b32_e32 v15, 63, v8
	v_min_f64 v[8:9], v[4:5], v[6:7]
	v_add_u32_e32 v4, 8, v103
	v_cvt_f64_u32_e32 v[4:5], v4
	v_or_b32_e32 v12, s11, v15
	v_min_i32_e32 v16, s0, v12
	v_add_u32_e32 v10, 16, v103
	v_min_f64 v[12:13], v[4:5], v[6:7]
	v_cvt_f64_u32_e32 v[10:11], v10
	v_mad_u64_u32 v[4:5], s[0:1], v16, s15, v[3:4]
	v_lshl_or_b32 v3, v15, 4, v14
	v_min_f64 v[10:11], v[10:11], v[6:7]
	v_add_u32_e32 v135, 0xaa40, v3
	v_cvt_i32_f64_e32 v5, v[8:9]
	v_cvt_i32_f64_e32 v3, v[12:13]
	v_lshrrev_b32_e32 v104, 5, v0
	s_movk_i32 s0, 0x104
	v_mul_lo_u32 v137, s15, v5
	v_mul_lo_u32 v138, s15, v3
	v_add_u32_e32 v3, 24, v103
	v_cvt_f64_u32_e32 v[8:9], v3
	v_add_u32_e32 v3, 32, v103
	v_cvt_i32_f64_e32 v5, v[10:11]
	v_cvt_f64_u32_e32 v[10:11], v3
	v_add_u32_e32 v3, 40, v103
	v_cvt_f64_u32_e32 v[12:13], v3
	v_min_f64 v[8:9], v[8:9], v[6:7]
	v_add_u32_e32 v3, 48, v103
	v_cvt_f64_u32_e32 v[14:15], v3
	v_add_u32_e32 v3, 56, v103
	v_min_f64 v[12:13], v[12:13], v[6:7]
	v_cvt_f64_u32_e32 v[16:17], v3
	v_mul_lo_u32 v139, s15, v5
	v_min_f64 v[10:11], v[10:11], v[6:7]
	v_cvt_i32_f64_e32 v3, v[8:9]
	v_min_f64 v[8:9], v[14:15], v[6:7]
	v_min_f64 v[5:6], v[16:17], v[6:7]
	v_and_b32_e32 v107, 28, v105
	v_mul_lo_u32 v140, s15, v3
	v_cvt_i32_f64_e32 v3, v[12:13]
	v_mov_b32_e32 v2, 0
	v_cvt_i32_f64_e32 v10, v[10:11]
	v_add_u32_e32 v18, 8, v1
	v_mul_lo_u32 v142, s15, v3
	v_cvt_i32_f64_e32 v3, v[5:6]
	v_cvt_i32_f64_e32 v8, v[8:9]
	v_add_u32_e32 v19, 16, v1
	v_add_u32_e32 v20, 24, v1
	v_mul_lo_u32 v144, s15, v3
	v_lshlrev_b32_e32 v3, 2, v104
	v_add3_u32 v145, v105, v3, s16
	v_add_u32_e32 v3, 32, v0
	v_lshrrev_b32_e32 v146, 3, v3
	v_lshlrev_b32_e32 v9, 2, v3
	v_and_b32_e32 v3, 60, v146
	v_add3_u32 v147, v105, v3, s16
	v_add_u32_e32 v3, 64, v0
	v_lshrrev_b32_e32 v148, 3, v3
	v_lshlrev_b32_e32 v11, 2, v3
	v_and_b32_e32 v3, 60, v148
	;; [unrolled: 5-line block ×3, first 2 shown]
	v_add3_u32 v151, v105, v3, s16
	v_mov_b32_e32 v3, 0x2080
	v_mad_u32_u24 v160, v0, s0, v3
	v_mov_b32_e32 v3, 0x4100
	v_mad_u32_u24 v161, v0, s0, v3
	v_mov_b32_e32 v3, 0x6180
	v_add_u32_e32 v21, 32, v1
	v_add_u32_e32 v22, 40, v1
	v_add_u32_e32 v23, 48, v1
	v_add_u32_e32 v24, 56, v1
	v_cndmask_b32_e64 v26, 0, 1, vcc
	v_mul_lo_u32 v141, s15, v10
	v_mul_lo_u32 v143, s15, v8
	v_mad_u32_u24 v162, v0, s0, v3
	v_mov_b32_e32 v3, s3
	v_add_co_u32_e32 v13, vcc, s2, v107
	v_lshlrev_b32_e32 v28, 7, v1
	v_lshlrev_b32_e32 v29, 7, v18
	;; [unrolled: 1-line block ×8, first 2 shown]
	v_addc_co_u32_e32 v14, vcc, 0, v3, vcc
	v_mov_b32_e32 v3, v2
	v_lshlrev_b32_e32 v152, 5, v18
	v_lshlrev_b32_e32 v153, 5, v19
	;; [unrolled: 1-line block ×9, first 2 shown]
	v_add_u32_e32 v165, v27, v28
	v_add_u32_e32 v166, v27, v29
	;; [unrolled: 1-line block ×8, first 2 shown]
	v_lshlrev_b32_e32 v184, 2, v9
	v_lshlrev_b32_e32 v185, 2, v11
	;; [unrolled: 1-line block ×3, first 2 shown]
	v_mov_b32_e32 v24, v3
	v_mov_b32_e32 v16, v3
	;; [unrolled: 1-line block ×15, first 2 shown]
	s_movk_i32 s5, 0xb0
	v_and_b32_e32 v106, 0x7c, v105
	v_or_b32_e32 v109, 1, v108
	v_lshrrev_b32_e32 v136, 3, v0
	v_mul_u32_u24_e32 v159, 0x104, v0
	s_mov_b32 s15, 0x10101010
	s_mov_b32 s16, 0x30303030
	v_add_u32_e32 v173, 0x2800, v110
	v_add_u32_e32 v174, 0x3000, v110
	;; [unrolled: 1-line block ×11, first 2 shown]
	v_mov_b32_e32 v23, v2
	v_mov_b32_e32 v15, v2
	;; [unrolled: 1-line block ×15, first 2 shown]
.LBB153_5:                              ; =>This Loop Header: Depth=1
                                        ;     Child Loop BB153_6 Depth 2
                                        ;     Child Loop BB153_8 Depth 2
	s_mul_i32 s0, s7, 0xb0
	s_mul_hi_u32 s1, s7, 0xb0
	s_add_u32 s0, s9, s0
	s_addc_u32 s1, s14, s1
	v_mov_b32_e32 v38, s1
	v_mov_b32_e32 v37, s0
	v_mad_u64_u32 v[39:40], s[0:1], v104, s5, v[37:38]
	v_mul_i32_i24_e32 v41, s4, v1
	s_lshl_b32 s17, s7, 3
	v_mad_u64_u32 v[41:42], s[0:1], v41, s5, v[39:40]
	v_mad_u64_u32 v[45:46], s[0:1], v111, s5, v[39:40]
	v_add_co_u32_e32 v43, vcc, v41, v106
	v_addc_co_u32_e32 v44, vcc, 0, v42, vcc
	v_add_co_u32_e32 v41, vcc, v41, v107
	v_addc_co_u32_e32 v42, vcc, 0, v42, vcc
	;; [unrolled: 2-line block ×3, first 2 shown]
	global_load_dword v51, v[43:44], off offset:48
	global_load_dword v52, v[41:42], off offset:16
	;; [unrolled: 1-line block ×3, first 2 shown]
	v_add_co_u32_e32 v41, vcc, v45, v107
	v_addc_co_u32_e32 v42, vcc, 0, v46, vcc
	global_load_dword v54, v[41:42], off offset:16
	v_mad_u64_u32 v[41:42], s[0:1], v112, s5, v[39:40]
	v_mad_u64_u32 v[43:44], s[0:1], v113, s5, v[39:40]
	v_add_co_u32_e32 v47, vcc, v41, v106
	v_addc_co_u32_e32 v48, vcc, 0, v42, vcc
	v_add_co_u32_e32 v41, vcc, v41, v107
	v_addc_co_u32_e32 v42, vcc, 0, v42, vcc
	global_load_dword v55, v[47:48], off offset:48
	global_load_dword v56, v[41:42], off offset:16
	v_add_co_u32_e32 v47, vcc, v43, v106
	v_addc_co_u32_e32 v48, vcc, 0, v44, vcc
	v_add_co_u32_e32 v43, vcc, v43, v107
	global_load_dword v57, v[47:48], off offset:48
	v_addc_co_u32_e32 v44, vcc, 0, v44, vcc
	global_load_dword v58, v[43:44], off offset:16
	v_mad_u64_u32 v[45:46], s[0:1], v114, s5, v[39:40]
	v_mad_u64_u32 v[41:42], s[0:1], v115, s5, v[39:40]
	v_add_co_u32_e32 v47, vcc, v45, v106
	v_addc_co_u32_e32 v48, vcc, 0, v46, vcc
	v_add_co_u32_e32 v45, vcc, v45, v107
	v_addc_co_u32_e32 v46, vcc, 0, v46, vcc
	v_mad_u64_u32 v[43:44], s[0:1], v116, s5, v[39:40]
	v_add_co_u32_e32 v49, vcc, v41, v106
	global_load_dword v47, v[47:48], off offset:48
	s_nop 0
	global_load_dword v48, v[45:46], off offset:16
	v_addc_co_u32_e32 v50, vcc, 0, v42, vcc
	v_add_co_u32_e32 v41, vcc, v41, v107
	v_addc_co_u32_e32 v42, vcc, 0, v42, vcc
	v_add_u32_e32 v192, s17, v4
	s_mov_b32 s18, 0
	s_waitcnt vmcnt(9)
	v_and_b32_e32 v45, 0xf0f0f0f, v51
	v_lshrrev_b32_e32 v46, 4, v51
	s_waitcnt vmcnt(8)
	v_ashrrev_i32_e32 v51, v108, v52
	v_ashrrev_i32_e32 v52, v109, v52
	v_and_b32_e32 v46, 0xf0f0f0f, v46
	v_lshlrev_b32_e32 v51, 4, v51
	v_lshlrev_b32_e32 v52, 4, v52
	v_and_or_b32 v45, v51, s15, v45
	v_and_or_b32 v46, v52, s15, v46
	ds_write2_b32 v110, v45, v46 offset1:8
	global_load_dword v49, v[49:50], off offset:48
	s_nop 0
	global_load_dword v50, v[41:42], off offset:16
	v_add_co_u32_e32 v41, vcc, v43, v106
	v_mad_u64_u32 v[45:46], s[0:1], v117, s5, v[39:40]
	s_waitcnt vmcnt(8)
	v_ashrrev_i32_e32 v60, v108, v54
	v_addc_co_u32_e32 v42, vcc, 0, v44, vcc
	v_and_b32_e32 v59, 0xf0f0f0f, v53
	v_lshlrev_b32_e32 v60, 4, v60
	v_add_co_u32_e32 v43, vcc, v43, v107
	v_and_or_b32 v51, v60, s15, v59
	v_addc_co_u32_e32 v44, vcc, 0, v44, vcc
	global_load_dword v52, v[41:42], off offset:48
	global_load_dword v59, v[43:44], off offset:16
	v_add_co_u32_e32 v41, vcc, v45, v106
	v_lshrrev_b32_e32 v53, 4, v53
	v_ashrrev_i32_e32 v54, v109, v54
	v_addc_co_u32_e32 v42, vcc, 0, v46, vcc
	v_and_b32_e32 v53, 0xf0f0f0f, v53
	v_lshlrev_b32_e32 v54, 4, v54
	v_add_co_u32_e32 v43, vcc, v45, v107
	v_addc_co_u32_e32 v44, vcc, 0, v46, vcc
	global_load_dword v60, v[41:42], off offset:48
	global_load_dword v61, v[43:44], off offset:16
	v_and_or_b32 v41, v54, s15, v53
	v_add_u32_e32 v42, 0x800, v110
	ds_write2_b32 v42, v51, v41 offset0:8 offset1:16
	s_waitcnt vmcnt(11)
	v_lshrrev_b32_e32 v42, 4, v55
	s_waitcnt vmcnt(10)
	v_ashrrev_i32_e32 v43, v108, v56
	v_ashrrev_i32_e32 v44, v109, v56
	v_and_b32_e32 v41, 0xf0f0f0f, v55
	v_and_b32_e32 v42, 0xf0f0f0f, v42
	v_lshlrev_b32_e32 v43, 4, v43
	v_lshlrev_b32_e32 v44, 4, v44
	v_and_or_b32 v41, v43, s15, v41
	v_and_or_b32 v42, v44, s15, v42
	v_add_u32_e32 v43, 0x1000, v110
	ds_write2_b32 v43, v41, v42 offset0:16 offset1:24
	s_waitcnt vmcnt(9)
	v_lshrrev_b32_e32 v41, 4, v57
	v_and_b32_e32 v51, 0xf0f0f0f, v41
	s_waitcnt vmcnt(8)
	v_ashrrev_i32_e32 v41, v108, v58
	v_lshlrev_b32_e32 v44, 4, v41
	v_mad_u64_u32 v[41:42], s[0:1], v118, s5, v[39:40]
	v_and_b32_e32 v43, 0xf0f0f0f, v57
	v_ashrrev_i32_e32 v45, v109, v58
	v_lshlrev_b32_e32 v53, 4, v45
	v_and_or_b32 v54, v44, s15, v43
	v_add_co_u32_e32 v43, vcc, v41, v106
	v_mad_u64_u32 v[45:46], s[0:1], v119, s5, v[39:40]
	v_addc_co_u32_e32 v44, vcc, 0, v42, vcc
	v_add_co_u32_e32 v41, vcc, v41, v107
	v_addc_co_u32_e32 v42, vcc, 0, v42, vcc
	global_load_dword v55, v[43:44], off offset:48
	global_load_dword v56, v[41:42], off offset:16
	v_add_co_u32_e32 v41, vcc, v45, v106
	v_addc_co_u32_e32 v42, vcc, 0, v46, vcc
	v_add_co_u32_e32 v43, vcc, v45, v107
	v_addc_co_u32_e32 v44, vcc, 0, v46, vcc
	global_load_dword v57, v[41:42], off offset:48
	global_load_dword v58, v[43:44], off offset:16
	v_and_or_b32 v41, v53, s15, v51
	v_add_u32_e32 v42, 0x1800, v110
	ds_write2_b32 v42, v54, v41 offset0:24 offset1:32
	s_waitcnt vmcnt(11)
	v_lshrrev_b32_e32 v42, 4, v47
	s_waitcnt vmcnt(10)
	v_ashrrev_i32_e32 v43, v108, v48
	v_ashrrev_i32_e32 v44, v109, v48
	v_and_b32_e32 v41, 0xf0f0f0f, v47
	v_and_b32_e32 v42, 0xf0f0f0f, v42
	v_lshlrev_b32_e32 v43, 4, v43
	v_lshlrev_b32_e32 v44, 4, v44
	v_and_or_b32 v41, v43, s15, v41
	v_and_or_b32 v42, v44, s15, v42
	v_add_u32_e32 v43, 0x2000, v110
	ds_write2_b32 v43, v41, v42 offset0:32 offset1:40
	s_waitcnt vmcnt(9)
	v_lshrrev_b32_e32 v42, 4, v49
	s_waitcnt vmcnt(8)
	v_ashrrev_i32_e32 v43, v108, v50
	v_ashrrev_i32_e32 v44, v109, v50
	v_and_b32_e32 v41, 0xf0f0f0f, v49
	v_and_b32_e32 v42, 0xf0f0f0f, v42
	v_lshlrev_b32_e32 v43, 4, v43
	v_lshlrev_b32_e32 v44, 4, v44
	v_and_or_b32 v41, v43, s15, v41
	v_and_or_b32 v42, v44, s15, v42
	ds_write2_b32 v173, v41, v42 offset0:40 offset1:48
	s_waitcnt vmcnt(7)
	v_lshrrev_b32_e32 v42, 4, v52
	s_waitcnt vmcnt(6)
	v_ashrrev_i32_e32 v43, v108, v59
	v_ashrrev_i32_e32 v44, v109, v59
	v_and_b32_e32 v41, 0xf0f0f0f, v52
	v_and_b32_e32 v42, 0xf0f0f0f, v42
	v_lshlrev_b32_e32 v43, 4, v43
	v_lshlrev_b32_e32 v44, 4, v44
	v_and_or_b32 v41, v43, s15, v41
	v_and_or_b32 v42, v44, s15, v42
	ds_write2_b32 v174, v41, v42 offset0:48 offset1:56
	s_waitcnt vmcnt(5)
	v_lshrrev_b32_e32 v42, 4, v60
	v_and_b32_e32 v43, 0xf0f0f0f, v42
	s_waitcnt vmcnt(4)
	v_ashrrev_i32_e32 v42, v108, v61
	v_and_b32_e32 v41, 0xf0f0f0f, v60
	v_lshlrev_b32_e32 v42, 4, v42
	v_and_or_b32 v45, v42, s15, v41
	v_mad_u64_u32 v[41:42], s[0:1], v120, s5, v[39:40]
	v_ashrrev_i32_e32 v44, v109, v61
	v_lshlrev_b32_e32 v44, 4, v44
	v_and_or_b32 v43, v44, s15, v43
	ds_write2_b32 v175, v45, v43 offset0:56 offset1:64
	v_add_co_u32_e32 v43, vcc, v41, v106
	v_mad_u64_u32 v[45:46], s[0:1], v121, s5, v[39:40]
	v_addc_co_u32_e32 v44, vcc, 0, v42, vcc
	v_add_co_u32_e32 v41, vcc, v41, v107
	v_addc_co_u32_e32 v42, vcc, 0, v42, vcc
	v_add_co_u32_e32 v47, vcc, v45, v106
	;; [unrolled: 2-line block ×3, first 2 shown]
	v_addc_co_u32_e32 v46, vcc, 0, v46, vcc
	global_load_dword v59, v[43:44], off offset:48
	global_load_dword v60, v[41:42], off offset:16
	;; [unrolled: 1-line block ×4, first 2 shown]
	v_mad_u64_u32 v[49:50], s[0:1], v124, s5, v[39:40]
	s_waitcnt vmcnt(7)
	v_lshrrev_b32_e32 v42, 4, v55
	s_waitcnt vmcnt(6)
	v_ashrrev_i32_e32 v43, v108, v56
	v_ashrrev_i32_e32 v44, v109, v56
	v_and_b32_e32 v41, 0xf0f0f0f, v55
	v_and_b32_e32 v42, 0xf0f0f0f, v42
	v_lshlrev_b32_e32 v43, 4, v43
	v_lshlrev_b32_e32 v44, 4, v44
	v_and_or_b32 v41, v43, s15, v41
	v_and_or_b32 v42, v44, s15, v42
	ds_write2_b32 v176, v41, v42 offset0:64 offset1:72
	s_waitcnt vmcnt(5)
	v_lshrrev_b32_e32 v42, 4, v57
	v_and_b32_e32 v43, 0xf0f0f0f, v42
	s_waitcnt vmcnt(4)
	v_ashrrev_i32_e32 v42, v108, v58
	v_and_b32_e32 v41, 0xf0f0f0f, v57
	v_lshlrev_b32_e32 v42, 4, v42
	v_and_or_b32 v45, v42, s15, v41
	v_mad_u64_u32 v[41:42], s[0:1], v122, s5, v[39:40]
	v_ashrrev_i32_e32 v44, v109, v58
	v_lshlrev_b32_e32 v44, 4, v44
	v_and_or_b32 v43, v44, s15, v43
	ds_write2_b32 v177, v45, v43 offset0:72 offset1:80
	v_add_co_u32_e32 v43, vcc, v41, v106
	v_mad_u64_u32 v[45:46], s[0:1], v123, s5, v[39:40]
	v_addc_co_u32_e32 v44, vcc, 0, v42, vcc
	v_add_co_u32_e32 v41, vcc, v41, v107
	v_addc_co_u32_e32 v42, vcc, 0, v42, vcc
	v_add_co_u32_e32 v47, vcc, v45, v106
	;; [unrolled: 2-line block ×4, first 2 shown]
	v_mad_u64_u32 v[39:40], s[0:1], v125, s5, v[39:40]
	v_addc_co_u32_e32 v52, vcc, 0, v50, vcc
	v_add_co_u32_e32 v49, vcc, v49, v107
	v_addc_co_u32_e32 v50, vcc, 0, v50, vcc
	v_add_co_u32_e32 v53, vcc, v39, v106
	;; [unrolled: 2-line block ×3, first 2 shown]
	v_addc_co_u32_e32 v40, vcc, 0, v40, vcc
	global_load_dword v55, v[43:44], off offset:48
	global_load_dword v56, v[41:42], off offset:16
	;; [unrolled: 1-line block ×8, first 2 shown]
	v_mad_u64_u32 v[39:40], s[0:1], v131, s5, v[37:38]
	v_mad_u64_u32 v[41:42], s[0:1], v127, s5, v[37:38]
	v_add_co_u32_e32 v43, vcc, v39, v163
	v_mad_u64_u32 v[37:38], s[0:1], v133, s5, v[37:38]
	v_addc_co_u32_e32 v44, vcc, 0, v40, vcc
	v_add_co_u32_e32 v39, vcc, v39, v164
	v_addc_co_u32_e32 v40, vcc, 0, v40, vcc
	v_add_co_u32_e32 v45, vcc, v37, v163
	;; [unrolled: 2-line block ×3, first 2 shown]
	v_add_u32_e32 v51, s17, v136
	v_addc_co_u32_e32 v38, vcc, 0, v38, vcc
	global_load_dword v67, v[41:42], off
	global_load_dword v68, v[43:44], off offset:4
	global_load_dword v69, v[39:40], off offset:4
	;; [unrolled: 1-line block ×4, first 2 shown]
	v_add_u32_e32 v37, v51, v137
	v_mad_i64_i32 v[37:38], s[0:1], v37, 36, v[13:14]
	v_add_u32_e32 v39, v51, v138
	v_mad_i64_i32 v[39:40], s[0:1], v39, 36, v[13:14]
	;; [unrolled: 2-line block ×3, first 2 shown]
	v_add_u32_e32 v43, v51, v140
	v_add_u32_e32 v45, v51, v141
	v_mad_i64_i32 v[43:44], s[0:1], v43, 36, v[13:14]
	v_mad_i64_i32 v[45:46], s[0:1], v45, 36, v[13:14]
	v_add_u32_e32 v47, v51, v142
	v_add_u32_e32 v49, v51, v143
	;; [unrolled: 1-line block ×3, first 2 shown]
	v_mad_i64_i32 v[47:48], s[0:1], v47, 36, v[13:14]
	v_mad_i64_i32 v[49:50], s[0:1], v49, 36, v[13:14]
	;; [unrolled: 1-line block ×3, first 2 shown]
	v_mad_u64_u32 v[53:54], s[0:1], v192, 36, s[2:3]
	global_load_dword v37, v[37:38], off offset:4
	s_nop 0
	global_load_dword v38, v[39:40], off offset:4
	s_nop 0
	global_load_dword v39, v[41:42], off offset:4
	global_load_dword v40, v[43:44], off offset:4
	s_nop 0
	global_load_dword v41, v[45:46], off offset:4
	global_load_dword v42, v[47:48], off offset:4
	;; [unrolled: 1-line block ×4, first 2 shown]
	s_nop 0
	global_load_dword v45, v[53:54], off
	s_waitcnt vmcnt(25)
	v_lshrrev_b32_e32 v47, 4, v59
	s_waitcnt vmcnt(24)
	v_ashrrev_i32_e32 v48, v108, v60
	v_ashrrev_i32_e32 v49, v109, v60
	v_and_b32_e32 v46, 0xf0f0f0f, v59
	v_and_b32_e32 v47, 0xf0f0f0f, v47
	v_lshlrev_b32_e32 v48, 4, v48
	v_lshlrev_b32_e32 v49, 4, v49
	v_and_or_b32 v46, v48, s15, v46
	v_and_or_b32 v47, v49, s15, v47
	ds_write2_b32 v178, v46, v47 offset0:80 offset1:88
	s_waitcnt vmcnt(23)
	v_lshrrev_b32_e32 v47, 4, v61
	s_waitcnt vmcnt(22)
	v_ashrrev_i32_e32 v48, v108, v62
	v_ashrrev_i32_e32 v49, v109, v62
	v_and_b32_e32 v46, 0xf0f0f0f, v61
	v_and_b32_e32 v47, 0xf0f0f0f, v47
	v_lshlrev_b32_e32 v48, 4, v48
	v_lshlrev_b32_e32 v49, 4, v49
	v_and_or_b32 v46, v48, s15, v46
	v_and_or_b32 v47, v49, s15, v47
	ds_write2_b32 v179, v46, v47 offset0:88 offset1:96
	s_mov_b64 s[0:1], -1
	s_waitcnt vmcnt(21)
	v_lshrrev_b32_e32 v47, 4, v55
	s_waitcnt vmcnt(20)
	v_ashrrev_i32_e32 v48, v108, v56
	v_ashrrev_i32_e32 v49, v109, v56
	v_and_b32_e32 v46, 0xf0f0f0f, v55
	v_and_b32_e32 v47, 0xf0f0f0f, v47
	v_lshlrev_b32_e32 v48, 4, v48
	v_lshlrev_b32_e32 v49, 4, v49
	v_and_or_b32 v46, v48, s15, v46
	v_and_or_b32 v47, v49, s15, v47
	ds_write2_b32 v180, v46, v47 offset0:96 offset1:104
	s_waitcnt vmcnt(19)
	v_lshrrev_b32_e32 v47, 4, v57
	s_waitcnt vmcnt(18)
	v_ashrrev_i32_e32 v48, v108, v58
	v_ashrrev_i32_e32 v49, v109, v58
	v_and_b32_e32 v46, 0xf0f0f0f, v57
	v_and_b32_e32 v47, 0xf0f0f0f, v47
	v_lshlrev_b32_e32 v48, 4, v48
	v_lshlrev_b32_e32 v49, 4, v49
	v_and_or_b32 v46, v48, s15, v46
	v_and_or_b32 v47, v49, s15, v47
	ds_write2_b32 v181, v46, v47 offset0:104 offset1:112
	;; [unrolled: 12-line block ×4, first 2 shown]
	s_waitcnt vmcnt(13)
	ds_write_b32 v128, v67
	s_waitcnt vmcnt(12)
	v_ashrrev_i32_e32 v46, v129, v68
	v_and_b32_e32 v46, 0xf0f0f0f, v46
	s_waitcnt vmcnt(11)
	v_ashrrev_i32_e32 v47, v130, v69
	v_and_or_b32 v46, v47, s16, v46
	ds_write_b32 v132, v46
	s_waitcnt vmcnt(10)
	v_ashrrev_i32_e32 v46, v129, v70
	v_and_b32_e32 v46, 0xf0f0f0f, v46
	s_waitcnt vmcnt(9)
	v_ashrrev_i32_e32 v47, v130, v71
	v_and_or_b32 v46, v47, s16, v46
	ds_write_b32 v134, v46
	s_waitcnt vmcnt(8)
	ds_write_b32 v165, v37
	s_waitcnt vmcnt(7)
	ds_write_b32 v166, v38
	s_waitcnt vmcnt(6)
	ds_write_b32 v167, v39
	s_waitcnt vmcnt(5)
	ds_write_b32 v168, v40
	s_waitcnt vmcnt(4)
	ds_write_b32 v169, v41
	s_waitcnt vmcnt(3)
	ds_write_b32 v170, v42
	s_waitcnt vmcnt(2)
	ds_write_b32 v171, v43
	s_waitcnt vmcnt(1)
	ds_write_b32 v172, v44
	s_waitcnt vmcnt(0)
	ds_write_b32 v135, v45
	s_waitcnt lgkmcnt(0)
	s_barrier
	ds_read_b32 v37, v145
	ds_read_b32 v38, v147 offset:128
	ds_read_b32 v39, v149 offset:256
	ds_read_b32 v40, v151 offset:384
	s_waitcnt lgkmcnt(3)
	v_cvt_f32_f16_e32 v193, v37
	v_cvt_f32_f16_sdwa v194, v37 dst_sel:DWORD dst_unused:UNUSED_PAD src0_sel:WORD_1
	s_waitcnt lgkmcnt(2)
	v_cvt_f32_f16_e32 v195, v38
	v_cvt_f32_f16_sdwa v196, v38 dst_sel:DWORD dst_unused:UNUSED_PAD src0_sel:WORD_1
	;; [unrolled: 3-line block ×4, first 2 shown]
	v_mov_b32_e32 v201, v193
	v_mov_b32_e32 v202, v194
	;; [unrolled: 1-line block ×8, first 2 shown]
.LBB153_6:                              ;   Parent Loop BB153_5 Depth=1
                                        ; =>  This Inner Loop Header: Depth=2
	s_lshl_b32 s19, s18, 1
	s_lshr_b32 s20, s18, 2
	v_or_b32_e32 v37, s19, v126
	s_lshl_b32 s18, s18, 3
	v_lshlrev_b32_e32 v38, 2, v37
	v_lshrrev_b32_e32 v37, 1, v37
	v_add_u32_e32 v51, s18, v159
	ds_read_b128 v[87:90], v38 offset:33280
	ds_read_b128 v[91:94], v38 offset:33296
	;; [unrolled: 1-line block ×4, first 2 shown]
	ds_read_b64 v[101:102], v37 offset:43584
	ds_read2_b32 v[37:38], v51 offset1:1
	s_add_i32 s20, s20, 0xa200
	v_lshlrev_b32_e32 v187, 2, v136
	v_lshlrev_b32_e32 v188, 2, v105
	v_add3_u32 v45, s20, v187, v188
	s_waitcnt lgkmcnt(0)
	v_dot4_i32_i8 v39, v37, v87, 0
	v_dot4_i32_i8 v41, v38, v88, v39
	ds_read2_b32 v[39:40], v51 offset0:2 offset1:3
	v_add_u32_e32 v67, s18, v160
	v_lshlrev_b32_e32 v189, 2, v146
	v_add3_u32 v61, s20, v189, v184
	v_add_u32_e32 v83, s18, v161
	s_waitcnt lgkmcnt(0)
	v_dot4_i32_i8 v41, v39, v89, v41
	v_dot4_i32_i8 v43, v40, v90, v41
	ds_read2_b32 v[41:42], v51 offset0:4 offset1:5
	v_lshlrev_b32_e32 v190, 2, v148
	v_add3_u32 v77, s20, v190, v185
	v_add_u32_e32 v100, s18, v162
	v_lshlrev_b32_e32 v191, 2, v150
	s_waitcnt lgkmcnt(0)
	v_dot4_i32_i8 v43, v41, v91, v43
	v_dot4_i32_i8 v46, v42, v92, v43
	ds_read2_b32 v[43:44], v51 offset0:6 offset1:7
	ds_read_u16 v53, v45
	ds_read_u16 v54, v45 offset:8
	s_mov_b32 s18, 8
	s_and_b64 vcc, exec, s[0:1]
	s_mov_b64 s[0:1], 0
	s_waitcnt lgkmcnt(2)
	v_dot4_i32_i8 v46, v43, v93, v46
	v_dot4_i32_i8 v243, v44, v94, v46
	ds_read2_b32 v[45:46], v51 offset0:8 offset1:9
	s_waitcnt lgkmcnt(2)
	v_and_b32_e32 v210, 0xff, v53
	s_waitcnt lgkmcnt(1)
	v_cvt_f32_ubyte0_e32 v209, v54
	v_lshrrev_b16_e32 v212, 8, v53
	v_cvt_f32_ubyte1_e32 v211, v54
	ds_read2_b32 v[53:54], v67 offset1:1
	s_waitcnt lgkmcnt(1)
	v_dot4_i32_i8 v47, v45, v95, 0
	v_dot4_i32_i8 v49, v46, v96, v47
	ds_read2_b32 v[47:48], v51 offset0:10 offset1:11
	v_mul_lo_u32 v243, v243, v210
	v_fma_mix_f32 v254, v209, v101, 0 op_sel:[0,1,0] op_sel_hi:[0,1,0]
	s_waitcnt lgkmcnt(0)
	v_dot4_i32_i8 v49, v47, v97, v49
	v_dot4_i32_i8 v52, v48, v98, v49
	ds_read2_b32 v[49:50], v51 offset0:12 offset1:13
	v_cvt_f32_i32_e32 v243, v243
	s_waitcnt lgkmcnt(0)
	v_dot4_i32_i8 v52, v49, v223, v52
	v_dot4_i32_i8 v55, v50, v224, v52
	ds_read2_b32 v[51:52], v51 offset0:14 offset1:15
	v_fma_mix_f32 v243, v101, v243, 0 op_sel_hi:[1,0,0]
	s_waitcnt lgkmcnt(0)
	v_dot4_i32_i8 v55, v51, v225, v55
	v_dot4_i32_i8 v244, v52, v226, v55
	;; [unrolled: 1-line block ×4, first 2 shown]
	ds_read2_b32 v[55:56], v67 offset0:2 offset1:3
	v_mul_lo_u32 v244, v244, v212
	s_waitcnt lgkmcnt(0)
	v_dot4_i32_i8 v57, v55, v89, v57
	v_dot4_i32_i8 v59, v56, v90, v57
	ds_read2_b32 v[57:58], v67 offset0:4 offset1:5
	v_cvt_f32_i32_e32 v244, v244
	s_waitcnt lgkmcnt(0)
	v_dot4_i32_i8 v59, v57, v91, v59
	v_dot4_i32_i8 v62, v58, v92, v59
	ds_read2_b32 v[59:60], v67 offset0:6 offset1:7
	ds_read_u16 v69, v61
	ds_read_u16 v70, v61 offset:8
	v_fma_mix_f32 v243, v102, v244, v243 op_sel_hi:[1,0,0]
	v_fma_mix_f32 v244, v211, v102, v254 op_sel:[0,1,0] op_sel_hi:[0,1,0]
	v_mul_f32_e32 v244, v244, v194
	s_waitcnt lgkmcnt(2)
	v_dot4_i32_i8 v62, v59, v93, v62
	v_dot4_i32_i8 v245, v60, v94, v62
	ds_read2_b32 v[61:62], v67 offset0:8 offset1:9
	s_waitcnt lgkmcnt(2)
	v_and_b32_e32 v214, 0xff, v69
	s_waitcnt lgkmcnt(1)
	v_cvt_f32_ubyte0_e32 v213, v70
	v_lshrrev_b16_e32 v216, 8, v69
	v_cvt_f32_ubyte1_e32 v215, v70
	ds_read2_b32 v[69:70], v83 offset1:1
	s_waitcnt lgkmcnt(1)
	v_dot4_i32_i8 v63, v61, v95, 0
	v_dot4_i32_i8 v65, v62, v96, v63
	ds_read2_b32 v[63:64], v67 offset0:10 offset1:11
	v_fma_f32 v243, v243, v193, -v244
	v_add_f32_e32 v2, v2, v243
	v_mul_lo_u32 v245, v245, v214
	s_waitcnt lgkmcnt(0)
	v_dot4_i32_i8 v65, v63, v97, v65
	v_dot4_i32_i8 v68, v64, v98, v65
	ds_read2_b32 v[65:66], v67 offset0:12 offset1:13
	v_cvt_f32_i32_e32 v245, v245
	s_waitcnt lgkmcnt(0)
	v_dot4_i32_i8 v68, v65, v223, v68
	v_dot4_i32_i8 v71, v66, v224, v68
	ds_read2_b32 v[67:68], v67 offset0:14 offset1:15
	v_fma_mix_f32 v245, v101, v245, 0 op_sel_hi:[1,0,0]
	s_waitcnt lgkmcnt(0)
	v_dot4_i32_i8 v71, v67, v225, v71
	v_dot4_i32_i8 v246, v68, v226, v71
	;; [unrolled: 1-line block ×4, first 2 shown]
	ds_read2_b32 v[71:72], v83 offset0:2 offset1:3
	v_mul_lo_u32 v246, v246, v216
	s_waitcnt lgkmcnt(0)
	v_dot4_i32_i8 v73, v71, v89, v73
	v_dot4_i32_i8 v75, v72, v90, v73
	ds_read2_b32 v[73:74], v83 offset0:4 offset1:5
	v_cvt_f32_i32_e32 v246, v246
	s_waitcnt lgkmcnt(0)
	v_dot4_i32_i8 v75, v73, v91, v75
	v_dot4_i32_i8 v78, v74, v92, v75
	ds_read2_b32 v[75:76], v83 offset0:6 offset1:7
	ds_read_u16 v85, v77
	ds_read_u16 v86, v77 offset:8
	s_waitcnt lgkmcnt(2)
	v_dot4_i32_i8 v78, v75, v93, v78
	v_dot4_i32_i8 v247, v76, v94, v78
	ds_read2_b32 v[77:78], v83 offset0:8 offset1:9
	s_waitcnt lgkmcnt(2)
	v_and_b32_e32 v218, 0xff, v85
	s_waitcnt lgkmcnt(1)
	v_cvt_f32_ubyte0_e32 v217, v86
	v_lshrrev_b16_e32 v220, 8, v85
	v_cvt_f32_ubyte1_e32 v219, v86
	ds_read2_b32 v[85:86], v100 offset1:1
	s_waitcnt lgkmcnt(1)
	v_dot4_i32_i8 v79, v77, v95, 0
	v_dot4_i32_i8 v81, v78, v96, v79
	ds_read2_b32 v[79:80], v83 offset0:10 offset1:11
	s_waitcnt lgkmcnt(1)
	v_dot4_i32_i8 v87, v85, v87, 0
	v_dot4_i32_i8 v221, v86, v88, v87
	ds_read2_b32 v[87:88], v100 offset0:2 offset1:3
	;; [unrolled: 4-line block ×6, first 2 shown]
	s_waitcnt lgkmcnt(1)
	v_dot4_i32_i8 v99, v83, v225, v99
	v_dot4_i32_i8 v248, v84, v226, v99
	v_add3_u32 v99, s20, v191, v186
	ds_read_u16 v227, v99
	ds_read_u16 v228, v99 offset:8
	s_waitcnt lgkmcnt(2)
	v_dot4_i32_i8 v93, v91, v93, v221
	v_dot4_i32_i8 v249, v92, v94, v93
	ds_read2_b32 v[93:94], v100 offset0:8 offset1:9
	s_waitcnt lgkmcnt(2)
	v_and_b32_e32 v222, 0xff, v227
	s_waitcnt lgkmcnt(1)
	v_cvt_f32_ubyte0_e32 v221, v228
	v_mul_lo_u32 v248, v248, v220
	s_waitcnt lgkmcnt(0)
	v_dot4_i32_i8 v95, v93, v95, 0
	v_dot4_i32_i8 v99, v94, v96, v95
	ds_read2_b32 v[95:96], v100 offset0:10 offset1:11
	v_cvt_f32_i32_e32 v248, v248
	s_waitcnt lgkmcnt(0)
	v_dot4_i32_i8 v97, v95, v97, v99
	v_dot4_i32_i8 v99, v96, v98, v97
	ds_read2_b32 v[97:98], v100 offset0:12 offset1:13
	s_waitcnt lgkmcnt(0)
	v_dot4_i32_i8 v99, v97, v223, v99
	v_dot4_i32_i8 v223, v98, v224, v99
	ds_read2_b32 v[99:100], v100 offset0:14 offset1:15
	v_lshrrev_b16_e32 v224, 8, v227
	s_waitcnt lgkmcnt(0)
	v_dot4_i32_i8 v223, v99, v225, v223
	v_or_b32_e32 v225, s19, v152
	v_lshlrev_b32_e32 v237, 2, v225
	v_lshrrev_b32_e32 v241, 1, v225
	v_dot4_i32_i8 v250, v100, v226, v223
	v_cvt_f32_ubyte1_e32 v223, v228
	ds_read_b128 v[225:228], v237 offset:33280
	ds_read_b128 v[229:232], v237 offset:33296
	;; [unrolled: 1-line block ×4, first 2 shown]
	ds_read_b64 v[241:242], v241 offset:43584
	s_waitcnt lgkmcnt(4)
	v_dot4_i32_i8 v251, v37, v225, 0
	v_dot4_i32_i8 v251, v38, v226, v251
	s_waitcnt lgkmcnt(2)
	v_dot4_i32_i8 v252, v45, v233, 0
	v_dot4_i32_i8 v251, v39, v227, v251
	;; [unrolled: 1-line block ×8, first 2 shown]
	s_waitcnt lgkmcnt(1)
	v_dot4_i32_i8 v252, v49, v237, v252
	v_dot4_i32_i8 v251, v43, v231, v251
	;; [unrolled: 1-line block ×6, first 2 shown]
	v_mul_lo_u32 v251, v251, v210
	v_mul_lo_u32 v252, v252, v212
	s_waitcnt lgkmcnt(0)
	v_fma_mix_f32 v253, v209, v241, 0 op_sel:[0,1,0] op_sel_hi:[0,1,0]
	v_dot4_i32_i8 v243, v53, v225, 0
	v_cvt_f32_i32_e32 v251, v251
	v_cvt_f32_i32_e32 v252, v252
	v_dot4_i32_i8 v243, v54, v226, v243
	v_dot4_i32_i8 v243, v55, v227, v243
	v_fma_mix_f32 v251, v241, v251, 0 op_sel_hi:[1,0,0]
	v_fma_mix_f32 v251, v242, v252, v251 op_sel_hi:[1,0,0]
	v_fma_mix_f32 v252, v211, v242, v253 op_sel:[0,1,0] op_sel_hi:[0,1,0]
	v_mul_f32_e32 v252, v252, v202
	v_fma_f32 v244, v251, v201, -v252
	v_add_f32_e32 v3, v3, v244
	v_dot4_i32_i8 v244, v61, v233, 0
	v_dot4_i32_i8 v244, v62, v234, v244
	;; [unrolled: 1-line block ×13, first 2 shown]
	v_mul_lo_u32 v243, v243, v214
	v_mul_lo_u32 v244, v244, v216
	v_fma_mix_f32 v251, v213, v241, 0 op_sel:[0,1,0] op_sel_hi:[0,1,0]
	v_fma_mix_f32 v252, v213, v101, 0 op_sel:[0,1,0] op_sel_hi:[0,1,0]
	v_cvt_f32_i32_e32 v243, v243
	v_cvt_f32_i32_e32 v244, v244
	v_fma_mix_f32 v243, v241, v243, 0 op_sel_hi:[1,0,0]
	v_fma_mix_f32 v243, v242, v244, v243 op_sel_hi:[1,0,0]
	;; [unrolled: 1-line block ×3, first 2 shown]
	v_fma_mix_f32 v246, v215, v242, v251 op_sel:[0,1,0] op_sel_hi:[0,1,0]
	v_fma_mix_f32 v245, v215, v102, v252 op_sel:[0,1,0] op_sel_hi:[0,1,0]
	v_mul_f32_e32 v246, v246, v204
	v_mul_f32_e32 v245, v245, v196
	v_fma_f32 v243, v243, v203, -v246
	v_fma_f32 v244, v244, v195, -v245
	v_add_f32_e32 v32, v32, v243
	v_dot4_i32_i8 v243, v69, v225, 0
	v_dot4_i32_i8 v225, v85, v225, 0
	v_add_f32_e32 v31, v31, v244
	v_dot4_i32_i8 v243, v70, v226, v243
	v_dot4_i32_i8 v244, v77, v233, 0
	;; [unrolled: 1-line block ×26, first 2 shown]
	v_mul_lo_u32 v245, v247, v218
	v_dot4_i32_i8 v225, v92, v232, v225
	v_dot4_i32_i8 v226, v99, v239, v226
	v_mul_lo_u32 v227, v249, v222
	v_dot4_i32_i8 v244, v84, v240, v244
	v_mul_lo_u32 v243, v243, v218
	;; [unrolled: 2-line block ×3, first 2 shown]
	v_mul_lo_u32 v244, v244, v220
	v_mul_lo_u32 v226, v226, v224
	v_mul_lo_u32 v229, v250, v224
	v_cvt_f32_i32_e32 v245, v245
	v_cvt_f32_i32_e32 v227, v227
	;; [unrolled: 1-line block ×7, first 2 shown]
	v_fma_mix_f32 v245, v101, v245, 0 op_sel_hi:[1,0,0]
	v_fma_mix_f32 v247, v217, v101, 0 op_sel:[0,1,0] op_sel_hi:[0,1,0]
	v_fma_mix_f32 v227, v101, v227, 0 op_sel_hi:[1,0,0]
	v_fma_mix_f32 v101, v221, v101, 0 op_sel:[0,1,0] op_sel_hi:[0,1,0]
	v_fma_mix_f32 v243, v241, v243, 0 op_sel_hi:[1,0,0]
	v_fma_mix_f32 v225, v241, v225, 0 op_sel_hi:[1,0,0]
	v_fma_mix_f32 v228, v221, v241, 0 op_sel:[0,1,0] op_sel_hi:[0,1,0]
	v_fma_mix_f32 v101, v223, v102, v101 op_sel:[0,1,0] op_sel_hi:[0,1,0]
	v_fma_mix_f32 v243, v242, v244, v243 op_sel_hi:[1,0,0]
	v_fma_mix_f32 v244, v102, v248, v245 op_sel_hi:[1,0,0]
	v_fma_mix_f32 v245, v219, v102, v247 op_sel:[0,1,0] op_sel_hi:[0,1,0]
	v_fma_mix_f32 v225, v242, v226, v225 op_sel_hi:[1,0,0]
	v_fma_mix_f32 v226, v102, v229, v227 op_sel_hi:[1,0,0]
	v_fma_mix_f32 v102, v223, v242, v228 op_sel:[0,1,0] op_sel_hi:[0,1,0]
	v_mul_f32_e32 v101, v101, v200
	v_mul_f32_e32 v102, v102, v208
	v_fma_f32 v101, v226, v199, -v101
	v_fma_f32 v102, v225, v207, -v102
	v_add_f32_e32 v35, v35, v101
	v_or_b32_e32 v101, s19, v153
	v_add_f32_e32 v36, v36, v102
	v_lshlrev_b32_e32 v102, 2, v101
	v_lshrrev_b32_e32 v101, 1, v101
	ds_read_b128 v[225:228], v102 offset:33280
	ds_read_b128 v[229:232], v102 offset:33296
	;; [unrolled: 1-line block ×4, first 2 shown]
	ds_read_b64 v[101:102], v101 offset:43584
	v_fma_mix_f32 v246, v217, v241, 0 op_sel:[0,1,0] op_sel_hi:[0,1,0]
	s_waitcnt lgkmcnt(4)
	v_dot4_i32_i8 v241, v37, v225, 0
	v_dot4_i32_i8 v241, v38, v226, v241
	v_dot4_i32_i8 v241, v39, v227, v241
	v_dot4_i32_i8 v241, v40, v228, v241
	v_fma_mix_f32 v246, v219, v242, v246 op_sel:[0,1,0] op_sel_hi:[0,1,0]
	s_waitcnt lgkmcnt(3)
	v_dot4_i32_i8 v241, v41, v229, v241
	v_mul_f32_e32 v246, v246, v206
	v_dot4_i32_i8 v241, v42, v230, v241
	v_fma_f32 v243, v243, v205, -v246
	v_dot4_i32_i8 v241, v43, v231, v241
	v_add_f32_e32 v34, v34, v243
	v_dot4_i32_i8 v243, v44, v232, v241
	s_waitcnt lgkmcnt(2)
	v_dot4_i32_i8 v241, v45, v233, 0
	v_dot4_i32_i8 v241, v46, v234, v241
	;; [unrolled: 1-line block ×4, first 2 shown]
	s_waitcnt lgkmcnt(1)
	v_dot4_i32_i8 v241, v49, v237, v241
	v_mul_f32_e32 v245, v245, v198
	v_dot4_i32_i8 v241, v50, v238, v241
	v_fma_f32 v244, v244, v197, -v245
	v_dot4_i32_i8 v241, v51, v239, v241
	v_add_f32_e32 v33, v33, v244
	v_dot4_i32_i8 v244, v52, v240, v241
	v_dot4_i32_i8 v241, v53, v225, 0
	;; [unrolled: 1-line block ×48, first 2 shown]
	v_or_b32_e32 v225, s19, v154
	v_dot4_i32_i8 v248, v84, v240, v241
	v_lshlrev_b32_e32 v237, 2, v225
	v_lshrrev_b32_e32 v241, 1, v225
	ds_read_b128 v[225:228], v237 offset:33280
	ds_read_b128 v[229:232], v237 offset:33296
	;; [unrolled: 1-line block ×4, first 2 shown]
	ds_read_b64 v[241:242], v241 offset:43584
	s_waitcnt lgkmcnt(4)
	v_dot4_i32_i8 v251, v37, v225, 0
	v_dot4_i32_i8 v251, v38, v226, v251
	s_waitcnt lgkmcnt(2)
	v_dot4_i32_i8 v252, v45, v233, 0
	v_dot4_i32_i8 v251, v39, v227, v251
	;; [unrolled: 1-line block ×8, first 2 shown]
	s_waitcnt lgkmcnt(1)
	v_dot4_i32_i8 v252, v49, v237, v252
	v_dot4_i32_i8 v251, v43, v231, v251
	;; [unrolled: 1-line block ×5, first 2 shown]
	v_mul_lo_u32 v243, v243, v210
	v_dot4_i32_i8 v252, v52, v240, v252
	v_mul_lo_u32 v251, v251, v210
	v_mul_lo_u32 v244, v244, v212
	;; [unrolled: 1-line block ×3, first 2 shown]
	v_cvt_f32_i32_e32 v243, v243
	v_cvt_f32_i32_e32 v251, v251
	;; [unrolled: 1-line block ×4, first 2 shown]
	v_fma_mix_f32 v243, v243, v101, 0 op_sel_hi:[0,1,0]
	v_fma_mix_f32 v254, v209, v101, 0 op_sel:[0,1,0] op_sel_hi:[0,1,0]
	s_waitcnt lgkmcnt(0)
	v_fma_mix_f32 v251, v251, v241, 0 op_sel_hi:[0,1,0]
	v_fma_mix_f32 v253, v209, v241, 0 op_sel:[0,1,0] op_sel_hi:[0,1,0]
	v_fma_mix_f32 v243, v244, v102, v243 op_sel_hi:[0,1,0]
	v_fma_mix_f32 v244, v211, v102, v254 op_sel:[0,1,0] op_sel_hi:[0,1,0]
	;; [unrolled: 2-line block ×3, first 2 shown]
	v_mul_f32_e32 v244, v244, v194
	v_mul_f32_e32 v252, v252, v202
	v_fma_f32 v243, v243, v193, -v244
	v_fma_f32 v244, v251, v201, -v252
	v_add_f32_e32 v23, v23, v243
	v_dot4_i32_i8 v243, v53, v225, 0
	v_add_f32_e32 v24, v24, v244
	v_dot4_i32_i8 v243, v54, v226, v243
	v_dot4_i32_i8 v244, v61, v233, 0
	;; [unrolled: 1-line block ×15, first 2 shown]
	v_mul_lo_u32 v245, v245, v214
	v_mul_lo_u32 v243, v243, v214
	;; [unrolled: 1-line block ×4, first 2 shown]
	v_cvt_f32_i32_e32 v245, v245
	v_cvt_f32_i32_e32 v243, v243
	;; [unrolled: 1-line block ×4, first 2 shown]
	v_fma_mix_f32 v245, v245, v101, 0 op_sel_hi:[0,1,0]
	v_fma_mix_f32 v243, v243, v241, 0 op_sel_hi:[0,1,0]
	v_fma_mix_f32 v251, v213, v241, 0 op_sel:[0,1,0] op_sel_hi:[0,1,0]
	v_fma_mix_f32 v252, v213, v101, 0 op_sel:[0,1,0] op_sel_hi:[0,1,0]
	v_fma_mix_f32 v243, v244, v242, v243 op_sel_hi:[0,1,0]
	v_fma_mix_f32 v244, v246, v102, v245 op_sel_hi:[0,1,0]
	v_fma_mix_f32 v246, v215, v242, v251 op_sel:[0,1,0] op_sel_hi:[0,1,0]
	v_fma_mix_f32 v245, v215, v102, v252 op_sel:[0,1,0] op_sel_hi:[0,1,0]
	v_mul_f32_e32 v246, v246, v204
	v_mul_f32_e32 v245, v245, v196
	v_fma_f32 v243, v243, v203, -v246
	v_fma_f32 v244, v244, v195, -v245
	v_add_f32_e32 v26, v26, v243
	v_dot4_i32_i8 v243, v69, v225, 0
	v_dot4_i32_i8 v225, v85, v225, 0
	v_add_f32_e32 v25, v25, v244
	v_dot4_i32_i8 v243, v70, v226, v243
	v_dot4_i32_i8 v244, v77, v233, 0
	;; [unrolled: 1-line block ×26, first 2 shown]
	v_mul_lo_u32 v245, v247, v218
	v_dot4_i32_i8 v225, v92, v232, v225
	v_dot4_i32_i8 v226, v99, v239, v226
	v_mul_lo_u32 v227, v249, v222
	v_dot4_i32_i8 v244, v84, v240, v244
	v_mul_lo_u32 v243, v243, v218
	;; [unrolled: 2-line block ×3, first 2 shown]
	v_mul_lo_u32 v244, v244, v220
	v_mul_lo_u32 v248, v248, v220
	;; [unrolled: 1-line block ×4, first 2 shown]
	v_cvt_f32_i32_e32 v245, v245
	v_cvt_f32_i32_e32 v227, v227
	;; [unrolled: 1-line block ×8, first 2 shown]
	v_fma_mix_f32 v245, v245, v101, 0 op_sel_hi:[0,1,0]
	v_fma_mix_f32 v247, v217, v101, 0 op_sel:[0,1,0] op_sel_hi:[0,1,0]
	v_fma_mix_f32 v227, v227, v101, 0 op_sel_hi:[0,1,0]
	v_fma_mix_f32 v101, v221, v101, 0 op_sel:[0,1,0] op_sel_hi:[0,1,0]
	v_fma_mix_f32 v243, v243, v241, 0 op_sel_hi:[0,1,0]
	v_fma_mix_f32 v225, v225, v241, 0 op_sel_hi:[0,1,0]
	v_fma_mix_f32 v228, v221, v241, 0 op_sel:[0,1,0] op_sel_hi:[0,1,0]
	v_fma_mix_f32 v101, v223, v102, v101 op_sel:[0,1,0] op_sel_hi:[0,1,0]
	v_fma_mix_f32 v243, v244, v242, v243 op_sel_hi:[0,1,0]
	v_fma_mix_f32 v244, v248, v102, v245 op_sel_hi:[0,1,0]
	v_fma_mix_f32 v245, v219, v102, v247 op_sel:[0,1,0] op_sel_hi:[0,1,0]
	v_fma_mix_f32 v225, v226, v242, v225 op_sel_hi:[0,1,0]
	v_fma_mix_f32 v226, v229, v102, v227 op_sel_hi:[0,1,0]
	v_fma_mix_f32 v102, v223, v242, v228 op_sel:[0,1,0] op_sel_hi:[0,1,0]
	v_mul_f32_e32 v101, v101, v200
	v_mul_f32_e32 v102, v102, v208
	v_fma_f32 v101, v226, v199, -v101
	v_fma_f32 v102, v225, v207, -v102
	v_add_f32_e32 v29, v29, v101
	v_or_b32_e32 v101, s19, v155
	v_add_f32_e32 v30, v30, v102
	v_lshlrev_b32_e32 v102, 2, v101
	v_lshrrev_b32_e32 v101, 1, v101
	ds_read_b128 v[225:228], v102 offset:33280
	ds_read_b128 v[229:232], v102 offset:33296
	;; [unrolled: 1-line block ×4, first 2 shown]
	ds_read_b64 v[101:102], v101 offset:43584
	v_fma_mix_f32 v246, v217, v241, 0 op_sel:[0,1,0] op_sel_hi:[0,1,0]
	s_waitcnt lgkmcnt(4)
	v_dot4_i32_i8 v241, v37, v225, 0
	v_dot4_i32_i8 v241, v38, v226, v241
	;; [unrolled: 1-line block ×4, first 2 shown]
	v_fma_mix_f32 v246, v219, v242, v246 op_sel:[0,1,0] op_sel_hi:[0,1,0]
	s_waitcnt lgkmcnt(3)
	v_dot4_i32_i8 v241, v41, v229, v241
	v_mul_f32_e32 v246, v246, v206
	v_dot4_i32_i8 v241, v42, v230, v241
	v_fma_f32 v243, v243, v205, -v246
	v_dot4_i32_i8 v241, v43, v231, v241
	v_add_f32_e32 v28, v28, v243
	v_dot4_i32_i8 v243, v44, v232, v241
	s_waitcnt lgkmcnt(2)
	v_dot4_i32_i8 v241, v45, v233, 0
	v_dot4_i32_i8 v241, v46, v234, v241
	;; [unrolled: 1-line block ×4, first 2 shown]
	s_waitcnt lgkmcnt(1)
	v_dot4_i32_i8 v241, v49, v237, v241
	v_mul_f32_e32 v245, v245, v198
	v_dot4_i32_i8 v241, v50, v238, v241
	v_fma_f32 v244, v244, v197, -v245
	v_dot4_i32_i8 v241, v51, v239, v241
	v_add_f32_e32 v27, v27, v244
	v_dot4_i32_i8 v244, v52, v240, v241
	v_dot4_i32_i8 v241, v53, v225, 0
	;; [unrolled: 1-line block ×48, first 2 shown]
	v_or_b32_e32 v225, s19, v156
	v_dot4_i32_i8 v248, v84, v240, v241
	v_lshlrev_b32_e32 v237, 2, v225
	v_lshrrev_b32_e32 v241, 1, v225
	ds_read_b128 v[225:228], v237 offset:33280
	ds_read_b128 v[229:232], v237 offset:33296
	;; [unrolled: 1-line block ×4, first 2 shown]
	ds_read_b64 v[241:242], v241 offset:43584
	s_waitcnt lgkmcnt(4)
	v_dot4_i32_i8 v251, v37, v225, 0
	v_dot4_i32_i8 v251, v38, v226, v251
	s_waitcnt lgkmcnt(2)
	v_dot4_i32_i8 v252, v45, v233, 0
	v_dot4_i32_i8 v251, v39, v227, v251
	;; [unrolled: 1-line block ×8, first 2 shown]
	s_waitcnt lgkmcnt(1)
	v_dot4_i32_i8 v252, v49, v237, v252
	v_dot4_i32_i8 v251, v43, v231, v251
	;; [unrolled: 1-line block ×5, first 2 shown]
	v_mul_lo_u32 v243, v243, v210
	v_dot4_i32_i8 v252, v52, v240, v252
	v_mul_lo_u32 v251, v251, v210
	v_mul_lo_u32 v244, v244, v212
	v_mul_lo_u32 v252, v252, v212
	v_cvt_f32_i32_e32 v243, v243
	v_cvt_f32_i32_e32 v251, v251
	;; [unrolled: 1-line block ×4, first 2 shown]
	v_fma_mix_f32 v243, v243, v101, 0 op_sel_hi:[0,1,0]
	v_fma_mix_f32 v254, v209, v101, 0 op_sel:[0,1,0] op_sel_hi:[0,1,0]
	s_waitcnt lgkmcnt(0)
	v_fma_mix_f32 v251, v251, v241, 0 op_sel_hi:[0,1,0]
	v_fma_mix_f32 v253, v209, v241, 0 op_sel:[0,1,0] op_sel_hi:[0,1,0]
	v_fma_mix_f32 v243, v244, v102, v243 op_sel_hi:[0,1,0]
	v_fma_mix_f32 v244, v211, v102, v254 op_sel:[0,1,0] op_sel_hi:[0,1,0]
	;; [unrolled: 2-line block ×3, first 2 shown]
	v_mul_f32_e32 v244, v244, v194
	v_mul_f32_e32 v252, v252, v202
	v_fma_f32 v243, v243, v193, -v244
	v_fma_f32 v244, v251, v201, -v252
	v_add_f32_e32 v15, v15, v243
	v_dot4_i32_i8 v243, v53, v225, 0
	v_add_f32_e32 v16, v16, v244
	v_dot4_i32_i8 v243, v54, v226, v243
	v_dot4_i32_i8 v244, v61, v233, 0
	;; [unrolled: 1-line block ×15, first 2 shown]
	v_mul_lo_u32 v245, v245, v214
	v_mul_lo_u32 v243, v243, v214
	;; [unrolled: 1-line block ×4, first 2 shown]
	v_cvt_f32_i32_e32 v245, v245
	v_cvt_f32_i32_e32 v243, v243
	;; [unrolled: 1-line block ×4, first 2 shown]
	v_fma_mix_f32 v245, v245, v101, 0 op_sel_hi:[0,1,0]
	v_fma_mix_f32 v243, v243, v241, 0 op_sel_hi:[0,1,0]
	v_fma_mix_f32 v251, v213, v241, 0 op_sel:[0,1,0] op_sel_hi:[0,1,0]
	v_fma_mix_f32 v252, v213, v101, 0 op_sel:[0,1,0] op_sel_hi:[0,1,0]
	v_fma_mix_f32 v243, v244, v242, v243 op_sel_hi:[0,1,0]
	v_fma_mix_f32 v244, v246, v102, v245 op_sel_hi:[0,1,0]
	v_fma_mix_f32 v246, v215, v242, v251 op_sel:[0,1,0] op_sel_hi:[0,1,0]
	v_fma_mix_f32 v245, v215, v102, v252 op_sel:[0,1,0] op_sel_hi:[0,1,0]
	v_mul_f32_e32 v246, v246, v204
	v_mul_f32_e32 v245, v245, v196
	v_fma_f32 v243, v243, v203, -v246
	v_fma_f32 v244, v244, v195, -v245
	v_add_f32_e32 v18, v18, v243
	v_dot4_i32_i8 v243, v69, v225, 0
	v_dot4_i32_i8 v225, v85, v225, 0
	v_add_f32_e32 v17, v17, v244
	v_dot4_i32_i8 v243, v70, v226, v243
	v_dot4_i32_i8 v244, v77, v233, 0
	v_dot4_i32_i8 v225, v86, v226, v225
	v_dot4_i32_i8 v226, v93, v233, 0
	v_dot4_i32_i8 v243, v71, v227, v243
	v_dot4_i32_i8 v244, v78, v234, v244
	v_dot4_i32_i8 v225, v87, v227, v225
	v_dot4_i32_i8 v226, v94, v234, v226
	v_dot4_i32_i8 v243, v72, v228, v243
	v_dot4_i32_i8 v244, v79, v235, v244
	v_dot4_i32_i8 v225, v88, v228, v225
	v_dot4_i32_i8 v226, v95, v235, v226
	v_dot4_i32_i8 v243, v73, v229, v243
	v_dot4_i32_i8 v244, v80, v236, v244
	v_dot4_i32_i8 v225, v89, v229, v225
	v_dot4_i32_i8 v226, v96, v236, v226
	v_dot4_i32_i8 v243, v74, v230, v243
	v_dot4_i32_i8 v244, v81, v237, v244
	v_dot4_i32_i8 v225, v90, v230, v225
	v_dot4_i32_i8 v226, v97, v237, v226
	v_dot4_i32_i8 v243, v75, v231, v243
	v_dot4_i32_i8 v244, v82, v238, v244
	v_dot4_i32_i8 v225, v91, v231, v225
	v_dot4_i32_i8 v226, v98, v238, v226
	v_dot4_i32_i8 v243, v76, v232, v243
	v_dot4_i32_i8 v244, v83, v239, v244
	v_mul_lo_u32 v245, v247, v218
	v_dot4_i32_i8 v225, v92, v232, v225
	v_dot4_i32_i8 v226, v99, v239, v226
	v_mul_lo_u32 v227, v249, v222
	v_dot4_i32_i8 v244, v84, v240, v244
	v_mul_lo_u32 v243, v243, v218
	;; [unrolled: 2-line block ×3, first 2 shown]
	v_mul_lo_u32 v244, v244, v220
	v_mul_lo_u32 v248, v248, v220
	;; [unrolled: 1-line block ×4, first 2 shown]
	v_cvt_f32_i32_e32 v245, v245
	v_cvt_f32_i32_e32 v227, v227
	;; [unrolled: 1-line block ×8, first 2 shown]
	v_fma_mix_f32 v245, v245, v101, 0 op_sel_hi:[0,1,0]
	v_fma_mix_f32 v247, v217, v101, 0 op_sel:[0,1,0] op_sel_hi:[0,1,0]
	v_fma_mix_f32 v227, v227, v101, 0 op_sel_hi:[0,1,0]
	v_fma_mix_f32 v101, v221, v101, 0 op_sel:[0,1,0] op_sel_hi:[0,1,0]
	v_fma_mix_f32 v243, v243, v241, 0 op_sel_hi:[0,1,0]
	v_fma_mix_f32 v225, v225, v241, 0 op_sel_hi:[0,1,0]
	v_fma_mix_f32 v228, v221, v241, 0 op_sel:[0,1,0] op_sel_hi:[0,1,0]
	v_fma_mix_f32 v101, v223, v102, v101 op_sel:[0,1,0] op_sel_hi:[0,1,0]
	v_fma_mix_f32 v243, v244, v242, v243 op_sel_hi:[0,1,0]
	v_fma_mix_f32 v244, v248, v102, v245 op_sel_hi:[0,1,0]
	v_fma_mix_f32 v245, v219, v102, v247 op_sel:[0,1,0] op_sel_hi:[0,1,0]
	v_fma_mix_f32 v225, v226, v242, v225 op_sel_hi:[0,1,0]
	v_fma_mix_f32 v226, v229, v102, v227 op_sel_hi:[0,1,0]
	v_fma_mix_f32 v102, v223, v242, v228 op_sel:[0,1,0] op_sel_hi:[0,1,0]
	v_mul_f32_e32 v101, v101, v200
	v_mul_f32_e32 v102, v102, v208
	v_fma_f32 v101, v226, v199, -v101
	v_fma_f32 v102, v225, v207, -v102
	v_add_f32_e32 v21, v21, v101
	v_or_b32_e32 v101, s19, v157
	v_add_f32_e32 v22, v22, v102
	v_lshlrev_b32_e32 v102, 2, v101
	v_lshrrev_b32_e32 v101, 1, v101
	ds_read_b128 v[225:228], v102 offset:33280
	ds_read_b128 v[229:232], v102 offset:33296
	;; [unrolled: 1-line block ×4, first 2 shown]
	ds_read_b64 v[101:102], v101 offset:43584
	v_fma_mix_f32 v246, v217, v241, 0 op_sel:[0,1,0] op_sel_hi:[0,1,0]
	s_waitcnt lgkmcnt(4)
	v_dot4_i32_i8 v241, v37, v225, 0
	v_dot4_i32_i8 v241, v38, v226, v241
	;; [unrolled: 1-line block ×4, first 2 shown]
	v_fma_mix_f32 v246, v219, v242, v246 op_sel:[0,1,0] op_sel_hi:[0,1,0]
	s_waitcnt lgkmcnt(3)
	v_dot4_i32_i8 v241, v41, v229, v241
	v_mul_f32_e32 v246, v246, v206
	v_dot4_i32_i8 v241, v42, v230, v241
	v_fma_f32 v243, v243, v205, -v246
	v_dot4_i32_i8 v241, v43, v231, v241
	v_add_f32_e32 v20, v20, v243
	v_dot4_i32_i8 v243, v44, v232, v241
	s_waitcnt lgkmcnt(2)
	v_dot4_i32_i8 v241, v45, v233, 0
	v_dot4_i32_i8 v241, v46, v234, v241
	v_dot4_i32_i8 v241, v47, v235, v241
	v_dot4_i32_i8 v241, v48, v236, v241
	s_waitcnt lgkmcnt(1)
	v_dot4_i32_i8 v241, v49, v237, v241
	v_mul_f32_e32 v245, v245, v198
	v_dot4_i32_i8 v241, v50, v238, v241
	v_fma_f32 v244, v244, v197, -v245
	v_dot4_i32_i8 v241, v51, v239, v241
	v_add_f32_e32 v19, v19, v244
	v_dot4_i32_i8 v244, v52, v240, v241
	v_dot4_i32_i8 v241, v53, v225, 0
	;; [unrolled: 1-line block ×48, first 2 shown]
	v_or_b32_e32 v225, s19, v158
	v_dot4_i32_i8 v248, v84, v240, v241
	v_lshlrev_b32_e32 v237, 2, v225
	v_lshrrev_b32_e32 v241, 1, v225
	ds_read_b128 v[225:228], v237 offset:33280
	ds_read_b128 v[229:232], v237 offset:33296
	ds_read_b128 v[233:236], v237 offset:33312
	ds_read_b128 v[237:240], v237 offset:33328
	ds_read_b64 v[241:242], v241 offset:43584
	s_waitcnt lgkmcnt(4)
	v_dot4_i32_i8 v37, v37, v225, 0
	v_dot4_i32_i8 v37, v38, v226, v37
	s_waitcnt lgkmcnt(2)
	v_dot4_i32_i8 v38, v45, v233, 0
	v_dot4_i32_i8 v37, v39, v227, v37
	;; [unrolled: 1-line block ×8, first 2 shown]
	s_waitcnt lgkmcnt(1)
	v_dot4_i32_i8 v38, v49, v237, v38
	v_dot4_i32_i8 v37, v43, v231, v37
	;; [unrolled: 1-line block ×6, first 2 shown]
	v_mul_lo_u32 v39, v243, v210
	v_mul_lo_u32 v37, v37, v210
	;; [unrolled: 1-line block ×4, first 2 shown]
	v_cvt_f32_i32_e32 v39, v39
	v_cvt_f32_i32_e32 v37, v37
	;; [unrolled: 1-line block ×4, first 2 shown]
	s_waitcnt lgkmcnt(0)
	v_fma_mix_f32 v40, v209, v241, 0 op_sel:[0,1,0] op_sel_hi:[0,1,0]
	v_fma_mix_f32 v39, v39, v101, 0 op_sel_hi:[0,1,0]
	v_fma_mix_f32 v37, v37, v241, 0 op_sel_hi:[0,1,0]
	v_fma_mix_f32 v41, v209, v101, 0 op_sel:[0,1,0] op_sel_hi:[0,1,0]
	v_fma_mix_f32 v40, v211, v242, v40 op_sel:[0,1,0] op_sel_hi:[0,1,0]
	v_fma_mix_f32 v37, v38, v242, v37 op_sel_hi:[0,1,0]
	v_fma_mix_f32 v38, v42, v102, v39 op_sel_hi:[0,1,0]
	v_fma_mix_f32 v39, v211, v102, v41 op_sel:[0,1,0] op_sel_hi:[0,1,0]
	v_mul_f32_e32 v40, v40, v202
	v_mul_f32_e32 v39, v39, v194
	v_fma_f32 v37, v37, v201, -v40
	v_fma_f32 v38, v38, v193, -v39
	v_add_f32_e32 v6, v6, v37
	v_dot4_i32_i8 v37, v53, v225, 0
	v_add_f32_e32 v5, v5, v38
	v_dot4_i32_i8 v37, v54, v226, v37
	v_dot4_i32_i8 v38, v61, v233, 0
	v_dot4_i32_i8 v37, v55, v227, v37
	v_dot4_i32_i8 v38, v62, v234, v38
	v_dot4_i32_i8 v37, v56, v228, v37
	v_dot4_i32_i8 v38, v63, v235, v38
	v_dot4_i32_i8 v37, v57, v229, v37
	v_dot4_i32_i8 v38, v64, v236, v38
	v_dot4_i32_i8 v37, v58, v230, v37
	v_dot4_i32_i8 v38, v65, v237, v38
	v_dot4_i32_i8 v37, v59, v231, v37
	v_dot4_i32_i8 v38, v66, v238, v38
	v_dot4_i32_i8 v37, v60, v232, v37
	v_dot4_i32_i8 v38, v67, v239, v38
	v_dot4_i32_i8 v38, v68, v240, v38
	v_mul_lo_u32 v39, v245, v214
	v_mul_lo_u32 v37, v37, v214
	v_mul_lo_u32 v38, v38, v216
	v_mul_lo_u32 v42, v246, v216
	v_cvt_f32_i32_e32 v39, v39
	v_cvt_f32_i32_e32 v37, v37
	v_cvt_f32_i32_e32 v38, v38
	v_cvt_f32_i32_e32 v42, v42
	v_fma_mix_f32 v40, v213, v241, 0 op_sel:[0,1,0] op_sel_hi:[0,1,0]
	v_fma_mix_f32 v39, v39, v101, 0 op_sel_hi:[0,1,0]
	v_fma_mix_f32 v37, v37, v241, 0 op_sel_hi:[0,1,0]
	v_fma_mix_f32 v41, v213, v101, 0 op_sel:[0,1,0] op_sel_hi:[0,1,0]
	v_fma_mix_f32 v40, v215, v242, v40 op_sel:[0,1,0] op_sel_hi:[0,1,0]
	v_fma_mix_f32 v37, v38, v242, v37 op_sel_hi:[0,1,0]
	v_fma_mix_f32 v38, v42, v102, v39 op_sel_hi:[0,1,0]
	v_fma_mix_f32 v39, v215, v102, v41 op_sel:[0,1,0] op_sel_hi:[0,1,0]
	v_mul_f32_e32 v40, v40, v204
	v_mul_f32_e32 v39, v39, v196
	v_fma_f32 v37, v37, v203, -v40
	v_fma_f32 v38, v38, v195, -v39
	v_add_f32_e32 v8, v8, v37
	v_dot4_i32_i8 v37, v69, v225, 0
	v_add_f32_e32 v7, v7, v38
	v_dot4_i32_i8 v37, v70, v226, v37
	v_dot4_i32_i8 v38, v77, v233, 0
	v_dot4_i32_i8 v37, v71, v227, v37
	v_dot4_i32_i8 v38, v78, v234, v38
	v_dot4_i32_i8 v37, v72, v228, v37
	v_dot4_i32_i8 v38, v79, v235, v38
	v_dot4_i32_i8 v37, v73, v229, v37
	v_dot4_i32_i8 v38, v80, v236, v38
	v_dot4_i32_i8 v37, v74, v230, v37
	v_dot4_i32_i8 v38, v81, v237, v38
	v_dot4_i32_i8 v37, v75, v231, v37
	v_dot4_i32_i8 v38, v82, v238, v38
	v_dot4_i32_i8 v37, v76, v232, v37
	v_dot4_i32_i8 v38, v83, v239, v38
	v_dot4_i32_i8 v38, v84, v240, v38
	v_mul_lo_u32 v39, v247, v218
	v_mul_lo_u32 v37, v37, v218
	v_mul_lo_u32 v38, v38, v220
	v_mul_lo_u32 v42, v248, v220
	v_cvt_f32_i32_e32 v39, v39
	v_cvt_f32_i32_e32 v37, v37
	v_cvt_f32_i32_e32 v38, v38
	v_cvt_f32_i32_e32 v42, v42
	;; [unrolled: 38-line block ×3, first 2 shown]
	v_fma_mix_f32 v39, v39, v101, 0 op_sel_hi:[0,1,0]
	v_fma_mix_f32 v37, v37, v241, 0 op_sel_hi:[0,1,0]
	v_fma_mix_f32 v40, v221, v241, 0 op_sel:[0,1,0] op_sel_hi:[0,1,0]
	v_fma_mix_f32 v41, v221, v101, 0 op_sel:[0,1,0] op_sel_hi:[0,1,0]
	v_fma_mix_f32 v37, v38, v242, v37 op_sel_hi:[0,1,0]
	v_fma_mix_f32 v38, v42, v102, v39 op_sel_hi:[0,1,0]
	v_fma_mix_f32 v39, v223, v102, v41 op_sel:[0,1,0] op_sel_hi:[0,1,0]
	v_fma_mix_f32 v40, v223, v242, v40 op_sel:[0,1,0] op_sel_hi:[0,1,0]
	v_mul_f32_e32 v40, v40, v208
	v_mul_f32_e32 v39, v39, v200
	v_fma_f32 v38, v38, v199, -v39
	v_fma_f32 v37, v37, v207, -v40
	v_add_f32_e32 v12, v12, v37
	v_add_f32_e32 v11, v11, v38
	s_cbranch_vccnz .LBB153_6
; %bb.7:                                ;   in Loop: Header=BB153_5 Depth=1
	v_add_u32_e32 v53, s17, v146
	v_add_u32_e32 v51, 4, v192
	;; [unrolled: 1-line block ×3, first 2 shown]
	v_mad_u64_u32 v[51:52], s[0:1], v51, 36, s[2:3]
	v_mad_i64_i32 v[37:38], s[0:1], v37, 36, v[13:14]
	v_add_u32_e32 v39, v53, v138
	v_mad_i64_i32 v[39:40], s[0:1], v39, 36, v[13:14]
	v_add_u32_e32 v41, v53, v139
	v_add_u32_e32 v43, v53, v140
	v_mad_i64_i32 v[41:42], s[0:1], v41, 36, v[13:14]
	v_mad_i64_i32 v[43:44], s[0:1], v43, 36, v[13:14]
	v_add_u32_e32 v45, v53, v141
	v_add_u32_e32 v47, v53, v142
	;; [unrolled: 1-line block ×4, first 2 shown]
	s_barrier
	v_mad_i64_i32 v[45:46], s[0:1], v45, 36, v[13:14]
	v_mad_i64_i32 v[47:48], s[0:1], v47, 36, v[13:14]
	;; [unrolled: 1-line block ×4, first 2 shown]
	global_load_dword v51, v[51:52], off
	s_nop 0
	global_load_dword v37, v[37:38], off offset:4
	s_nop 0
	global_load_dword v38, v[39:40], off offset:4
	;; [unrolled: 2-line block ×3, first 2 shown]
	global_load_dword v40, v[43:44], off offset:4
	s_nop 0
	global_load_dword v41, v[45:46], off offset:4
	global_load_dword v42, v[47:48], off offset:4
	;; [unrolled: 1-line block ×4, first 2 shown]
	s_mov_b32 s0, 16
	s_waitcnt vmcnt(8)
	ds_write_b32 v135, v51
	s_waitcnt vmcnt(7)
	ds_write_b32 v165, v37
	;; [unrolled: 2-line block ×9, first 2 shown]
	s_waitcnt lgkmcnt(0)
	s_barrier
	ds_read_b32 v37, v145
	ds_read_b32 v38, v147 offset:128
	ds_read_b32 v39, v149 offset:256
	;; [unrolled: 1-line block ×3, first 2 shown]
	s_waitcnt lgkmcnt(2)
	v_cvt_f32_f16_e32 v192, v38
	v_cvt_f32_f16_e32 v101, v37
	v_cvt_f32_f16_sdwa v102, v37 dst_sel:DWORD dst_unused:UNUSED_PAD src0_sel:WORD_1
	v_cvt_f32_f16_sdwa v193, v38 dst_sel:DWORD dst_unused:UNUSED_PAD src0_sel:WORD_1
	s_waitcnt lgkmcnt(1)
	v_cvt_f32_f16_e32 v194, v39
	v_cvt_f32_f16_sdwa v195, v39 dst_sel:DWORD dst_unused:UNUSED_PAD src0_sel:WORD_1
	s_waitcnt lgkmcnt(0)
	v_cvt_f32_f16_e32 v196, v40
	v_cvt_f32_f16_sdwa v197, v40 dst_sel:DWORD dst_unused:UNUSED_PAD src0_sel:WORD_1
	v_mov_b32_e32 v198, v101
	v_mov_b32_e32 v199, v102
	;; [unrolled: 1-line block ×8, first 2 shown]
.LBB153_8:                              ;   Parent Loop BB153_5 Depth=1
                                        ; =>  This Inner Loop Header: Depth=2
	s_lshr_b32 s1, s0, 2
	s_and_b32 s17, s1, 0x3ffffffe
	s_lshl_b32 s1, s0, 1
	s_and_b32 s1, s1, 16
	v_or_b32_e32 v37, s1, v126
	v_lshlrev_b32_e32 v38, 2, v37
	s_lshl_b32 s18, s0, 3
	ds_read_b128 v[39:42], v38 offset:33280
	ds_read_b128 v[55:58], v38 offset:33296
	;; [unrolled: 1-line block ×4, first 2 shown]
	v_add_u32_e32 v38, s18, v159
	ds_read2_b32 v[77:78], v38 offset1:1
	ds_read2_b32 v[81:82], v38 offset0:2 offset1:3
	ds_read2_b32 v[85:86], v38 offset0:4 offset1:5
	;; [unrolled: 1-line block ×3, first 2 shown]
	s_add_i32 s17, s17, 0xa200
	s_waitcnt lgkmcnt(3)
	v_dot4_i32_i8 v43, v77, v39, 0
	v_dot4_i32_i8 v43, v78, v40, v43
	s_waitcnt lgkmcnt(2)
	v_dot4_i32_i8 v43, v81, v41, v43
	v_dot4_i32_i8 v43, v82, v42, v43
	;; [unrolled: 3-line block ×3, first 2 shown]
	v_lshrrev_b32_e32 v238, 1, v37
	v_add3_u32 v37, s17, v187, v188
	s_waitcnt lgkmcnt(0)
	v_dot4_i32_i8 v43, v89, v57, v43
	v_dot4_i32_i8 v242, v90, v58, v43
	ds_read_u16 v43, v37
	ds_read_u16 v37, v37 offset:8
	ds_read2_b32 v[93:94], v38 offset0:8 offset1:9
	ds_read2_b32 v[95:96], v38 offset0:10 offset1:11
	;; [unrolled: 1-line block ×4, first 2 shown]
	s_waitcnt lgkmcnt(5)
	v_and_b32_e32 v218, 0xff, v43
	s_waitcnt lgkmcnt(3)
	v_dot4_i32_i8 v44, v93, v222, 0
	v_dot4_i32_i8 v44, v94, v223, v44
	s_waitcnt lgkmcnt(2)
	v_dot4_i32_i8 v44, v95, v224, v44
	v_dot4_i32_i8 v44, v96, v225, v44
	;; [unrolled: 3-line block ×4, first 2 shown]
	v_add_u32_e32 v38, s18, v160
	ds_read2_b32 v[61:62], v38 offset1:1
	ds_read2_b32 v[63:64], v38 offset0:2 offset1:3
	ds_read2_b32 v[65:66], v38 offset0:4 offset1:5
	;; [unrolled: 1-line block ×3, first 2 shown]
	v_lshrrev_b16_e32 v221, 8, v43
	s_waitcnt lgkmcnt(3)
	v_dot4_i32_i8 v43, v61, v39, 0
	v_dot4_i32_i8 v43, v62, v40, v43
	s_waitcnt lgkmcnt(2)
	v_dot4_i32_i8 v43, v63, v41, v43
	v_dot4_i32_i8 v43, v64, v42, v43
	;; [unrolled: 3-line block ×3, first 2 shown]
	v_cvt_f32_ubyte0_e32 v216, v37
	v_cvt_f32_ubyte1_e32 v220, v37
	v_add3_u32 v37, s17, v189, v184
	s_waitcnt lgkmcnt(0)
	v_dot4_i32_i8 v43, v69, v57, v43
	v_dot4_i32_i8 v244, v70, v58, v43
	ds_read_u16 v43, v37
	ds_read_u16 v37, v37 offset:8
	ds_read2_b32 v[79:80], v38 offset0:8 offset1:9
	ds_read2_b32 v[83:84], v38 offset0:10 offset1:11
	;; [unrolled: 1-line block ×4, first 2 shown]
	s_waitcnt lgkmcnt(5)
	v_and_b32_e32 v214, 0xff, v43
	s_waitcnt lgkmcnt(3)
	v_dot4_i32_i8 v44, v79, v222, 0
	v_dot4_i32_i8 v44, v80, v223, v44
	s_waitcnt lgkmcnt(2)
	v_dot4_i32_i8 v44, v83, v224, v44
	v_dot4_i32_i8 v44, v84, v225, v44
	;; [unrolled: 3-line block ×4, first 2 shown]
	v_add_u32_e32 v38, s18, v161
	ds_read2_b32 v[45:46], v38 offset1:1
	ds_read2_b32 v[47:48], v38 offset0:2 offset1:3
	ds_read2_b32 v[49:50], v38 offset0:4 offset1:5
	;; [unrolled: 1-line block ×3, first 2 shown]
	v_lshrrev_b16_e32 v219, 8, v43
	s_waitcnt lgkmcnt(3)
	v_dot4_i32_i8 v43, v45, v39, 0
	v_dot4_i32_i8 v43, v46, v40, v43
	s_waitcnt lgkmcnt(2)
	v_dot4_i32_i8 v43, v47, v41, v43
	v_dot4_i32_i8 v43, v48, v42, v43
	s_waitcnt lgkmcnt(1)
	v_dot4_i32_i8 v43, v49, v55, v43
	v_dot4_i32_i8 v43, v50, v56, v43
	v_cvt_f32_ubyte0_e32 v212, v37
	v_cvt_f32_ubyte1_e32 v217, v37
	v_add3_u32 v37, s17, v190, v185
	s_waitcnt lgkmcnt(0)
	v_dot4_i32_i8 v43, v53, v57, v43
	v_dot4_i32_i8 v246, v54, v58, v43
	ds_read_u16 v43, v37
	ds_read_u16 v37, v37 offset:8
	ds_read2_b32 v[67:68], v38 offset0:8 offset1:9
	ds_read2_b32 v[71:72], v38 offset0:10 offset1:11
	;; [unrolled: 1-line block ×4, first 2 shown]
	v_add_u32_e32 v59, s18, v162
	s_waitcnt lgkmcnt(3)
	v_dot4_i32_i8 v44, v67, v222, 0
	v_dot4_i32_i8 v44, v68, v223, v44
	s_waitcnt lgkmcnt(2)
	v_dot4_i32_i8 v44, v71, v224, v44
	v_dot4_i32_i8 v44, v72, v225, v44
	;; [unrolled: 3-line block ×3, first 2 shown]
	s_waitcnt lgkmcnt(0)
	v_dot4_i32_i8 v38, v75, v228, v44
	v_cvt_f32_ubyte0_e32 v208, v37
	v_dot4_i32_i8 v247, v76, v229, v38
	v_cvt_f32_ubyte1_e32 v213, v37
	ds_read2_b32 v[37:38], v59 offset1:1
	v_and_b32_e32 v210, 0xff, v43
	v_lshrrev_b16_e32 v215, 8, v43
	v_add3_u32 v51, s17, v191, v186
	v_mul_lo_u32 v242, v242, v218
	s_waitcnt lgkmcnt(0)
	v_dot4_i32_i8 v39, v37, v39, 0
	v_dot4_i32_i8 v43, v38, v40, v39
	ds_read2_b32 v[39:40], v59 offset0:2 offset1:3
	v_mul_lo_u32 v243, v243, v221
	v_cvt_f32_i32_e32 v242, v242
	v_mul_lo_u32 v244, v244, v214
	v_mul_lo_u32 v245, v245, v219
	s_waitcnt lgkmcnt(0)
	v_dot4_i32_i8 v41, v39, v41, v43
	v_dot4_i32_i8 v43, v40, v42, v41
	ds_read2_b32 v[41:42], v59 offset0:4 offset1:5
	v_cvt_f32_i32_e32 v243, v243
	v_cvt_f32_i32_e32 v244, v244
	;; [unrolled: 1-line block ×3, first 2 shown]
	v_mul_lo_u32 v247, v247, v215
	s_waitcnt lgkmcnt(0)
	v_dot4_i32_i8 v43, v41, v55, v43
	v_dot4_i32_i8 v52, v42, v56, v43
	ds_read2_b32 v[43:44], v59 offset0:6 offset1:7
	ds_read_u16 v209, v51
	ds_read_u16 v230, v51 offset:8
	v_cvt_f32_i32_e32 v247, v247
	s_waitcnt lgkmcnt(2)
	v_dot4_i32_i8 v52, v43, v57, v52
	v_dot4_i32_i8 v248, v44, v58, v52
	ds_read2_b32 v[51:52], v59 offset0:8 offset1:9
	s_waitcnt lgkmcnt(2)
	v_and_b32_e32 v207, 0xff, v209
	s_waitcnt lgkmcnt(1)
	v_cvt_f32_ubyte0_e32 v206, v230
	s_waitcnt lgkmcnt(0)
	v_dot4_i32_i8 v55, v51, v222, 0
	v_dot4_i32_i8 v57, v52, v223, v55
	ds_read2_b32 v[55:56], v59 offset0:10 offset1:11
	v_or_b32_e32 v222, s1, v152
	v_lshlrev_b32_e32 v234, 2, v222
	v_lshrrev_b32_e32 v240, 1, v222
	s_waitcnt lgkmcnt(0)
	v_dot4_i32_i8 v57, v55, v224, v57
	v_dot4_i32_i8 v60, v56, v225, v57
	ds_read2_b32 v[57:58], v59 offset0:12 offset1:13
	s_waitcnt lgkmcnt(0)
	v_dot4_i32_i8 v60, v57, v226, v60
	v_dot4_i32_i8 v211, v58, v227, v60
	ds_read2_b32 v[59:60], v59 offset0:14 offset1:15
	s_waitcnt lgkmcnt(0)
	v_dot4_i32_i8 v211, v59, v228, v211
	v_dot4_i32_i8 v249, v60, v229, v211
	v_lshrrev_b16_e32 v211, 8, v209
	v_cvt_f32_ubyte1_e32 v209, v230
	ds_read_b128 v[222:225], v234 offset:33280
	ds_read_b128 v[226:229], v234 offset:33296
	;; [unrolled: 1-line block ×4, first 2 shown]
	s_waitcnt lgkmcnt(3)
	v_dot4_i32_i8 v239, v77, v222, 0
	v_dot4_i32_i8 v239, v78, v223, v239
	v_dot4_i32_i8 v239, v81, v224, v239
	v_dot4_i32_i8 v239, v82, v225, v239
	s_waitcnt lgkmcnt(2)
	v_dot4_i32_i8 v239, v85, v226, v239
	v_dot4_i32_i8 v239, v86, v227, v239
	v_dot4_i32_i8 v239, v89, v228, v239
	v_dot4_i32_i8 v250, v90, v229, v239
	;; [unrolled: 5-line block ×4, first 2 shown]
	v_mul_lo_u32 v250, v250, v218
	v_mul_lo_u32 v251, v251, v221
	ds_read_b64 v[238:239], v238 offset:43584
	ds_read_b64 v[240:241], v240 offset:43584
	v_cvt_f32_i32_e32 v250, v250
	v_cvt_f32_i32_e32 v251, v251
	s_waitcnt lgkmcnt(1)
	v_fma_mix_f32 v242, v238, v242, 0 op_sel_hi:[1,0,0]
	v_fma_mix_f32 v253, v216, v238, 0 op_sel:[0,1,0] op_sel_hi:[0,1,0]
	s_waitcnt lgkmcnt(0)
	v_fma_mix_f32 v250, v240, v250, 0 op_sel_hi:[1,0,0]
	v_fma_mix_f32 v252, v216, v240, 0 op_sel:[0,1,0] op_sel_hi:[0,1,0]
	v_fma_mix_f32 v242, v239, v243, v242 op_sel_hi:[1,0,0]
	v_fma_mix_f32 v243, v220, v239, v253 op_sel:[0,1,0] op_sel_hi:[0,1,0]
	;; [unrolled: 2-line block ×3, first 2 shown]
	v_mul_f32_e32 v243, v243, v102
	v_mul_f32_e32 v251, v251, v199
	v_fma_f32 v242, v242, v101, -v243
	v_fma_f32 v243, v250, v198, -v251
	v_add_f32_e32 v2, v2, v242
	v_dot4_i32_i8 v242, v61, v222, 0
	v_add_f32_e32 v3, v3, v243
	v_dot4_i32_i8 v242, v62, v223, v242
	v_dot4_i32_i8 v243, v79, v230, 0
	;; [unrolled: 1-line block ×15, first 2 shown]
	v_mul_lo_u32 v242, v242, v214
	v_mul_lo_u32 v243, v243, v219
	v_fma_mix_f32 v244, v238, v244, 0 op_sel_hi:[1,0,0]
	v_fma_mix_f32 v250, v212, v240, 0 op_sel:[0,1,0] op_sel_hi:[0,1,0]
	v_cvt_f32_i32_e32 v242, v242
	v_cvt_f32_i32_e32 v243, v243
	v_fma_mix_f32 v251, v212, v238, 0 op_sel:[0,1,0] op_sel_hi:[0,1,0]
	v_fma_mix_f32 v242, v240, v242, 0 op_sel_hi:[1,0,0]
	v_fma_mix_f32 v242, v241, v243, v242 op_sel_hi:[1,0,0]
	;; [unrolled: 1-line block ×3, first 2 shown]
	v_fma_mix_f32 v245, v217, v241, v250 op_sel:[0,1,0] op_sel_hi:[0,1,0]
	v_mul_f32_e32 v245, v245, v201
	v_fma_f32 v242, v242, v200, -v245
	v_add_f32_e32 v32, v32, v242
	v_dot4_i32_i8 v242, v45, v222, 0
	v_dot4_i32_i8 v222, v37, v222, 0
	;; [unrolled: 1-line block ×9, first 2 shown]
	v_fma_mix_f32 v244, v217, v239, v251 op_sel:[0,1,0] op_sel_hi:[0,1,0]
	v_dot4_i32_i8 v222, v41, v226, v222
	v_dot4_i32_i8 v223, v56, v233, v223
	v_mul_f32_e32 v244, v244, v193
	v_dot4_i32_i8 v222, v42, v227, v222
	v_dot4_i32_i8 v223, v57, v234, v223
	v_fma_f32 v243, v243, v192, -v244
	v_dot4_i32_i8 v222, v43, v228, v222
	v_dot4_i32_i8 v223, v58, v235, v223
	v_add_f32_e32 v31, v31, v243
	v_dot4_i32_i8 v242, v47, v224, v242
	v_dot4_i32_i8 v243, v67, v230, 0
	;; [unrolled: 1-line block ×7, first 2 shown]
	v_mul_lo_u32 v222, v222, v207
	v_dot4_i32_i8 v242, v49, v226, v242
	v_dot4_i32_i8 v243, v71, v232, v243
	v_mul_lo_u32 v224, v248, v207
	v_mul_lo_u32 v223, v223, v211
	v_dot4_i32_i8 v242, v50, v227, v242
	v_dot4_i32_i8 v243, v72, v233, v243
	v_mul_lo_u32 v227, v249, v211
	v_dot4_i32_i8 v243, v73, v234, v243
	v_dot4_i32_i8 v242, v53, v228, v242
	;; [unrolled: 1-line block ×3, first 2 shown]
	v_cvt_f32_i32_e32 v222, v222
	v_dot4_i32_i8 v242, v54, v229, v242
	v_dot4_i32_i8 v243, v75, v236, v243
	v_mul_lo_u32 v244, v246, v210
	v_cvt_f32_i32_e32 v224, v224
	v_cvt_f32_i32_e32 v223, v223
	v_dot4_i32_i8 v243, v76, v237, v243
	v_mul_lo_u32 v242, v242, v210
	v_cvt_f32_i32_e32 v227, v227
	v_mul_lo_u32 v243, v243, v215
	v_fma_mix_f32 v225, v206, v240, 0 op_sel:[0,1,0] op_sel_hi:[0,1,0]
	v_fma_mix_f32 v222, v240, v222, 0 op_sel_hi:[1,0,0]
	v_fma_mix_f32 v225, v209, v241, v225 op_sel:[0,1,0] op_sel_hi:[0,1,0]
	v_cvt_f32_i32_e32 v244, v244
	v_fma_mix_f32 v224, v238, v224, 0 op_sel_hi:[1,0,0]
	v_fma_mix_f32 v226, v206, v238, 0 op_sel:[0,1,0] op_sel_hi:[0,1,0]
	v_fma_mix_f32 v222, v241, v223, v222 op_sel_hi:[1,0,0]
	v_mul_f32_e32 v225, v225, v205
	v_cvt_f32_i32_e32 v242, v242
	v_fma_mix_f32 v223, v239, v227, v224 op_sel_hi:[1,0,0]
	v_fma_mix_f32 v224, v209, v239, v226 op_sel:[0,1,0] op_sel_hi:[0,1,0]
	v_fma_f32 v222, v222, v204, -v225
	v_cvt_f32_i32_e32 v243, v243
	v_mul_f32_e32 v224, v224, v197
	v_add_f32_e32 v36, v36, v222
	v_or_b32_e32 v222, s1, v153
	v_fma_f32 v223, v223, v196, -v224
	v_lshlrev_b32_e32 v234, 2, v222
	v_fma_mix_f32 v244, v238, v244, 0 op_sel_hi:[1,0,0]
	v_fma_mix_f32 v246, v208, v238, 0 op_sel:[0,1,0] op_sel_hi:[0,1,0]
	v_add_f32_e32 v35, v35, v223
	v_lshrrev_b32_e32 v238, 1, v222
	ds_read_b128 v[222:225], v234 offset:33280
	ds_read_b128 v[226:229], v234 offset:33296
	ds_read_b128 v[230:233], v234 offset:33312
	ds_read_b128 v[234:237], v234 offset:33328
	v_fma_mix_f32 v242, v240, v242, 0 op_sel_hi:[1,0,0]
	v_fma_mix_f32 v242, v241, v243, v242 op_sel_hi:[1,0,0]
	;; [unrolled: 1-line block ×3, first 2 shown]
	v_fma_mix_f32 v244, v213, v239, v246 op_sel:[0,1,0] op_sel_hi:[0,1,0]
	s_waitcnt lgkmcnt(3)
	v_dot4_i32_i8 v239, v77, v222, 0
	v_dot4_i32_i8 v239, v78, v223, v239
	;; [unrolled: 1-line block ×3, first 2 shown]
	v_fma_mix_f32 v245, v208, v240, 0 op_sel:[0,1,0] op_sel_hi:[0,1,0]
	v_dot4_i32_i8 v239, v82, v225, v239
	v_fma_mix_f32 v245, v213, v241, v245 op_sel:[0,1,0] op_sel_hi:[0,1,0]
	s_waitcnt lgkmcnt(2)
	v_dot4_i32_i8 v239, v85, v226, v239
	v_mul_f32_e32 v245, v245, v203
	v_dot4_i32_i8 v239, v86, v227, v239
	v_fma_f32 v242, v242, v202, -v245
	v_dot4_i32_i8 v239, v89, v228, v239
	v_add_f32_e32 v34, v34, v242
	v_dot4_i32_i8 v242, v90, v229, v239
	s_waitcnt lgkmcnt(1)
	v_dot4_i32_i8 v239, v93, v230, 0
	v_dot4_i32_i8 v239, v94, v231, v239
	;; [unrolled: 1-line block ×4, first 2 shown]
	s_waitcnt lgkmcnt(0)
	v_dot4_i32_i8 v239, v97, v234, v239
	v_mul_f32_e32 v244, v244, v195
	v_dot4_i32_i8 v239, v98, v235, v239
	v_fma_f32 v243, v243, v194, -v244
	v_dot4_i32_i8 v239, v99, v236, v239
	v_add_f32_e32 v33, v33, v243
	v_dot4_i32_i8 v243, v100, v237, v239
	v_dot4_i32_i8 v239, v61, v222, 0
	v_dot4_i32_i8 v239, v62, v223, v239
	v_dot4_i32_i8 v239, v63, v224, v239
	v_dot4_i32_i8 v239, v64, v225, v239
	v_dot4_i32_i8 v239, v65, v226, v239
	v_dot4_i32_i8 v239, v66, v227, v239
	v_dot4_i32_i8 v239, v69, v228, v239
	v_dot4_i32_i8 v244, v70, v229, v239
	v_dot4_i32_i8 v239, v79, v230, 0
	v_dot4_i32_i8 v239, v80, v231, v239
	v_dot4_i32_i8 v239, v83, v232, v239
	v_dot4_i32_i8 v239, v84, v233, v239
	v_dot4_i32_i8 v239, v87, v234, v239
	v_dot4_i32_i8 v239, v88, v235, v239
	v_dot4_i32_i8 v239, v91, v236, v239
	v_dot4_i32_i8 v245, v92, v237, v239
	v_dot4_i32_i8 v239, v45, v222, 0
	v_dot4_i32_i8 v222, v37, v222, 0
	v_dot4_i32_i8 v222, v38, v223, v222
	v_dot4_i32_i8 v222, v39, v224, v222
	v_dot4_i32_i8 v239, v46, v223, v239
	v_dot4_i32_i8 v222, v40, v225, v222
	v_dot4_i32_i8 v239, v47, v224, v239
	v_dot4_i32_i8 v222, v41, v226, v222
	v_dot4_i32_i8 v239, v48, v225, v239
	v_dot4_i32_i8 v222, v42, v227, v222
	v_dot4_i32_i8 v239, v49, v226, v239
	v_dot4_i32_i8 v222, v43, v228, v222
	v_dot4_i32_i8 v239, v50, v227, v239
	v_dot4_i32_i8 v248, v44, v229, v222
	v_dot4_i32_i8 v222, v51, v230, 0
	v_dot4_i32_i8 v239, v53, v228, v239
	v_dot4_i32_i8 v222, v52, v231, v222
	v_dot4_i32_i8 v246, v54, v229, v239
	v_dot4_i32_i8 v239, v67, v230, 0
	v_dot4_i32_i8 v222, v55, v232, v222
	v_dot4_i32_i8 v239, v68, v231, v239
	v_dot4_i32_i8 v222, v56, v233, v222
	v_dot4_i32_i8 v239, v71, v232, v239
	v_dot4_i32_i8 v222, v57, v234, v222
	v_dot4_i32_i8 v239, v72, v233, v239
	v_dot4_i32_i8 v222, v58, v235, v222
	v_dot4_i32_i8 v239, v73, v234, v239
	v_dot4_i32_i8 v222, v59, v236, v222
	v_dot4_i32_i8 v239, v74, v235, v239
	v_dot4_i32_i8 v249, v60, v237, v222
	v_or_b32_e32 v222, s1, v154
	v_dot4_i32_i8 v239, v75, v236, v239
	v_lshlrev_b32_e32 v234, 2, v222
	v_dot4_i32_i8 v247, v76, v237, v239
	v_lshrrev_b32_e32 v240, 1, v222
	ds_read_b128 v[222:225], v234 offset:33280
	ds_read_b128 v[226:229], v234 offset:33296
	;; [unrolled: 1-line block ×4, first 2 shown]
	v_mul_lo_u32 v242, v242, v218
	s_waitcnt lgkmcnt(3)
	v_dot4_i32_i8 v239, v77, v222, 0
	v_dot4_i32_i8 v239, v78, v223, v239
	v_dot4_i32_i8 v239, v81, v224, v239
	v_dot4_i32_i8 v239, v82, v225, v239
	s_waitcnt lgkmcnt(2)
	v_dot4_i32_i8 v239, v85, v226, v239
	v_dot4_i32_i8 v239, v86, v227, v239
	v_dot4_i32_i8 v239, v89, v228, v239
	v_dot4_i32_i8 v250, v90, v229, v239
	;; [unrolled: 5-line block ×4, first 2 shown]
	v_mul_lo_u32 v250, v250, v218
	v_mul_lo_u32 v243, v243, v221
	;; [unrolled: 1-line block ×3, first 2 shown]
	ds_read_b64 v[238:239], v238 offset:43584
	ds_read_b64 v[240:241], v240 offset:43584
	v_cvt_f32_i32_e32 v242, v242
	v_cvt_f32_i32_e32 v250, v250
	;; [unrolled: 1-line block ×4, first 2 shown]
	s_waitcnt lgkmcnt(1)
	v_fma_mix_f32 v242, v242, v238, 0 op_sel_hi:[0,1,0]
	v_fma_mix_f32 v253, v216, v238, 0 op_sel:[0,1,0] op_sel_hi:[0,1,0]
	s_waitcnt lgkmcnt(0)
	v_fma_mix_f32 v250, v250, v240, 0 op_sel_hi:[0,1,0]
	v_fma_mix_f32 v252, v216, v240, 0 op_sel:[0,1,0] op_sel_hi:[0,1,0]
	v_fma_mix_f32 v242, v243, v239, v242 op_sel_hi:[0,1,0]
	v_fma_mix_f32 v243, v220, v239, v253 op_sel:[0,1,0] op_sel_hi:[0,1,0]
	;; [unrolled: 2-line block ×3, first 2 shown]
	v_mul_f32_e32 v243, v243, v102
	v_mul_f32_e32 v251, v251, v199
	v_fma_f32 v242, v242, v101, -v243
	v_fma_f32 v243, v250, v198, -v251
	v_add_f32_e32 v23, v23, v242
	v_dot4_i32_i8 v242, v61, v222, 0
	v_add_f32_e32 v24, v24, v243
	v_dot4_i32_i8 v242, v62, v223, v242
	v_dot4_i32_i8 v243, v79, v230, 0
	v_dot4_i32_i8 v242, v63, v224, v242
	v_dot4_i32_i8 v243, v80, v231, v243
	v_dot4_i32_i8 v242, v64, v225, v242
	v_dot4_i32_i8 v243, v83, v232, v243
	v_dot4_i32_i8 v242, v65, v226, v242
	v_dot4_i32_i8 v243, v84, v233, v243
	v_dot4_i32_i8 v242, v66, v227, v242
	v_dot4_i32_i8 v243, v87, v234, v243
	v_dot4_i32_i8 v242, v69, v228, v242
	v_dot4_i32_i8 v243, v88, v235, v243
	v_dot4_i32_i8 v242, v70, v229, v242
	v_dot4_i32_i8 v243, v91, v236, v243
	v_dot4_i32_i8 v243, v92, v237, v243
	v_mul_lo_u32 v244, v244, v214
	v_mul_lo_u32 v242, v242, v214
	;; [unrolled: 1-line block ×4, first 2 shown]
	v_cvt_f32_i32_e32 v244, v244
	v_cvt_f32_i32_e32 v242, v242
	;; [unrolled: 1-line block ×4, first 2 shown]
	v_fma_mix_f32 v244, v244, v238, 0 op_sel_hi:[0,1,0]
	v_fma_mix_f32 v242, v242, v240, 0 op_sel_hi:[0,1,0]
	v_fma_mix_f32 v250, v212, v240, 0 op_sel:[0,1,0] op_sel_hi:[0,1,0]
	v_fma_mix_f32 v242, v243, v241, v242 op_sel_hi:[0,1,0]
	v_fma_mix_f32 v243, v245, v239, v244 op_sel_hi:[0,1,0]
	v_fma_mix_f32 v245, v217, v241, v250 op_sel:[0,1,0] op_sel_hi:[0,1,0]
	v_mul_f32_e32 v245, v245, v201
	v_fma_f32 v242, v242, v200, -v245
	v_add_f32_e32 v26, v26, v242
	v_dot4_i32_i8 v242, v45, v222, 0
	v_dot4_i32_i8 v222, v37, v222, 0
	v_dot4_i32_i8 v242, v46, v223, v242
	v_dot4_i32_i8 v222, v38, v223, v222
	v_dot4_i32_i8 v223, v51, v230, 0
	v_dot4_i32_i8 v222, v39, v224, v222
	v_dot4_i32_i8 v223, v52, v231, v223
	v_fma_mix_f32 v251, v212, v238, 0 op_sel:[0,1,0] op_sel_hi:[0,1,0]
	v_dot4_i32_i8 v222, v40, v225, v222
	v_dot4_i32_i8 v223, v55, v232, v223
	v_fma_mix_f32 v244, v217, v239, v251 op_sel:[0,1,0] op_sel_hi:[0,1,0]
	v_dot4_i32_i8 v222, v41, v226, v222
	v_dot4_i32_i8 v223, v56, v233, v223
	v_mul_f32_e32 v244, v244, v193
	v_dot4_i32_i8 v222, v42, v227, v222
	v_dot4_i32_i8 v223, v57, v234, v223
	v_fma_f32 v243, v243, v192, -v244
	v_dot4_i32_i8 v222, v43, v228, v222
	v_dot4_i32_i8 v223, v58, v235, v223
	v_add_f32_e32 v25, v25, v243
	v_dot4_i32_i8 v242, v47, v224, v242
	v_dot4_i32_i8 v243, v67, v230, 0
	v_dot4_i32_i8 v222, v44, v229, v222
	v_dot4_i32_i8 v223, v59, v236, v223
	v_dot4_i32_i8 v242, v48, v225, v242
	v_dot4_i32_i8 v243, v68, v231, v243
	v_dot4_i32_i8 v223, v60, v237, v223
	v_mul_lo_u32 v222, v222, v207
	v_dot4_i32_i8 v242, v49, v226, v242
	v_dot4_i32_i8 v243, v71, v232, v243
	v_mul_lo_u32 v224, v248, v207
	v_mul_lo_u32 v223, v223, v211
	v_dot4_i32_i8 v242, v50, v227, v242
	v_dot4_i32_i8 v243, v72, v233, v243
	v_mul_lo_u32 v227, v249, v211
	v_dot4_i32_i8 v243, v73, v234, v243
	v_dot4_i32_i8 v242, v53, v228, v242
	v_dot4_i32_i8 v243, v74, v235, v243
	v_cvt_f32_i32_e32 v222, v222
	v_dot4_i32_i8 v242, v54, v229, v242
	v_dot4_i32_i8 v243, v75, v236, v243
	v_mul_lo_u32 v244, v246, v210
	v_cvt_f32_i32_e32 v224, v224
	v_cvt_f32_i32_e32 v223, v223
	v_dot4_i32_i8 v243, v76, v237, v243
	v_mul_lo_u32 v242, v242, v210
	v_cvt_f32_i32_e32 v227, v227
	v_mul_lo_u32 v243, v243, v215
	v_mul_lo_u32 v247, v247, v215
	v_fma_mix_f32 v225, v206, v240, 0 op_sel:[0,1,0] op_sel_hi:[0,1,0]
	v_fma_mix_f32 v222, v222, v240, 0 op_sel_hi:[0,1,0]
	v_fma_mix_f32 v225, v209, v241, v225 op_sel:[0,1,0] op_sel_hi:[0,1,0]
	v_cvt_f32_i32_e32 v244, v244
	v_fma_mix_f32 v224, v224, v238, 0 op_sel_hi:[0,1,0]
	v_fma_mix_f32 v226, v206, v238, 0 op_sel:[0,1,0] op_sel_hi:[0,1,0]
	v_fma_mix_f32 v222, v223, v241, v222 op_sel_hi:[0,1,0]
	v_mul_f32_e32 v225, v225, v205
	v_cvt_f32_i32_e32 v242, v242
	v_fma_mix_f32 v223, v227, v239, v224 op_sel_hi:[0,1,0]
	v_fma_mix_f32 v224, v209, v239, v226 op_sel:[0,1,0] op_sel_hi:[0,1,0]
	v_fma_f32 v222, v222, v204, -v225
	v_cvt_f32_i32_e32 v247, v247
	v_cvt_f32_i32_e32 v243, v243
	v_mul_f32_e32 v224, v224, v197
	v_add_f32_e32 v30, v30, v222
	v_or_b32_e32 v222, s1, v155
	v_fma_f32 v223, v223, v196, -v224
	v_lshlrev_b32_e32 v234, 2, v222
	v_fma_mix_f32 v244, v244, v238, 0 op_sel_hi:[0,1,0]
	v_fma_mix_f32 v246, v208, v238, 0 op_sel:[0,1,0] op_sel_hi:[0,1,0]
	v_add_f32_e32 v29, v29, v223
	v_lshrrev_b32_e32 v238, 1, v222
	ds_read_b128 v[222:225], v234 offset:33280
	ds_read_b128 v[226:229], v234 offset:33296
	;; [unrolled: 1-line block ×4, first 2 shown]
	v_fma_mix_f32 v242, v242, v240, 0 op_sel_hi:[0,1,0]
	v_fma_mix_f32 v242, v243, v241, v242 op_sel_hi:[0,1,0]
	;; [unrolled: 1-line block ×3, first 2 shown]
	v_fma_mix_f32 v244, v213, v239, v246 op_sel:[0,1,0] op_sel_hi:[0,1,0]
	s_waitcnt lgkmcnt(3)
	v_dot4_i32_i8 v239, v77, v222, 0
	v_dot4_i32_i8 v239, v78, v223, v239
	;; [unrolled: 1-line block ×3, first 2 shown]
	v_fma_mix_f32 v245, v208, v240, 0 op_sel:[0,1,0] op_sel_hi:[0,1,0]
	v_dot4_i32_i8 v239, v82, v225, v239
	v_fma_mix_f32 v245, v213, v241, v245 op_sel:[0,1,0] op_sel_hi:[0,1,0]
	s_waitcnt lgkmcnt(2)
	v_dot4_i32_i8 v239, v85, v226, v239
	v_mul_f32_e32 v245, v245, v203
	v_dot4_i32_i8 v239, v86, v227, v239
	v_fma_f32 v242, v242, v202, -v245
	v_dot4_i32_i8 v239, v89, v228, v239
	v_add_f32_e32 v28, v28, v242
	v_dot4_i32_i8 v242, v90, v229, v239
	s_waitcnt lgkmcnt(1)
	v_dot4_i32_i8 v239, v93, v230, 0
	v_dot4_i32_i8 v239, v94, v231, v239
	;; [unrolled: 1-line block ×4, first 2 shown]
	s_waitcnt lgkmcnt(0)
	v_dot4_i32_i8 v239, v97, v234, v239
	v_mul_f32_e32 v244, v244, v195
	v_dot4_i32_i8 v239, v98, v235, v239
	v_fma_f32 v243, v243, v194, -v244
	v_dot4_i32_i8 v239, v99, v236, v239
	v_add_f32_e32 v27, v27, v243
	v_dot4_i32_i8 v243, v100, v237, v239
	v_dot4_i32_i8 v239, v61, v222, 0
	;; [unrolled: 1-line block ×47, first 2 shown]
	v_or_b32_e32 v222, s1, v156
	v_dot4_i32_i8 v239, v75, v236, v239
	v_lshlrev_b32_e32 v234, 2, v222
	v_dot4_i32_i8 v247, v76, v237, v239
	v_lshrrev_b32_e32 v240, 1, v222
	ds_read_b128 v[222:225], v234 offset:33280
	ds_read_b128 v[226:229], v234 offset:33296
	;; [unrolled: 1-line block ×4, first 2 shown]
	v_mul_lo_u32 v242, v242, v218
	s_waitcnt lgkmcnt(3)
	v_dot4_i32_i8 v239, v77, v222, 0
	v_dot4_i32_i8 v239, v78, v223, v239
	v_dot4_i32_i8 v239, v81, v224, v239
	v_dot4_i32_i8 v239, v82, v225, v239
	s_waitcnt lgkmcnt(2)
	v_dot4_i32_i8 v239, v85, v226, v239
	v_dot4_i32_i8 v239, v86, v227, v239
	v_dot4_i32_i8 v239, v89, v228, v239
	v_dot4_i32_i8 v250, v90, v229, v239
	;; [unrolled: 5-line block ×4, first 2 shown]
	v_mul_lo_u32 v250, v250, v218
	v_mul_lo_u32 v243, v243, v221
	;; [unrolled: 1-line block ×3, first 2 shown]
	ds_read_b64 v[238:239], v238 offset:43584
	ds_read_b64 v[240:241], v240 offset:43584
	v_cvt_f32_i32_e32 v242, v242
	v_cvt_f32_i32_e32 v250, v250
	;; [unrolled: 1-line block ×4, first 2 shown]
	s_waitcnt lgkmcnt(1)
	v_fma_mix_f32 v242, v242, v238, 0 op_sel_hi:[0,1,0]
	v_fma_mix_f32 v253, v216, v238, 0 op_sel:[0,1,0] op_sel_hi:[0,1,0]
	s_waitcnt lgkmcnt(0)
	v_fma_mix_f32 v250, v250, v240, 0 op_sel_hi:[0,1,0]
	v_fma_mix_f32 v252, v216, v240, 0 op_sel:[0,1,0] op_sel_hi:[0,1,0]
	v_fma_mix_f32 v242, v243, v239, v242 op_sel_hi:[0,1,0]
	v_fma_mix_f32 v243, v220, v239, v253 op_sel:[0,1,0] op_sel_hi:[0,1,0]
	;; [unrolled: 2-line block ×3, first 2 shown]
	v_mul_f32_e32 v243, v243, v102
	v_mul_f32_e32 v251, v251, v199
	v_fma_f32 v242, v242, v101, -v243
	v_fma_f32 v243, v250, v198, -v251
	v_add_f32_e32 v15, v15, v242
	v_dot4_i32_i8 v242, v61, v222, 0
	v_add_f32_e32 v16, v16, v243
	v_dot4_i32_i8 v242, v62, v223, v242
	v_dot4_i32_i8 v243, v79, v230, 0
	;; [unrolled: 1-line block ×15, first 2 shown]
	v_mul_lo_u32 v244, v244, v214
	v_mul_lo_u32 v242, v242, v214
	;; [unrolled: 1-line block ×4, first 2 shown]
	v_cvt_f32_i32_e32 v244, v244
	v_cvt_f32_i32_e32 v242, v242
	;; [unrolled: 1-line block ×4, first 2 shown]
	v_fma_mix_f32 v244, v244, v238, 0 op_sel_hi:[0,1,0]
	v_fma_mix_f32 v242, v242, v240, 0 op_sel_hi:[0,1,0]
	v_fma_mix_f32 v250, v212, v240, 0 op_sel:[0,1,0] op_sel_hi:[0,1,0]
	v_fma_mix_f32 v242, v243, v241, v242 op_sel_hi:[0,1,0]
	v_fma_mix_f32 v243, v245, v239, v244 op_sel_hi:[0,1,0]
	v_fma_mix_f32 v245, v217, v241, v250 op_sel:[0,1,0] op_sel_hi:[0,1,0]
	v_mul_f32_e32 v245, v245, v201
	v_fma_f32 v242, v242, v200, -v245
	v_fma_mix_f32 v251, v212, v238, 0 op_sel:[0,1,0] op_sel_hi:[0,1,0]
	v_add_f32_e32 v18, v18, v242
	v_dot4_i32_i8 v242, v45, v222, 0
	v_dot4_i32_i8 v222, v37, v222, 0
	v_fma_mix_f32 v244, v217, v239, v251 op_sel:[0,1,0] op_sel_hi:[0,1,0]
	v_dot4_i32_i8 v242, v46, v223, v242
	v_dot4_i32_i8 v222, v38, v223, v222
	;; [unrolled: 1-line block ×3, first 2 shown]
	v_mul_f32_e32 v244, v244, v193
	v_dot4_i32_i8 v222, v39, v224, v222
	v_dot4_i32_i8 v223, v52, v231, v223
	v_fma_f32 v243, v243, v192, -v244
	v_dot4_i32_i8 v222, v40, v225, v222
	v_dot4_i32_i8 v223, v55, v232, v223
	v_add_f32_e32 v17, v17, v243
	v_dot4_i32_i8 v243, v67, v230, 0
	v_dot4_i32_i8 v222, v41, v226, v222
	;; [unrolled: 1-line block ×18, first 2 shown]
	v_mul_lo_u32 v222, v222, v207
	v_dot4_i32_i8 v242, v53, v228, v242
	v_dot4_i32_i8 v243, v74, v235, v243
	v_mul_lo_u32 v224, v248, v207
	v_mul_lo_u32 v223, v223, v211
	v_dot4_i32_i8 v242, v54, v229, v242
	v_dot4_i32_i8 v243, v75, v236, v243
	v_mul_lo_u32 v227, v249, v211
	v_dot4_i32_i8 v243, v76, v237, v243
	v_mul_lo_u32 v244, v246, v210
	v_mul_lo_u32 v242, v242, v210
	;; [unrolled: 1-line block ×4, first 2 shown]
	v_cvt_f32_i32_e32 v222, v222
	v_cvt_f32_i32_e32 v224, v224
	;; [unrolled: 1-line block ×6, first 2 shown]
	v_fma_mix_f32 v225, v206, v240, 0 op_sel:[0,1,0] op_sel_hi:[0,1,0]
	v_cvt_f32_i32_e32 v247, v247
	v_cvt_f32_i32_e32 v243, v243
	v_fma_mix_f32 v222, v222, v240, 0 op_sel_hi:[0,1,0]
	v_fma_mix_f32 v225, v209, v241, v225 op_sel:[0,1,0] op_sel_hi:[0,1,0]
	v_fma_mix_f32 v224, v224, v238, 0 op_sel_hi:[0,1,0]
	v_fma_mix_f32 v226, v206, v238, 0 op_sel:[0,1,0] op_sel_hi:[0,1,0]
	v_fma_mix_f32 v222, v223, v241, v222 op_sel_hi:[0,1,0]
	v_mul_f32_e32 v225, v225, v205
	v_fma_mix_f32 v223, v227, v239, v224 op_sel_hi:[0,1,0]
	v_fma_mix_f32 v224, v209, v239, v226 op_sel:[0,1,0] op_sel_hi:[0,1,0]
	v_fma_f32 v222, v222, v204, -v225
	v_fma_mix_f32 v244, v244, v238, 0 op_sel_hi:[0,1,0]
	v_fma_mix_f32 v242, v242, v240, 0 op_sel_hi:[0,1,0]
	v_fma_mix_f32 v246, v208, v238, 0 op_sel:[0,1,0] op_sel_hi:[0,1,0]
	v_mul_f32_e32 v224, v224, v197
	v_add_f32_e32 v22, v22, v222
	v_or_b32_e32 v222, s1, v157
	v_fma_mix_f32 v242, v243, v241, v242 op_sel_hi:[0,1,0]
	v_fma_mix_f32 v243, v247, v239, v244 op_sel_hi:[0,1,0]
	v_fma_mix_f32 v244, v213, v239, v246 op_sel:[0,1,0] op_sel_hi:[0,1,0]
	v_fma_f32 v223, v223, v196, -v224
	v_lshlrev_b32_e32 v234, 2, v222
	v_mul_f32_e32 v244, v244, v195
	v_add_f32_e32 v21, v21, v223
	v_lshrrev_b32_e32 v238, 1, v222
	ds_read_b128 v[222:225], v234 offset:33280
	ds_read_b128 v[226:229], v234 offset:33296
	;; [unrolled: 1-line block ×4, first 2 shown]
	v_fma_mix_f32 v245, v208, v240, 0 op_sel:[0,1,0] op_sel_hi:[0,1,0]
	v_fma_f32 v243, v243, v194, -v244
	v_fma_mix_f32 v245, v213, v241, v245 op_sel:[0,1,0] op_sel_hi:[0,1,0]
	v_add_f32_e32 v19, v19, v243
	s_waitcnt lgkmcnt(3)
	v_dot4_i32_i8 v239, v77, v222, 0
	v_dot4_i32_i8 v241, v61, v222, 0
	v_dot4_i32_i8 v243, v45, v222, 0
	v_dot4_i32_i8 v222, v37, v222, 0
	v_dot4_i32_i8 v222, v38, v223, v222
	v_dot4_i32_i8 v222, v39, v224, v222
	v_dot4_i32_i8 v222, v40, v225, v222
	s_waitcnt lgkmcnt(2)
	v_dot4_i32_i8 v222, v41, v226, v222
	v_dot4_i32_i8 v222, v42, v227, v222
	v_mul_f32_e32 v245, v245, v203
	v_dot4_i32_i8 v222, v43, v228, v222
	v_fma_f32 v242, v242, v202, -v245
	v_dot4_i32_i8 v245, v44, v229, v222
	s_waitcnt lgkmcnt(1)
	v_dot4_i32_i8 v222, v51, v230, 0
	v_dot4_i32_i8 v222, v52, v231, v222
	v_add_f32_e32 v20, v20, v242
	v_dot4_i32_i8 v240, v93, v230, 0
	v_dot4_i32_i8 v242, v79, v230, 0
	;; [unrolled: 1-line block ×17, first 2 shown]
	s_waitcnt lgkmcnt(0)
	v_dot4_i32_i8 v222, v57, v234, v222
	v_dot4_i32_i8 v239, v82, v225, v239
	;; [unrolled: 1-line block ×22, first 2 shown]
	v_or_b32_e32 v222, s1, v158
	v_dot4_i32_i8 v239, v89, v228, v239
	v_dot4_i32_i8 v240, v99, v236, v240
	;; [unrolled: 1-line block ×6, first 2 shown]
	v_lshlrev_b32_e32 v234, 2, v222
	v_dot4_i32_i8 v239, v90, v229, v239
	v_dot4_i32_i8 v240, v100, v237, v240
	;; [unrolled: 1-line block ×6, first 2 shown]
	v_lshrrev_b32_e32 v247, 1, v222
	ds_read_b128 v[222:225], v234 offset:33280
	ds_read_b128 v[226:229], v234 offset:33296
	;; [unrolled: 1-line block ×4, first 2 shown]
	s_add_i32 s1, s0, 8
	s_waitcnt lgkmcnt(3)
	v_dot4_i32_i8 v77, v77, v222, 0
	v_dot4_i32_i8 v77, v78, v223, v77
	;; [unrolled: 1-line block ×4, first 2 shown]
	s_waitcnt lgkmcnt(2)
	v_dot4_i32_i8 v77, v85, v226, v77
	v_dot4_i32_i8 v77, v86, v227, v77
	v_dot4_i32_i8 v77, v89, v228, v77
	v_dot4_i32_i8 v61, v61, v222, 0
	v_dot4_i32_i8 v45, v45, v222, 0
	v_dot4_i32_i8 v37, v37, v222, 0
	v_dot4_i32_i8 v85, v90, v229, v77
	s_waitcnt lgkmcnt(1)
	v_dot4_i32_i8 v77, v93, v230, 0
	v_dot4_i32_i8 v61, v62, v223, v61
	;; [unrolled: 1-line block ×28, first 2 shown]
	s_waitcnt lgkmcnt(0)
	v_dot4_i32_i8 v77, v97, v234, v77
	v_dot4_i32_i8 v61, v66, v227, v61
	;; [unrolled: 1-line block ×22, first 2 shown]
	v_mul_lo_u32 v89, v239, v218
	v_mul_lo_u32 v85, v85, v218
	v_dot4_i32_i8 v62, v92, v237, v62
	v_mul_lo_u32 v63, v241, v214
	v_mul_lo_u32 v61, v61, v214
	v_dot4_i32_i8 v46, v76, v237, v46
	;; [unrolled: 3-line block ×3, first 2 shown]
	v_mul_lo_u32 v39, v245, v207
	v_mul_lo_u32 v37, v37, v207
	;; [unrolled: 1-line block ×10, first 2 shown]
	ds_read_b64 v[77:78], v238 offset:43584
	ds_read_b64 v[81:82], v247 offset:43584
	v_cvt_f32_i32_e32 v85, v85
	v_cvt_f32_i32_e32 v89, v89
	;; [unrolled: 1-line block ×16, first 2 shown]
	s_waitcnt lgkmcnt(1)
	v_fma_mix_f32 v89, v89, v77, 0 op_sel_hi:[0,1,0]
	s_waitcnt lgkmcnt(0)
	v_fma_mix_f32 v85, v85, v81, 0 op_sel_hi:[0,1,0]
	v_fma_mix_f32 v90, v216, v81, 0 op_sel:[0,1,0] op_sel_hi:[0,1,0]
	v_fma_mix_f32 v93, v216, v77, 0 op_sel:[0,1,0] op_sel_hi:[0,1,0]
	v_fma_mix_f32 v63, v63, v77, 0 op_sel_hi:[0,1,0]
	v_fma_mix_f32 v61, v61, v81, 0 op_sel_hi:[0,1,0]
	v_fma_mix_f32 v64, v212, v81, 0 op_sel:[0,1,0] op_sel_hi:[0,1,0]
	v_fma_mix_f32 v65, v212, v77, 0 op_sel:[0,1,0] op_sel_hi:[0,1,0]
	v_fma_mix_f32 v47, v47, v77, 0 op_sel_hi:[0,1,0]
	;; [unrolled: 4-line block ×7, first 2 shown]
	v_fma_mix_f32 v38, v42, v78, v39 op_sel_hi:[0,1,0]
	v_fma_mix_f32 v39, v209, v78, v41 op_sel:[0,1,0] op_sel_hi:[0,1,0]
	v_fma_mix_f32 v40, v209, v82, v40 op_sel:[0,1,0] op_sel_hi:[0,1,0]
	v_mul_f32_e32 v90, v90, v199
	v_mul_f32_e32 v89, v89, v102
	;; [unrolled: 1-line block ×8, first 2 shown]
	v_fma_f32 v86, v86, v101, -v89
	v_fma_f32 v85, v85, v198, -v90
	;; [unrolled: 1-line block ×8, first 2 shown]
	v_add_f32_e32 v6, v6, v85
	v_add_f32_e32 v5, v5, v86
	;; [unrolled: 1-line block ×8, first 2 shown]
	s_cmp_lt_u32 s0, 24
	s_mov_b32 s0, s1
	s_cbranch_scc1 .LBB153_8
; %bb.9:                                ;   in Loop: Header=BB153_5 Depth=1
	s_add_i32 s7, s7, 1
	s_cmp_eq_u32 s7, s4
	s_barrier
	s_cbranch_scc0 .LBB153_5
; %bb.10:
	v_cvt_f16_f32_e32 v3, v3
	v_cvt_f16_f32_e32 v2, v2
	;; [unrolled: 1-line block ×6, first 2 shown]
	v_pack_b32_f16 v34, v2, v3
	v_pack_b32_f16 v33, v13, v4
	v_cvt_f16_f32_e32 v2, v24
	v_cvt_f16_f32_e32 v3, v23
	;; [unrolled: 1-line block ×4, first 2 shown]
	v_pack_b32_f16 v32, v31, v14
	v_cvt_f16_f32_e32 v14, v28
	v_cvt_f16_f32_e32 v23, v27
	v_pack_b32_f16 v26, v3, v2
	v_pack_b32_f16 v25, v13, v4
	v_cvt_f16_f32_e32 v2, v16
	v_cvt_f16_f32_e32 v3, v15
	v_cvt_f16_f32_e32 v4, v18
	v_cvt_f16_f32_e32 v13, v17
	v_cvt_f16_f32_e32 v36, v36
	v_cvt_f16_f32_e32 v35, v35
	v_cvt_f16_f32_e32 v27, v30
	v_cvt_f16_f32_e32 v28, v29
	v_pack_b32_f16 v24, v23, v14
	v_cvt_f16_f32_e32 v14, v20
	v_cvt_f16_f32_e32 v17, v19
	;; [unrolled: 1-line block ×4, first 2 shown]
	v_pack_b32_f16 v16, v3, v2
	v_pack_b32_f16 v15, v13, v4
	v_cvt_f16_f32_e32 v2, v6
	v_cvt_f16_f32_e32 v3, v5
	;; [unrolled: 1-line block ×8, first 2 shown]
	v_pack_b32_f16 v31, v35, v36
	v_pack_b32_f16 v23, v28, v27
	;; [unrolled: 1-line block ×8, first 2 shown]
	v_mov_b32_e32 v6, v103
.LBB153_11:
	v_cmp_gt_u32_e32 vcc, s8, v6
	s_and_saveexec_b64 s[0:1], vcc
	s_cbranch_execz .LBB153_62
; %bb.12:
	v_mul_lo_u32 v9, v6, s10
	v_add_u32_e32 v0, s6, v0
	v_cmp_gt_u32_e32 vcc, s10, v0
	s_and_saveexec_b64 s[2:3], vcc
	s_cbranch_execz .LBB153_14
; %bb.13:
	v_add_u32_e32 v6, v0, v9
	v_mov_b32_e32 v7, 0
	v_lshlrev_b64 v[6:7], 1, v[6:7]
	s_waitcnt lgkmcnt(0)
	v_mov_b32_e32 v8, s13
	v_add_co_u32_e64 v6, s[0:1], s12, v6
	v_addc_co_u32_e64 v7, s[0:1], v8, v7, s[0:1]
	global_store_short v[6:7], v34, off
.LBB153_14:
	s_or_b64 exec, exec, s[2:3]
	v_add_u32_e32 v6, 32, v0
	v_cmp_gt_u32_e64 s[0:1], s10, v6
	s_and_saveexec_b64 s[4:5], s[0:1]
	s_cbranch_execz .LBB153_16
; %bb.15:
	v_add_u32_e32 v7, v6, v9
	v_mov_b32_e32 v8, 0
	v_lshlrev_b64 v[7:8], 1, v[7:8]
	s_waitcnt lgkmcnt(0)
	v_mov_b32_e32 v10, s13
	v_add_co_u32_e64 v7, s[2:3], s12, v7
	v_addc_co_u32_e64 v8, s[2:3], v10, v8, s[2:3]
	global_store_short v[7:8], v33, off
.LBB153_16:
	s_or_b64 exec, exec, s[4:5]
	v_add_u32_e32 v7, 64, v0
	v_cmp_gt_u32_e64 s[2:3], s10, v7
	s_and_saveexec_b64 s[6:7], s[2:3]
	;; [unrolled: 15-line block ×3, first 2 shown]
	s_cbranch_execz .LBB153_20
; %bb.19:
	v_add_u32_e32 v9, v8, v9
	v_mov_b32_e32 v10, 0
	v_lshlrev_b64 v[9:10], 1, v[9:10]
	s_waitcnt lgkmcnt(0)
	v_mov_b32_e32 v11, s13
	v_add_co_u32_e64 v9, s[6:7], s12, v9
	v_addc_co_u32_e64 v10, s[6:7], v11, v10, s[6:7]
	global_store_short v[9:10], v31, off
.LBB153_20:
	s_or_b64 exec, exec, s[14:15]
	v_add3_u32 v9, v1, s11, 8
	v_cmp_gt_u32_e64 s[6:7], s8, v9
	s_and_b64 exec, exec, s[6:7]
	s_cbranch_execz .LBB153_62
; %bb.21:
	v_mul_lo_u32 v9, v9, s10
	s_and_saveexec_b64 s[14:15], vcc
	s_cbranch_execnz .LBB153_63
; %bb.22:
	s_or_b64 exec, exec, s[14:15]
	s_and_saveexec_b64 s[14:15], s[0:1]
	s_cbranch_execnz .LBB153_64
.LBB153_23:
	s_or_b64 exec, exec, s[14:15]
	s_and_saveexec_b64 s[14:15], s[2:3]
	s_cbranch_execnz .LBB153_65
.LBB153_24:
	s_or_b64 exec, exec, s[14:15]
	s_and_saveexec_b64 s[14:15], s[4:5]
	s_cbranch_execz .LBB153_26
.LBB153_25:
	v_add_u32_e32 v9, v9, v8
	v_mov_b32_e32 v10, 0
	v_lshlrev_b64 v[9:10], 1, v[9:10]
	s_waitcnt lgkmcnt(0)
	v_mov_b32_e32 v11, s13
	v_add_co_u32_e64 v9, s[6:7], s12, v9
	v_addc_co_u32_e64 v10, s[6:7], v11, v10, s[6:7]
	global_store_short_d16_hi v[9:10], v31, off
.LBB153_26:
	s_or_b64 exec, exec, s[14:15]
	v_add3_u32 v9, v1, s11, 16
	v_cmp_gt_u32_e64 s[6:7], s8, v9
	s_and_b64 exec, exec, s[6:7]
	s_cbranch_execz .LBB153_62
; %bb.27:
	v_mul_lo_u32 v9, v9, s10
	s_and_saveexec_b64 s[14:15], vcc
	s_cbranch_execnz .LBB153_66
; %bb.28:
	s_or_b64 exec, exec, s[14:15]
	s_and_saveexec_b64 s[14:15], s[0:1]
	s_cbranch_execnz .LBB153_67
.LBB153_29:
	s_or_b64 exec, exec, s[14:15]
	s_and_saveexec_b64 s[14:15], s[2:3]
	s_cbranch_execnz .LBB153_68
.LBB153_30:
	s_or_b64 exec, exec, s[14:15]
	s_and_saveexec_b64 s[14:15], s[4:5]
	s_cbranch_execz .LBB153_32
.LBB153_31:
	v_add_u32_e32 v9, v9, v8
	v_mov_b32_e32 v10, 0
	v_lshlrev_b64 v[9:10], 1, v[9:10]
	s_waitcnt lgkmcnt(0)
	v_mov_b32_e32 v11, s13
	v_add_co_u32_e64 v9, s[6:7], s12, v9
	v_addc_co_u32_e64 v10, s[6:7], v11, v10, s[6:7]
	global_store_short v[9:10], v23, off
.LBB153_32:
	s_or_b64 exec, exec, s[14:15]
	v_add3_u32 v9, v1, s11, 24
	v_cmp_gt_u32_e64 s[6:7], s8, v9
	s_and_b64 exec, exec, s[6:7]
	s_cbranch_execz .LBB153_62
; %bb.33:
	v_mul_lo_u32 v9, v9, s10
	s_and_saveexec_b64 s[14:15], vcc
	s_cbranch_execnz .LBB153_69
; %bb.34:
	s_or_b64 exec, exec, s[14:15]
	s_and_saveexec_b64 s[14:15], s[0:1]
	s_cbranch_execnz .LBB153_70
.LBB153_35:
	s_or_b64 exec, exec, s[14:15]
	s_and_saveexec_b64 s[14:15], s[2:3]
	s_cbranch_execnz .LBB153_71
.LBB153_36:
	s_or_b64 exec, exec, s[14:15]
	s_and_saveexec_b64 s[14:15], s[4:5]
	s_cbranch_execz .LBB153_38
.LBB153_37:
	v_add_u32_e32 v9, v9, v8
	v_mov_b32_e32 v10, 0
	v_lshlrev_b64 v[9:10], 1, v[9:10]
	s_waitcnt lgkmcnt(0)
	v_mov_b32_e32 v11, s13
	v_add_co_u32_e64 v9, s[6:7], s12, v9
	v_addc_co_u32_e64 v10, s[6:7], v11, v10, s[6:7]
	global_store_short_d16_hi v[9:10], v23, off
.LBB153_38:
	s_or_b64 exec, exec, s[14:15]
	v_add3_u32 v9, v1, s11, 32
	v_cmp_gt_u32_e64 s[6:7], s8, v9
	s_and_b64 exec, exec, s[6:7]
	s_cbranch_execz .LBB153_62
; %bb.39:
	v_mul_lo_u32 v9, v9, s10
	s_and_saveexec_b64 s[14:15], vcc
	s_cbranch_execnz .LBB153_72
; %bb.40:
	s_or_b64 exec, exec, s[14:15]
	s_and_saveexec_b64 s[14:15], s[0:1]
	s_cbranch_execnz .LBB153_73
.LBB153_41:
	s_or_b64 exec, exec, s[14:15]
	s_and_saveexec_b64 s[14:15], s[2:3]
	s_cbranch_execnz .LBB153_74
.LBB153_42:
	s_or_b64 exec, exec, s[14:15]
	s_and_saveexec_b64 s[14:15], s[4:5]
	s_cbranch_execz .LBB153_44
.LBB153_43:
	v_add_u32_e32 v9, v9, v8
	v_mov_b32_e32 v10, 0
	v_lshlrev_b64 v[9:10], 1, v[9:10]
	s_waitcnt lgkmcnt(0)
	v_mov_b32_e32 v11, s13
	v_add_co_u32_e64 v9, s[6:7], s12, v9
	v_addc_co_u32_e64 v10, s[6:7], v11, v10, s[6:7]
	global_store_short v[9:10], v13, off
.LBB153_44:
	s_or_b64 exec, exec, s[14:15]
	v_add3_u32 v9, v1, s11, 40
	v_cmp_gt_u32_e64 s[6:7], s8, v9
	s_and_b64 exec, exec, s[6:7]
	s_cbranch_execz .LBB153_62
; %bb.45:
	v_mul_lo_u32 v9, v9, s10
	s_and_saveexec_b64 s[14:15], vcc
	s_cbranch_execnz .LBB153_75
; %bb.46:
	s_or_b64 exec, exec, s[14:15]
	s_and_saveexec_b64 s[14:15], s[0:1]
	s_cbranch_execnz .LBB153_76
.LBB153_47:
	s_or_b64 exec, exec, s[14:15]
	s_and_saveexec_b64 s[14:15], s[2:3]
	s_cbranch_execnz .LBB153_77
.LBB153_48:
	s_or_b64 exec, exec, s[14:15]
	s_and_saveexec_b64 s[14:15], s[4:5]
	s_cbranch_execz .LBB153_50
.LBB153_49:
	v_add_u32_e32 v9, v9, v8
	v_mov_b32_e32 v10, 0
	v_lshlrev_b64 v[9:10], 1, v[9:10]
	s_waitcnt lgkmcnt(0)
	v_mov_b32_e32 v11, s13
	v_add_co_u32_e64 v9, s[6:7], s12, v9
	v_addc_co_u32_e64 v10, s[6:7], v11, v10, s[6:7]
	global_store_short_d16_hi v[9:10], v13, off
.LBB153_50:
	s_or_b64 exec, exec, s[14:15]
	v_add3_u32 v9, v1, s11, 48
	v_cmp_gt_u32_e64 s[6:7], s8, v9
	s_and_b64 exec, exec, s[6:7]
	s_cbranch_execz .LBB153_62
; %bb.51:
	v_mul_lo_u32 v9, v9, s10
	s_and_saveexec_b64 s[14:15], vcc
	s_cbranch_execnz .LBB153_78
; %bb.52:
	s_or_b64 exec, exec, s[14:15]
	s_and_saveexec_b64 s[14:15], s[0:1]
	s_cbranch_execnz .LBB153_79
.LBB153_53:
	s_or_b64 exec, exec, s[14:15]
	s_and_saveexec_b64 s[14:15], s[2:3]
	s_cbranch_execnz .LBB153_80
.LBB153_54:
	s_or_b64 exec, exec, s[14:15]
	s_and_saveexec_b64 s[14:15], s[4:5]
	s_cbranch_execz .LBB153_56
.LBB153_55:
	v_add_u32_e32 v9, v9, v8
	v_mov_b32_e32 v10, 0
	v_lshlrev_b64 v[9:10], 1, v[9:10]
	s_waitcnt lgkmcnt(0)
	v_mov_b32_e32 v11, s13
	v_add_co_u32_e64 v9, s[6:7], s12, v9
	v_addc_co_u32_e64 v10, s[6:7], v11, v10, s[6:7]
	global_store_short v[9:10], v2, off
.LBB153_56:
	s_or_b64 exec, exec, s[14:15]
	v_add3_u32 v1, v1, s11, 56
	v_cmp_gt_u32_e64 s[6:7], s8, v1
	s_and_b64 exec, exec, s[6:7]
	s_cbranch_execz .LBB153_62
; %bb.57:
	v_mul_lo_u32 v1, v1, s10
	s_and_saveexec_b64 s[6:7], vcc
	s_cbranch_execnz .LBB153_81
; %bb.58:
	s_or_b64 exec, exec, s[6:7]
	s_and_saveexec_b64 s[6:7], s[0:1]
	s_cbranch_execnz .LBB153_82
.LBB153_59:
	s_or_b64 exec, exec, s[6:7]
	s_and_saveexec_b64 s[0:1], s[2:3]
	s_cbranch_execnz .LBB153_83
.LBB153_60:
	s_or_b64 exec, exec, s[0:1]
	s_and_b64 exec, exec, s[4:5]
	s_cbranch_execz .LBB153_62
.LBB153_61:
	v_add_u32_e32 v0, v1, v8
	v_mov_b32_e32 v1, 0
	v_lshlrev_b64 v[0:1], 1, v[0:1]
	s_waitcnt lgkmcnt(0)
	v_mov_b32_e32 v3, s13
	v_add_co_u32_e32 v0, vcc, s12, v0
	v_addc_co_u32_e32 v1, vcc, v3, v1, vcc
	global_store_short_d16_hi v[0:1], v2, off
.LBB153_62:
	s_endpgm
.LBB153_63:
	v_add_u32_e32 v10, v9, v0
	v_mov_b32_e32 v11, 0
	v_lshlrev_b64 v[10:11], 1, v[10:11]
	s_waitcnt lgkmcnt(0)
	v_mov_b32_e32 v12, s13
	v_add_co_u32_e64 v10, s[6:7], s12, v10
	v_addc_co_u32_e64 v11, s[6:7], v12, v11, s[6:7]
	global_store_short_d16_hi v[10:11], v34, off
	s_or_b64 exec, exec, s[14:15]
	s_and_saveexec_b64 s[14:15], s[0:1]
	s_cbranch_execz .LBB153_23
.LBB153_64:
	v_add_u32_e32 v10, v9, v6
	v_mov_b32_e32 v11, 0
	v_lshlrev_b64 v[10:11], 1, v[10:11]
	s_waitcnt lgkmcnt(0)
	v_mov_b32_e32 v12, s13
	v_add_co_u32_e64 v10, s[6:7], s12, v10
	v_addc_co_u32_e64 v11, s[6:7], v12, v11, s[6:7]
	global_store_short_d16_hi v[10:11], v33, off
	s_or_b64 exec, exec, s[14:15]
	s_and_saveexec_b64 s[14:15], s[2:3]
	s_cbranch_execz .LBB153_24
.LBB153_65:
	v_add_u32_e32 v10, v9, v7
	v_mov_b32_e32 v11, 0
	v_lshlrev_b64 v[10:11], 1, v[10:11]
	s_waitcnt lgkmcnt(0)
	v_mov_b32_e32 v12, s13
	v_add_co_u32_e64 v10, s[6:7], s12, v10
	v_addc_co_u32_e64 v11, s[6:7], v12, v11, s[6:7]
	global_store_short_d16_hi v[10:11], v32, off
	s_or_b64 exec, exec, s[14:15]
	s_and_saveexec_b64 s[14:15], s[4:5]
	s_cbranch_execnz .LBB153_25
	s_branch .LBB153_26
.LBB153_66:
	v_add_u32_e32 v10, v9, v0
	v_mov_b32_e32 v11, 0
	v_lshlrev_b64 v[10:11], 1, v[10:11]
	s_waitcnt lgkmcnt(0)
	v_mov_b32_e32 v12, s13
	v_add_co_u32_e64 v10, s[6:7], s12, v10
	v_addc_co_u32_e64 v11, s[6:7], v12, v11, s[6:7]
	global_store_short v[10:11], v26, off
	s_or_b64 exec, exec, s[14:15]
	s_and_saveexec_b64 s[14:15], s[0:1]
	s_cbranch_execz .LBB153_29
.LBB153_67:
	v_add_u32_e32 v10, v9, v6
	v_mov_b32_e32 v11, 0
	v_lshlrev_b64 v[10:11], 1, v[10:11]
	s_waitcnt lgkmcnt(0)
	v_mov_b32_e32 v12, s13
	v_add_co_u32_e64 v10, s[6:7], s12, v10
	v_addc_co_u32_e64 v11, s[6:7], v12, v11, s[6:7]
	global_store_short v[10:11], v25, off
	s_or_b64 exec, exec, s[14:15]
	s_and_saveexec_b64 s[14:15], s[2:3]
	s_cbranch_execz .LBB153_30
.LBB153_68:
	v_add_u32_e32 v10, v9, v7
	v_mov_b32_e32 v11, 0
	v_lshlrev_b64 v[10:11], 1, v[10:11]
	s_waitcnt lgkmcnt(0)
	v_mov_b32_e32 v12, s13
	v_add_co_u32_e64 v10, s[6:7], s12, v10
	v_addc_co_u32_e64 v11, s[6:7], v12, v11, s[6:7]
	global_store_short v[10:11], v24, off
	s_or_b64 exec, exec, s[14:15]
	s_and_saveexec_b64 s[14:15], s[4:5]
	s_cbranch_execnz .LBB153_31
	s_branch .LBB153_32
.LBB153_69:
	v_add_u32_e32 v10, v9, v0
	v_mov_b32_e32 v11, 0
	v_lshlrev_b64 v[10:11], 1, v[10:11]
	s_waitcnt lgkmcnt(0)
	v_mov_b32_e32 v12, s13
	v_add_co_u32_e64 v10, s[6:7], s12, v10
	v_addc_co_u32_e64 v11, s[6:7], v12, v11, s[6:7]
	global_store_short_d16_hi v[10:11], v26, off
	s_or_b64 exec, exec, s[14:15]
	s_and_saveexec_b64 s[14:15], s[0:1]
	s_cbranch_execz .LBB153_35
.LBB153_70:
	v_add_u32_e32 v10, v9, v6
	v_mov_b32_e32 v11, 0
	v_lshlrev_b64 v[10:11], 1, v[10:11]
	s_waitcnt lgkmcnt(0)
	v_mov_b32_e32 v12, s13
	v_add_co_u32_e64 v10, s[6:7], s12, v10
	v_addc_co_u32_e64 v11, s[6:7], v12, v11, s[6:7]
	global_store_short_d16_hi v[10:11], v25, off
	s_or_b64 exec, exec, s[14:15]
	s_and_saveexec_b64 s[14:15], s[2:3]
	s_cbranch_execz .LBB153_36
.LBB153_71:
	v_add_u32_e32 v10, v9, v7
	v_mov_b32_e32 v11, 0
	v_lshlrev_b64 v[10:11], 1, v[10:11]
	s_waitcnt lgkmcnt(0)
	v_mov_b32_e32 v12, s13
	v_add_co_u32_e64 v10, s[6:7], s12, v10
	v_addc_co_u32_e64 v11, s[6:7], v12, v11, s[6:7]
	global_store_short_d16_hi v[10:11], v24, off
	s_or_b64 exec, exec, s[14:15]
	s_and_saveexec_b64 s[14:15], s[4:5]
	s_cbranch_execnz .LBB153_37
	s_branch .LBB153_38
.LBB153_72:
	v_add_u32_e32 v10, v9, v0
	v_mov_b32_e32 v11, 0
	v_lshlrev_b64 v[10:11], 1, v[10:11]
	s_waitcnt lgkmcnt(0)
	v_mov_b32_e32 v12, s13
	v_add_co_u32_e64 v10, s[6:7], s12, v10
	v_addc_co_u32_e64 v11, s[6:7], v12, v11, s[6:7]
	global_store_short v[10:11], v16, off
	s_or_b64 exec, exec, s[14:15]
	s_and_saveexec_b64 s[14:15], s[0:1]
	s_cbranch_execz .LBB153_41
.LBB153_73:
	v_add_u32_e32 v10, v9, v6
	v_mov_b32_e32 v11, 0
	v_lshlrev_b64 v[10:11], 1, v[10:11]
	s_waitcnt lgkmcnt(0)
	v_mov_b32_e32 v12, s13
	v_add_co_u32_e64 v10, s[6:7], s12, v10
	v_addc_co_u32_e64 v11, s[6:7], v12, v11, s[6:7]
	global_store_short v[10:11], v15, off
	s_or_b64 exec, exec, s[14:15]
	s_and_saveexec_b64 s[14:15], s[2:3]
	s_cbranch_execz .LBB153_42
.LBB153_74:
	v_add_u32_e32 v10, v9, v7
	v_mov_b32_e32 v11, 0
	v_lshlrev_b64 v[10:11], 1, v[10:11]
	s_waitcnt lgkmcnt(0)
	v_mov_b32_e32 v12, s13
	v_add_co_u32_e64 v10, s[6:7], s12, v10
	v_addc_co_u32_e64 v11, s[6:7], v12, v11, s[6:7]
	global_store_short v[10:11], v14, off
	s_or_b64 exec, exec, s[14:15]
	s_and_saveexec_b64 s[14:15], s[4:5]
	s_cbranch_execnz .LBB153_43
	s_branch .LBB153_44
.LBB153_75:
	v_add_u32_e32 v10, v9, v0
	v_mov_b32_e32 v11, 0
	v_lshlrev_b64 v[10:11], 1, v[10:11]
	s_waitcnt lgkmcnt(0)
	v_mov_b32_e32 v12, s13
	v_add_co_u32_e64 v10, s[6:7], s12, v10
	v_addc_co_u32_e64 v11, s[6:7], v12, v11, s[6:7]
	global_store_short_d16_hi v[10:11], v16, off
	s_or_b64 exec, exec, s[14:15]
	s_and_saveexec_b64 s[14:15], s[0:1]
	s_cbranch_execz .LBB153_47
.LBB153_76:
	v_add_u32_e32 v10, v9, v6
	v_mov_b32_e32 v11, 0
	v_lshlrev_b64 v[10:11], 1, v[10:11]
	s_waitcnt lgkmcnt(0)
	v_mov_b32_e32 v12, s13
	v_add_co_u32_e64 v10, s[6:7], s12, v10
	v_addc_co_u32_e64 v11, s[6:7], v12, v11, s[6:7]
	global_store_short_d16_hi v[10:11], v15, off
	s_or_b64 exec, exec, s[14:15]
	s_and_saveexec_b64 s[14:15], s[2:3]
	s_cbranch_execz .LBB153_48
.LBB153_77:
	v_add_u32_e32 v10, v9, v7
	v_mov_b32_e32 v11, 0
	v_lshlrev_b64 v[10:11], 1, v[10:11]
	s_waitcnt lgkmcnt(0)
	v_mov_b32_e32 v12, s13
	v_add_co_u32_e64 v10, s[6:7], s12, v10
	v_addc_co_u32_e64 v11, s[6:7], v12, v11, s[6:7]
	global_store_short_d16_hi v[10:11], v14, off
	s_or_b64 exec, exec, s[14:15]
	s_and_saveexec_b64 s[14:15], s[4:5]
	s_cbranch_execnz .LBB153_49
	s_branch .LBB153_50
.LBB153_78:
	v_add_u32_e32 v10, v9, v0
	v_mov_b32_e32 v11, 0
	v_lshlrev_b64 v[10:11], 1, v[10:11]
	s_waitcnt lgkmcnt(0)
	v_mov_b32_e32 v12, s13
	v_add_co_u32_e64 v10, s[6:7], s12, v10
	v_addc_co_u32_e64 v11, s[6:7], v12, v11, s[6:7]
	global_store_short v[10:11], v5, off
	s_or_b64 exec, exec, s[14:15]
	s_and_saveexec_b64 s[14:15], s[0:1]
	s_cbranch_execz .LBB153_53
.LBB153_79:
	v_add_u32_e32 v10, v9, v6
	v_mov_b32_e32 v11, 0
	v_lshlrev_b64 v[10:11], 1, v[10:11]
	s_waitcnt lgkmcnt(0)
	v_mov_b32_e32 v12, s13
	v_add_co_u32_e64 v10, s[6:7], s12, v10
	v_addc_co_u32_e64 v11, s[6:7], v12, v11, s[6:7]
	global_store_short v[10:11], v4, off
	s_or_b64 exec, exec, s[14:15]
	s_and_saveexec_b64 s[14:15], s[2:3]
	s_cbranch_execz .LBB153_54
.LBB153_80:
	v_add_u32_e32 v10, v9, v7
	v_mov_b32_e32 v11, 0
	v_lshlrev_b64 v[10:11], 1, v[10:11]
	s_waitcnt lgkmcnt(0)
	v_mov_b32_e32 v12, s13
	v_add_co_u32_e64 v10, s[6:7], s12, v10
	v_addc_co_u32_e64 v11, s[6:7], v12, v11, s[6:7]
	global_store_short v[10:11], v3, off
	s_or_b64 exec, exec, s[14:15]
	s_and_saveexec_b64 s[14:15], s[4:5]
	s_cbranch_execnz .LBB153_55
	s_branch .LBB153_56
.LBB153_81:
	v_add_u32_e32 v9, v1, v0
	v_mov_b32_e32 v10, 0
	v_lshlrev_b64 v[9:10], 1, v[9:10]
	s_waitcnt lgkmcnt(0)
	v_mov_b32_e32 v0, s13
	v_add_co_u32_e32 v9, vcc, s12, v9
	v_addc_co_u32_e32 v10, vcc, v0, v10, vcc
	global_store_short_d16_hi v[9:10], v5, off
	s_or_b64 exec, exec, s[6:7]
	s_and_saveexec_b64 s[6:7], s[0:1]
	s_cbranch_execz .LBB153_59
.LBB153_82:
	v_add_u32_e32 v5, v1, v6
	v_mov_b32_e32 v6, 0
	v_lshlrev_b64 v[5:6], 1, v[5:6]
	s_waitcnt lgkmcnt(0)
	v_mov_b32_e32 v0, s13
	v_add_co_u32_e32 v5, vcc, s12, v5
	v_addc_co_u32_e32 v6, vcc, v0, v6, vcc
	global_store_short_d16_hi v[5:6], v4, off
	s_or_b64 exec, exec, s[6:7]
	s_and_saveexec_b64 s[0:1], s[2:3]
	s_cbranch_execz .LBB153_60
.LBB153_83:
	v_add_u32_e32 v4, v1, v7
	v_mov_b32_e32 v5, 0
	v_lshlrev_b64 v[4:5], 1, v[4:5]
	s_waitcnt lgkmcnt(0)
	v_mov_b32_e32 v0, s13
	v_add_co_u32_e32 v4, vcc, s12, v4
	v_addc_co_u32_e32 v5, vcc, v0, v5, vcc
	global_store_short_d16_hi v[4:5], v3, off
	s_or_b64 exec, exec, s[0:1]
	s_and_b64 exec, exec, s[4:5]
	s_cbranch_execnz .LBB153_61
	s_branch .LBB153_62
	.section	.rodata,"a",@progbits
	.p2align	6, 0x0
	.amdhsa_kernel _ZL12mul_mat_q5_KIN3c104HalfELb0EEvPKvS3_PT_iiiii
		.amdhsa_group_segment_fixed_size 45136
		.amdhsa_private_segment_fixed_size 0
		.amdhsa_kernarg_size 44
		.amdhsa_user_sgpr_count 6
		.amdhsa_user_sgpr_private_segment_buffer 1
		.amdhsa_user_sgpr_dispatch_ptr 0
		.amdhsa_user_sgpr_queue_ptr 0
		.amdhsa_user_sgpr_kernarg_segment_ptr 1
		.amdhsa_user_sgpr_dispatch_id 0
		.amdhsa_user_sgpr_flat_scratch_init 0
		.amdhsa_user_sgpr_private_segment_size 0
		.amdhsa_uses_dynamic_stack 0
		.amdhsa_system_sgpr_private_segment_wavefront_offset 0
		.amdhsa_system_sgpr_workgroup_id_x 1
		.amdhsa_system_sgpr_workgroup_id_y 1
		.amdhsa_system_sgpr_workgroup_id_z 0
		.amdhsa_system_sgpr_workgroup_info 0
		.amdhsa_system_vgpr_workitem_id 1
		.amdhsa_next_free_vgpr 255
		.amdhsa_next_free_sgpr 98
		.amdhsa_reserve_vcc 1
		.amdhsa_reserve_flat_scratch 0
		.amdhsa_float_round_mode_32 0
		.amdhsa_float_round_mode_16_64 0
		.amdhsa_float_denorm_mode_32 3
		.amdhsa_float_denorm_mode_16_64 3
		.amdhsa_dx10_clamp 1
		.amdhsa_ieee_mode 1
		.amdhsa_fp16_overflow 0
		.amdhsa_exception_fp_ieee_invalid_op 0
		.amdhsa_exception_fp_denorm_src 0
		.amdhsa_exception_fp_ieee_div_zero 0
		.amdhsa_exception_fp_ieee_overflow 0
		.amdhsa_exception_fp_ieee_underflow 0
		.amdhsa_exception_fp_ieee_inexact 0
		.amdhsa_exception_int_div_zero 0
	.end_amdhsa_kernel
	.section	.text._ZL12mul_mat_q5_KIN3c104HalfELb0EEvPKvS3_PT_iiiii,"axG",@progbits,_ZL12mul_mat_q5_KIN3c104HalfELb0EEvPKvS3_PT_iiiii,comdat
.Lfunc_end153:
	.size	_ZL12mul_mat_q5_KIN3c104HalfELb0EEvPKvS3_PT_iiiii, .Lfunc_end153-_ZL12mul_mat_q5_KIN3c104HalfELb0EEvPKvS3_PT_iiiii
                                        ; -- End function
	.set _ZL12mul_mat_q5_KIN3c104HalfELb0EEvPKvS3_PT_iiiii.num_vgpr, 255
	.set _ZL12mul_mat_q5_KIN3c104HalfELb0EEvPKvS3_PT_iiiii.num_agpr, 0
	.set _ZL12mul_mat_q5_KIN3c104HalfELb0EEvPKvS3_PT_iiiii.numbered_sgpr, 21
	.set _ZL12mul_mat_q5_KIN3c104HalfELb0EEvPKvS3_PT_iiiii.num_named_barrier, 0
	.set _ZL12mul_mat_q5_KIN3c104HalfELb0EEvPKvS3_PT_iiiii.private_seg_size, 0
	.set _ZL12mul_mat_q5_KIN3c104HalfELb0EEvPKvS3_PT_iiiii.uses_vcc, 1
	.set _ZL12mul_mat_q5_KIN3c104HalfELb0EEvPKvS3_PT_iiiii.uses_flat_scratch, 0
	.set _ZL12mul_mat_q5_KIN3c104HalfELb0EEvPKvS3_PT_iiiii.has_dyn_sized_stack, 0
	.set _ZL12mul_mat_q5_KIN3c104HalfELb0EEvPKvS3_PT_iiiii.has_recursion, 0
	.set _ZL12mul_mat_q5_KIN3c104HalfELb0EEvPKvS3_PT_iiiii.has_indirect_call, 0
	.section	.AMDGPU.csdata,"",@progbits
; Kernel info:
; codeLenInByte = 22196
; TotalNumSgprs: 25
; NumVgprs: 255
; ScratchSize: 0
; MemoryBound: 0
; FloatMode: 240
; IeeeMode: 1
; LDSByteSize: 45136 bytes/workgroup (compile time only)
; SGPRBlocks: 12
; VGPRBlocks: 63
; NumSGPRsForWavesPerEU: 102
; NumVGPRsForWavesPerEU: 255
; Occupancy: 1
; WaveLimiterHint : 0
; COMPUTE_PGM_RSRC2:SCRATCH_EN: 0
; COMPUTE_PGM_RSRC2:USER_SGPR: 6
; COMPUTE_PGM_RSRC2:TRAP_HANDLER: 0
; COMPUTE_PGM_RSRC2:TGID_X_EN: 1
; COMPUTE_PGM_RSRC2:TGID_Y_EN: 1
; COMPUTE_PGM_RSRC2:TGID_Z_EN: 0
; COMPUTE_PGM_RSRC2:TIDIG_COMP_CNT: 1
	.section	.text._ZL12mul_mat_q5_KIN3c104HalfELb1EEvPKvS3_PT_iiiii,"axG",@progbits,_ZL12mul_mat_q5_KIN3c104HalfELb1EEvPKvS3_PT_iiiii,comdat
	.globl	_ZL12mul_mat_q5_KIN3c104HalfELb1EEvPKvS3_PT_iiiii ; -- Begin function _ZL12mul_mat_q5_KIN3c104HalfELb1EEvPKvS3_PT_iiiii
	.p2align	8
	.type	_ZL12mul_mat_q5_KIN3c104HalfELb1EEvPKvS3_PT_iiiii,@function
_ZL12mul_mat_q5_KIN3c104HalfELb1EEvPKvS3_PT_iiiii: ; @_ZL12mul_mat_q5_KIN3c104HalfELb1EEvPKvS3_PT_iiiii
; %bb.0:
	s_mov_b64 s[26:27], s[2:3]
	s_mov_b64 s[24:25], s[0:1]
	s_add_u32 s24, s24, s8
	s_load_dwordx4 s[8:11], s[4:5], 0x18
	s_load_dword s14, s[4:5], 0x28
	s_addc_u32 s25, s25, 0
	v_mov_b32_e32 v33, v1
	s_lshl_b32 s15, s7, 6
	s_waitcnt lgkmcnt(0)
	s_cmpk_gt_i32 s8, 0xff
	v_add_u32_e32 v51, s15, v33
	s_cbranch_scc1 .LBB154_2
; %bb.1:
	v_add_u32_e32 v6, s15, v33
	s_mov_b64 s[0:1], 0
	s_branch .LBB154_3
.LBB154_2:
	s_mov_b64 s[0:1], -1
                                        ; implicit-def: $vgpr6
.LBB154_3:
	s_load_dwordx2 s[12:13], s[4:5], 0x10
	s_lshl_b32 s6, s6, 7
	s_mov_b32 s7, 0
	v_mov_b32_e32 v2, 0
	s_andn2_b64 vcc, exec, s[0:1]
	v_mov_b32_e32 v9, 0
	v_mov_b32_e32 v13, 0
	v_mov_b32_e32 v17, 0
	v_mov_b32_e32 v3, 0
	v_mov_b32_e32 v10, 0
	v_mov_b32_e32 v14, 0
	v_mov_b32_e32 v18, 0
	v_mov_b32_e32 v4, 0
	v_mov_b32_e32 v11, 0
	v_mov_b32_e32 v15, 0
	v_mov_b32_e32 v19, 0
	v_mov_b32_e32 v5, 0
	v_mov_b32_e32 v12, 0
	v_mov_b32_e32 v16, 0
	v_mov_b32_e32 v20, 0
	s_cbranch_vccnz .LBB154_11
; %bb.4:
	s_load_dwordx4 s[0:3], s[4:5], 0x0
	s_ashr_i32 s4, s8, 31
	s_lshr_b32 s4, s4, 24
	s_add_i32 s4, s8, s4
	s_ashr_i32 s5, s11, 31
	s_ashr_i32 s4, s4, 8
	s_lshr_b32 s5, s5, 27
	s_add_i32 s5, s11, s5
	s_mul_i32 s8, s4, s6
	s_ashr_i32 s16, s5, 5
	s_mul_hi_i32 s11, s8, 0xb0
	s_mulk_i32 s8, 0xb0
	s_waitcnt lgkmcnt(0)
	s_add_u32 s8, s0, s8
	s_addc_u32 s11, s1, s11
	s_not_b32 s0, s6
	v_lshlrev_b32_e32 v3, 1, v0
	v_and_b32_e32 v4, 7, v0
	s_add_i32 s1, s9, s0
	v_and_or_b32 v3, v3, 48, v4
	v_min_i32_e32 v4, s1, v33
	v_lshlrev_b32_e32 v3, 2, v3
	s_movk_i32 s0, 0x104
	v_mul_lo_u32 v1, v4, s4
	v_mad_u64_u32 v[4:5], s[18:19], v4, s0, v[3:4]
	v_add_u32_e32 v34, 8, v33
	v_min_i32_e32 v5, s1, v34
	v_mul_lo_u32 v125, v5, s4
	v_mad_u64_u32 v[5:6], s[18:19], v5, s0, v[3:4]
	v_add_u32_e32 v35, 16, v33
	v_min_i32_e32 v6, s1, v35
	v_mul_lo_u32 v126, v6, s4
	v_mad_u64_u32 v[6:7], s[18:19], v6, s0, v[3:4]
	v_add_u32_e32 v36, 24, v33
	v_min_i32_e32 v7, s1, v36
	v_mul_lo_u32 v127, v7, s4
	v_mad_u64_u32 v[7:8], s[18:19], v7, s0, v[3:4]
	v_add_u32_e32 v37, 32, v33
	v_min_i32_e32 v8, s1, v37
	v_mul_lo_u32 v128, v8, s4
	v_mad_u64_u32 v[8:9], s[18:19], v8, s0, v[3:4]
	v_add_u32_e32 v38, 40, v33
	v_min_i32_e32 v9, s1, v38
	v_mul_lo_u32 v129, v9, s4
	v_mad_u64_u32 v[9:10], s[18:19], v9, s0, v[3:4]
	v_add_u32_e32 v39, 48, v33
	v_min_i32_e32 v10, s1, v39
	v_mul_lo_u32 v130, v10, s4
	v_mad_u64_u32 v[10:11], s[18:19], v10, s0, v[3:4]
	v_add_u32_e32 v40, 56, v33
	v_min_i32_e32 v11, s1, v40
	v_mul_lo_u32 v131, v11, s4
	v_mad_u64_u32 v[11:12], s[18:19], v11, s0, v[3:4]
	v_add_u32_e32 v12, 64, v33
	v_min_i32_e32 v12, s1, v12
	v_mul_lo_u32 v132, v12, s4
	v_mad_u64_u32 v[12:13], s[18:19], v12, s0, v[3:4]
	v_add_u32_e32 v13, 0x48, v33
	v_min_i32_e32 v13, s1, v13
	v_mul_lo_u32 v133, v13, s4
	v_mad_u64_u32 v[13:14], s[18:19], v13, s0, v[3:4]
	v_add_u32_e32 v14, 0x50, v33
	v_min_i32_e32 v14, s1, v14
	v_mul_lo_u32 v134, v14, s4
	v_mad_u64_u32 v[14:15], s[18:19], v14, s0, v[3:4]
	v_add_u32_e32 v15, 0x58, v33
	v_min_i32_e32 v15, s1, v15
	v_mul_lo_u32 v135, v15, s4
	v_mad_u64_u32 v[15:16], s[18:19], v15, s0, v[3:4]
	v_add_u32_e32 v16, 0x60, v33
	v_min_i32_e32 v16, s1, v16
	v_mul_lo_u32 v136, v16, s4
	v_mad_u64_u32 v[16:17], s[18:19], v16, s0, v[3:4]
	v_add_u32_e32 v17, 0x68, v33
	v_min_i32_e32 v17, s1, v17
	v_mul_lo_u32 v137, v17, s4
	v_mad_u64_u32 v[17:18], s[18:19], v17, s0, v[3:4]
	v_add_u32_e32 v18, 0x70, v33
	v_min_i32_e32 v18, s1, v18
	v_mul_lo_u32 v138, v18, s4
	v_mad_u64_u32 v[18:19], s[18:19], v18, s0, v[3:4]
	v_add_u32_e32 v19, 0x78, v33
	v_min_i32_e32 v19, s1, v19
	v_lshlrev_b32_e32 v140, 5, v33
	v_mul_lo_u32 v139, v19, s4
	v_mad_u64_u32 v[19:20], s[18:19], v19, s0, v[3:4]
	v_add_u32_e32 v3, v140, v0
	v_and_b32_e32 v3, 0x7f, v3
	v_min_i32_e32 v3, s1, v3
	v_ashrrev_i32_e32 v20, 31, v3
	v_lshrrev_b32_e32 v20, 27, v20
	v_add_u32_e32 v20, v3, v20
	v_ashrrev_i32_e32 v20, 5, v20
	v_mul_lo_u32 v141, v3, s4
	v_lshlrev_b32_e32 v20, 2, v20
	v_lshlrev_b32_e32 v3, 2, v3
	s_mov_b32 s9, 0xae40
	v_add3_u32 v142, v20, v3, s9
	v_and_b32_e32 v3, 3, v0
	v_add_u32_e32 v20, 0xfe, v3
	v_and_b32_e32 v20, 0xff, v20
	v_cmp_gt_u32_e32 vcc, 2, v3
	v_lshrrev_b32_e32 v21, 2, v0
	v_cndmask_b32_e32 v20, v20, v3, vcc
	v_cmp_ne_u32_e32 vcc, 0, v3
	v_lshlrev_b32_e32 v119, 2, v0
	v_lshl_add_u32 v24, v33, 3, v21
	v_addc_co_u32_e32 v41, vcc, 0, v20, vcc
	v_and_b32_e32 v122, 6, v21
	v_and_b32_e32 v21, 4, v119
	v_cmp_lt_u32_e32 vcc, 1, v3
	v_lshlrev_b32_e32 v144, 1, v20
	v_and_b32_e32 v20, 0x7f, v24
	v_cndmask_b32_e32 v143, 0, v21, vcc
	v_min_i32_e32 v21, s1, v20
	v_ashrrev_i32_e32 v22, 31, v21
	v_xor_b32_e32 v20, 64, v20
	v_lshrrev_b32_e32 v22, 29, v22
	v_min_i32_e32 v20, s1, v20
	v_mul_lo_u32 v145, v21, s4
	v_add_u32_e32 v22, v21, v22
	v_lshlrev_b32_e32 v44, 4, v21
	v_ashrrev_i32_e32 v21, 31, v20
	v_lshrrev_b32_e32 v21, 29, v21
	v_add_u32_e32 v21, v20, v21
	v_ashrrev_i32_e32 v22, 3, v22
	v_ashrrev_i32_e32 v21, 3, v21
	v_lshlrev_b32_e32 v22, 2, v22
	v_lshlrev_b32_e32 v30, 2, v3
	s_mov_b32 s17, 0xa200
	v_lshlrev_b32_e32 v21, 2, v21
	s_add_i32 s1, s10, -1
	v_add3_u32 v43, v22, v30, s17
	v_mul_lo_u32 v146, v20, s4
	v_add3_u32 v45, v21, v30, s17
	v_lshlrev_b32_e32 v46, 4, v20
	v_cvt_f64_i32_e32 v[22:23], s1
	v_cvt_f64_u32_e32 v[20:21], v51
	v_and_b32_e32 v25, 31, v0
	v_mov_b32_e32 v26, 0x8200
	v_lshl_or_b32 v47, v25, 2, v26
	v_and_b32_e32 v31, 63, v24
	v_min_f64 v[24:25], v[20:21], v[22:23]
	v_add_u32_e32 v20, 8, v51
	v_cvt_f64_u32_e32 v[20:21], v20
	v_or_b32_e32 v28, s15, v31
	v_min_i32_e32 v32, s1, v28
	v_add_u32_e32 v26, 16, v51
	v_min_f64 v[28:29], v[20:21], v[22:23]
	v_cvt_f64_u32_e32 v[26:27], v26
	v_mad_u64_u32 v[20:21], s[18:19], v32, s16, v[3:4]
	v_lshl_or_b32 v3, v31, 4, v30
	v_min_f64 v[26:27], v[26:27], v[22:23]
	v_add_u32_e32 v147, 0xaa40, v3
	v_cvt_i32_f64_e32 v21, v[24:25]
	v_cvt_i32_f64_e32 v3, v[28:29]
	buffer_store_dword v33, off, s[24:27], 0 offset:4 ; 4-byte Folded Spill
	v_lshlrev_b32_e32 v48, 7, v33
	v_mul_lo_u32 v149, s16, v21
	v_mul_lo_u32 v150, s16, v3
	v_add_u32_e32 v3, 24, v51
	v_cvt_f64_u32_e32 v[24:25], v3
	v_add_u32_e32 v3, 32, v51
	v_cvt_i32_f64_e32 v21, v[26:27]
	v_cvt_f64_u32_e32 v[26:27], v3
	v_add_u32_e32 v3, 40, v51
	v_cvt_f64_u32_e32 v[28:29], v3
	v_min_f64 v[24:25], v[24:25], v[22:23]
	v_add_u32_e32 v3, 48, v51
	v_cvt_f64_u32_e32 v[30:31], v3
	v_add_u32_e32 v3, 56, v51
	v_min_f64 v[28:29], v[28:29], v[22:23]
	v_cvt_f64_u32_e32 v[32:33], v3
	v_mul_lo_u32 v151, s16, v21
	v_min_f64 v[26:27], v[26:27], v[22:23]
	v_cvt_i32_f64_e32 v3, v[24:25]
	v_min_f64 v[24:25], v[30:31], v[22:23]
	v_min_f64 v[21:22], v[32:33], v[22:23]
	v_lshrrev_b32_e32 v52, 5, v0
	v_mul_lo_u32 v152, s16, v3
	v_cvt_i32_f64_e32 v3, v[28:29]
	v_and_b32_e32 v121, 28, v119
	v_cvt_i32_f64_e32 v26, v[26:27]
	v_mov_b32_e32 v2, 0
	v_mul_lo_u32 v154, s16, v3
	v_cvt_i32_f64_e32 v3, v[21:22]
	v_cvt_i32_f64_e32 v24, v[24:25]
	v_cndmask_b32_e64 v42, 0, 1, vcc
	v_mul_lo_u32 v153, s16, v26
	v_mul_lo_u32 v156, s16, v3
	v_lshlrev_b32_e32 v3, 2, v52
	v_add3_u32 v157, v119, v3, s9
	v_add_u32_e32 v3, 32, v0
	v_lshrrev_b32_e32 v158, 3, v3
	v_lshlrev_b32_e32 v25, 2, v3
	v_and_b32_e32 v3, 60, v158
	v_add3_u32 v159, v119, v3, s9
	v_add_u32_e32 v3, 64, v0
	v_lshrrev_b32_e32 v160, 3, v3
	v_lshlrev_b32_e32 v27, 2, v3
	v_and_b32_e32 v3, 60, v160
	;; [unrolled: 5-line block ×3, first 2 shown]
	v_add3_u32 v163, v119, v3, s9
	v_mov_b32_e32 v3, 0x2080
	v_mad_u32_u24 v172, v0, s0, v3
	v_mov_b32_e32 v3, 0x4100
	v_mad_u32_u24 v173, v0, s0, v3
	v_mov_b32_e32 v3, 0x6180
	v_lshlrev_b32_e32 v26, 7, v37
	v_mul_lo_u32 v155, s16, v24
	v_lshlrev_b32_e32 v167, 5, v37
	v_mad_u32_u24 v174, v0, s0, v3
	v_mov_b32_e32 v3, s3
	v_add_co_u32_e32 v37, vcc, s2, v121
	v_lshlrev_b32_e32 v49, 7, v34
	v_lshlrev_b32_e32 v50, 7, v35
	;; [unrolled: 1-line block ×7, first 2 shown]
	v_addc_co_u32_e32 v38, vcc, 0, v3, vcc
	v_mov_b32_e32 v3, v2
	buffer_store_dword v1, off, s[24:27], 0 ; 4-byte Folded Spill
	buffer_store_dword v51, off, s[24:27], 0 offset:12 ; 4-byte Folded Spill
	v_mov_b32_e32 v1, v52
	v_lshlrev_b32_e32 v164, 5, v34
	v_lshlrev_b32_e32 v165, 5, v35
	;; [unrolled: 1-line block ×7, first 2 shown]
	v_add_u32_e32 v177, v43, v44
	v_add_u32_e32 v178, v45, v46
	;; [unrolled: 1-line block ×10, first 2 shown]
	v_lshlrev_b32_e32 v187, 2, v25
	v_lshlrev_b32_e32 v188, 2, v27
	;; [unrolled: 1-line block ×3, first 2 shown]
	v_mov_b32_e32 v40, v3
	v_mov_b32_e32 v30, v3
	;; [unrolled: 1-line block ×15, first 2 shown]
	s_movk_i32 s5, 0xb0
	v_and_b32_e32 v120, 0x7c, v119
	v_or_b32_e32 v123, 1, v122
	v_lshrrev_b32_e32 v148, 3, v0
	v_mul_u32_u24_e32 v171, 0x104, v0
	s_mov_b32 s9, 0x10101010
	s_mov_b32 s16, 0x30303030
	v_mov_b32_e32 v39, v2
	v_mov_b32_e32 v29, v2
	;; [unrolled: 1-line block ×15, first 2 shown]
	buffer_store_dword v0, off, s[24:27], 0 offset:8 ; 4-byte Folded Spill
.LBB154_5:                              ; =>This Loop Header: Depth=1
                                        ;     Child Loop BB154_6 Depth 2
                                        ;     Child Loop BB154_8 Depth 2
	buffer_load_dword v0, off, s[24:27], 0  ; 4-byte Folded Reload
	s_mul_i32 s0, s7, 0xb0
	s_mul_hi_u32 s1, s7, 0xb0
	s_add_u32 s0, s8, s0
	s_addc_u32 s1, s11, s1
	v_mov_b32_e32 v54, s1
	v_mov_b32_e32 v53, s0
	v_mad_u64_u32 v[55:56], s[0:1], v1, s5, v[53:54]
	s_lshl_b32 s17, s7, 3
	v_add_u32_e32 v195, s17, v20
	v_mad_i64_i32 v[61:62], s[0:1], v125, s5, v[55:56]
	s_mov_b32 s18, 0
	s_waitcnt vmcnt(0)
	v_mad_i64_i32 v[57:58], s[0:1], v0, s5, v[55:56]
	v_add_co_u32_e32 v59, vcc, v57, v120
	v_addc_co_u32_e32 v60, vcc, 0, v58, vcc
	v_add_co_u32_e32 v57, vcc, v57, v121
	v_addc_co_u32_e32 v58, vcc, 0, v58, vcc
	;; [unrolled: 2-line block ×3, first 2 shown]
	global_load_dword v67, v[59:60], off offset:48
	global_load_dword v68, v[57:58], off offset:16
	;; [unrolled: 1-line block ×3, first 2 shown]
	v_add_co_u32_e32 v57, vcc, v61, v121
	v_addc_co_u32_e32 v58, vcc, 0, v62, vcc
	global_load_dword v70, v[57:58], off offset:16
	v_mad_i64_i32 v[57:58], s[0:1], v126, s5, v[55:56]
	v_mad_i64_i32 v[59:60], s[0:1], v127, s5, v[55:56]
	v_add_co_u32_e32 v63, vcc, v57, v120
	v_addc_co_u32_e32 v64, vcc, 0, v58, vcc
	v_add_co_u32_e32 v57, vcc, v57, v121
	v_addc_co_u32_e32 v58, vcc, 0, v58, vcc
	global_load_dword v71, v[63:64], off offset:48
	global_load_dword v72, v[57:58], off offset:16
	v_add_co_u32_e32 v57, vcc, v59, v120
	v_addc_co_u32_e32 v58, vcc, 0, v60, vcc
	global_load_dword v73, v[57:58], off offset:48
	v_add_co_u32_e32 v57, vcc, v59, v121
	v_addc_co_u32_e32 v58, vcc, 0, v60, vcc
	global_load_dword v74, v[57:58], off offset:16
	v_mad_i64_i32 v[61:62], s[0:1], v128, s5, v[55:56]
	v_mad_i64_i32 v[57:58], s[0:1], v129, s5, v[55:56]
	v_add_co_u32_e32 v63, vcc, v61, v120
	v_addc_co_u32_e32 v64, vcc, 0, v62, vcc
	v_add_co_u32_e32 v61, vcc, v61, v121
	v_addc_co_u32_e32 v62, vcc, 0, v62, vcc
	v_mad_i64_i32 v[59:60], s[0:1], v130, s5, v[55:56]
	v_add_co_u32_e32 v65, vcc, v57, v120
	global_load_dword v63, v[63:64], off offset:48
	s_nop 0
	global_load_dword v61, v[61:62], off offset:16
	v_addc_co_u32_e32 v66, vcc, 0, v58, vcc
	v_add_co_u32_e32 v57, vcc, v57, v121
	v_addc_co_u32_e32 v58, vcc, 0, v58, vcc
	s_waitcnt vmcnt(9)
	v_and_b32_e32 v62, 0xf0f0f0f, v67
	v_lshrrev_b32_e32 v64, 4, v67
	s_waitcnt vmcnt(8)
	v_ashrrev_i32_e32 v67, v122, v68
	v_ashrrev_i32_e32 v68, v123, v68
	v_and_b32_e32 v64, 0xf0f0f0f, v64
	v_lshlrev_b32_e32 v67, 4, v67
	v_lshlrev_b32_e32 v68, 4, v68
	v_and_or_b32 v62, v67, s9, v62
	v_and_or_b32 v64, v68, s9, v64
	ds_write2_b32 v4, v62, v64 offset1:8
	global_load_dword v62, v[65:66], off offset:48
	global_load_dword v64, v[57:58], off offset:16
	v_add_co_u32_e32 v57, vcc, v59, v120
	v_addc_co_u32_e32 v58, vcc, 0, v60, vcc
	v_add_co_u32_e32 v59, vcc, v59, v121
	v_addc_co_u32_e32 v60, vcc, 0, v60, vcc
	global_load_dword v65, v[57:58], off offset:48
	global_load_dword v66, v[59:60], off offset:16
	v_mad_i64_i32 v[57:58], s[0:1], v131, s5, v[55:56]
	s_waitcnt vmcnt(11)
	v_and_b32_e32 v75, 0xf0f0f0f, v69
	v_lshrrev_b32_e32 v69, 4, v69
	v_add_co_u32_e32 v59, vcc, v57, v120
	v_addc_co_u32_e32 v60, vcc, 0, v58, vcc
	s_waitcnt vmcnt(10)
	v_ashrrev_i32_e32 v76, v122, v70
	v_ashrrev_i32_e32 v70, v123, v70
	v_add_co_u32_e32 v57, vcc, v57, v121
	v_and_b32_e32 v69, 0xf0f0f0f, v69
	v_lshlrev_b32_e32 v76, 4, v76
	v_lshlrev_b32_e32 v70, 4, v70
	v_addc_co_u32_e32 v58, vcc, 0, v58, vcc
	v_and_or_b32 v67, v76, s9, v75
	global_load_dword v68, v[59:60], off offset:48
	global_load_dword v75, v[57:58], off offset:16
	v_and_or_b32 v57, v70, s9, v69
	s_waitcnt vmcnt(11)
	v_lshrrev_b32_e32 v58, 4, v71
	s_waitcnt vmcnt(10)
	v_ashrrev_i32_e32 v59, v122, v72
	v_ashrrev_i32_e32 v60, v123, v72
	ds_write2_b32 v5, v67, v57 offset1:8
	v_and_b32_e32 v57, 0xf0f0f0f, v71
	v_and_b32_e32 v58, 0xf0f0f0f, v58
	v_lshlrev_b32_e32 v59, 4, v59
	v_lshlrev_b32_e32 v60, 4, v60
	v_and_or_b32 v57, v59, s9, v57
	v_and_or_b32 v58, v60, s9, v58
	ds_write2_b32 v6, v57, v58 offset1:8
	s_waitcnt vmcnt(9)
	v_lshrrev_b32_e32 v57, 4, v73
	v_and_b32_e32 v67, 0xf0f0f0f, v57
	s_waitcnt vmcnt(8)
	v_ashrrev_i32_e32 v57, v122, v74
	v_lshlrev_b32_e32 v60, 4, v57
	v_mad_i64_i32 v[57:58], s[0:1], v132, s5, v[55:56]
	v_and_b32_e32 v59, 0xf0f0f0f, v73
	v_and_or_b32 v70, v60, s9, v59
	v_add_co_u32_e32 v59, vcc, v57, v120
	v_addc_co_u32_e32 v60, vcc, 0, v58, vcc
	v_add_co_u32_e32 v57, vcc, v57, v121
	v_addc_co_u32_e32 v58, vcc, 0, v58, vcc
	global_load_dword v71, v[59:60], off offset:48
	global_load_dword v72, v[57:58], off offset:16
	v_mad_i64_i32 v[59:60], s[0:1], v133, s5, v[55:56]
	v_ashrrev_i32_e32 v69, v123, v74
	v_lshlrev_b32_e32 v69, 4, v69
	v_add_co_u32_e32 v57, vcc, v59, v120
	v_addc_co_u32_e32 v58, vcc, 0, v60, vcc
	global_load_dword v73, v[57:58], off offset:48
	v_add_co_u32_e32 v57, vcc, v59, v121
	v_addc_co_u32_e32 v58, vcc, 0, v60, vcc
	global_load_dword v74, v[57:58], off offset:16
	v_and_or_b32 v57, v69, s9, v67
	s_waitcnt vmcnt(11)
	v_lshrrev_b32_e32 v58, 4, v63
	s_waitcnt vmcnt(10)
	v_ashrrev_i32_e32 v59, v122, v61
	v_ashrrev_i32_e32 v60, v123, v61
	ds_write2_b32 v7, v70, v57 offset1:8
	v_and_b32_e32 v57, 0xf0f0f0f, v63
	v_and_b32_e32 v58, 0xf0f0f0f, v58
	v_lshlrev_b32_e32 v59, 4, v59
	v_lshlrev_b32_e32 v60, 4, v60
	v_and_or_b32 v57, v59, s9, v57
	v_and_or_b32 v58, v60, s9, v58
	ds_write2_b32 v8, v57, v58 offset1:8
	s_waitcnt vmcnt(9)
	v_lshrrev_b32_e32 v58, 4, v62
	s_waitcnt vmcnt(8)
	v_ashrrev_i32_e32 v59, v122, v64
	v_ashrrev_i32_e32 v60, v123, v64
	v_and_b32_e32 v57, 0xf0f0f0f, v62
	v_and_b32_e32 v58, 0xf0f0f0f, v58
	v_lshlrev_b32_e32 v59, 4, v59
	v_lshlrev_b32_e32 v60, 4, v60
	v_and_or_b32 v57, v59, s9, v57
	v_and_or_b32 v58, v60, s9, v58
	ds_write2_b32 v9, v57, v58 offset1:8
	s_waitcnt vmcnt(7)
	v_lshrrev_b32_e32 v58, 4, v65
	s_waitcnt vmcnt(6)
	v_ashrrev_i32_e32 v59, v122, v66
	v_ashrrev_i32_e32 v60, v123, v66
	v_and_b32_e32 v57, 0xf0f0f0f, v65
	v_and_b32_e32 v58, 0xf0f0f0f, v58
	v_lshlrev_b32_e32 v59, 4, v59
	v_lshlrev_b32_e32 v60, 4, v60
	v_and_or_b32 v57, v59, s9, v57
	v_and_or_b32 v58, v60, s9, v58
	ds_write2_b32 v10, v57, v58 offset1:8
	v_mad_i64_i32 v[65:66], s[0:1], v138, s5, v[55:56]
	s_waitcnt vmcnt(5)
	v_lshrrev_b32_e32 v58, 4, v68
	v_and_b32_e32 v59, 0xf0f0f0f, v58
	s_waitcnt vmcnt(4)
	v_ashrrev_i32_e32 v58, v122, v75
	v_and_b32_e32 v57, 0xf0f0f0f, v68
	v_lshlrev_b32_e32 v58, 4, v58
	v_and_or_b32 v61, v58, s9, v57
	v_mad_i64_i32 v[57:58], s[0:1], v134, s5, v[55:56]
	v_ashrrev_i32_e32 v60, v123, v75
	v_lshlrev_b32_e32 v60, 4, v60
	v_and_or_b32 v59, v60, s9, v59
	ds_write2_b32 v11, v61, v59 offset1:8
	v_add_co_u32_e32 v59, vcc, v57, v120
	v_mad_i64_i32 v[61:62], s[0:1], v135, s5, v[55:56]
	v_addc_co_u32_e32 v60, vcc, 0, v58, vcc
	v_add_co_u32_e32 v57, vcc, v57, v121
	v_addc_co_u32_e32 v58, vcc, 0, v58, vcc
	v_add_co_u32_e32 v63, vcc, v61, v120
	v_addc_co_u32_e32 v64, vcc, 0, v62, vcc
	v_add_co_u32_e32 v61, vcc, v61, v121
	v_addc_co_u32_e32 v62, vcc, 0, v62, vcc
	global_load_dword v75, v[59:60], off offset:48
	global_load_dword v76, v[57:58], off offset:16
	;; [unrolled: 1-line block ×4, first 2 shown]
	s_waitcnt vmcnt(7)
	v_lshrrev_b32_e32 v58, 4, v71
	s_waitcnt vmcnt(6)
	v_ashrrev_i32_e32 v59, v122, v72
	v_ashrrev_i32_e32 v60, v123, v72
	v_and_b32_e32 v57, 0xf0f0f0f, v71
	v_and_b32_e32 v58, 0xf0f0f0f, v58
	v_lshlrev_b32_e32 v59, 4, v59
	v_lshlrev_b32_e32 v60, 4, v60
	v_and_or_b32 v57, v59, s9, v57
	v_and_or_b32 v58, v60, s9, v58
	ds_write2_b32 v12, v57, v58 offset1:8
	s_waitcnt vmcnt(5)
	v_lshrrev_b32_e32 v58, 4, v73
	v_and_b32_e32 v59, 0xf0f0f0f, v58
	v_and_b32_e32 v57, 0xf0f0f0f, v73
	s_waitcnt vmcnt(4)
	v_ashrrev_i32_e32 v58, v122, v74
	v_lshlrev_b32_e32 v58, 4, v58
	v_and_or_b32 v61, v58, s9, v57
	v_mad_i64_i32 v[57:58], s[0:1], v136, s5, v[55:56]
	v_ashrrev_i32_e32 v60, v123, v74
	v_lshlrev_b32_e32 v60, 4, v60
	v_and_or_b32 v59, v60, s9, v59
	ds_write2_b32 v13, v61, v59 offset1:8
	v_add_co_u32_e32 v59, vcc, v57, v120
	v_mad_i64_i32 v[61:62], s[0:1], v137, s5, v[55:56]
	v_addc_co_u32_e32 v60, vcc, 0, v58, vcc
	v_add_co_u32_e32 v57, vcc, v57, v121
	v_addc_co_u32_e32 v58, vcc, 0, v58, vcc
	v_add_co_u32_e32 v63, vcc, v61, v120
	;; [unrolled: 2-line block ×4, first 2 shown]
	v_mad_i64_i32 v[55:56], s[0:1], v139, s5, v[55:56]
	v_addc_co_u32_e32 v68, vcc, 0, v66, vcc
	v_add_co_u32_e32 v65, vcc, v65, v121
	v_addc_co_u32_e32 v66, vcc, 0, v66, vcc
	v_add_co_u32_e32 v69, vcc, v55, v120
	;; [unrolled: 2-line block ×3, first 2 shown]
	v_addc_co_u32_e32 v56, vcc, 0, v56, vcc
	global_load_dword v71, v[59:60], off offset:48
	global_load_dword v72, v[57:58], off offset:16
	;; [unrolled: 1-line block ×8, first 2 shown]
	v_mad_i64_i32 v[55:56], s[0:1], v145, s5, v[53:54]
	v_mad_i64_i32 v[57:58], s[0:1], v141, s5, v[53:54]
	v_add_co_u32_e32 v59, vcc, v55, v175
	v_mad_i64_i32 v[53:54], s[0:1], v146, s5, v[53:54]
	v_addc_co_u32_e32 v60, vcc, 0, v56, vcc
	v_add_co_u32_e32 v55, vcc, v55, v176
	v_addc_co_u32_e32 v56, vcc, 0, v56, vcc
	v_add_co_u32_e32 v61, vcc, v53, v175
	;; [unrolled: 2-line block ×3, first 2 shown]
	v_add_u32_e32 v67, s17, v148
	v_addc_co_u32_e32 v54, vcc, 0, v54, vcc
	global_load_dword v83, v[57:58], off
	global_load_dword v84, v[59:60], off offset:4
	global_load_dword v85, v[55:56], off offset:4
	;; [unrolled: 1-line block ×4, first 2 shown]
	v_add_u32_e32 v53, v67, v149
	v_mad_i64_i32 v[53:54], s[0:1], v53, 36, v[37:38]
	v_add_u32_e32 v55, v67, v150
	v_mad_i64_i32 v[55:56], s[0:1], v55, 36, v[37:38]
	;; [unrolled: 2-line block ×3, first 2 shown]
	v_add_u32_e32 v59, v67, v152
	v_add_u32_e32 v61, v67, v153
	v_mad_i64_i32 v[59:60], s[0:1], v59, 36, v[37:38]
	v_mad_i64_i32 v[61:62], s[0:1], v61, 36, v[37:38]
	v_add_u32_e32 v63, v67, v154
	v_add_u32_e32 v65, v67, v155
	;; [unrolled: 1-line block ×3, first 2 shown]
	v_mad_i64_i32 v[63:64], s[0:1], v63, 36, v[37:38]
	v_mad_i64_i32 v[65:66], s[0:1], v65, 36, v[37:38]
	;; [unrolled: 1-line block ×3, first 2 shown]
	v_mad_u64_u32 v[69:70], s[0:1], v195, 36, s[2:3]
	global_load_dword v53, v[53:54], off offset:4
	s_nop 0
	global_load_dword v54, v[55:56], off offset:4
	s_nop 0
	global_load_dword v55, v[57:58], off offset:4
	global_load_dword v56, v[59:60], off offset:4
	s_nop 0
	global_load_dword v57, v[61:62], off offset:4
	global_load_dword v58, v[63:64], off offset:4
	;; [unrolled: 1-line block ×4, first 2 shown]
	s_nop 0
	global_load_dword v61, v[69:70], off
	s_waitcnt vmcnt(25)
	v_lshrrev_b32_e32 v63, 4, v75
	s_waitcnt vmcnt(24)
	v_ashrrev_i32_e32 v64, v122, v76
	v_ashrrev_i32_e32 v65, v123, v76
	v_and_b32_e32 v62, 0xf0f0f0f, v75
	v_and_b32_e32 v63, 0xf0f0f0f, v63
	v_lshlrev_b32_e32 v64, 4, v64
	v_lshlrev_b32_e32 v65, 4, v65
	v_and_or_b32 v62, v64, s9, v62
	v_and_or_b32 v63, v65, s9, v63
	ds_write2_b32 v14, v62, v63 offset1:8
	s_waitcnt vmcnt(23)
	v_lshrrev_b32_e32 v63, 4, v77
	s_waitcnt vmcnt(22)
	v_ashrrev_i32_e32 v64, v122, v78
	v_ashrrev_i32_e32 v65, v123, v78
	v_and_b32_e32 v62, 0xf0f0f0f, v77
	v_and_b32_e32 v63, 0xf0f0f0f, v63
	v_lshlrev_b32_e32 v64, 4, v64
	v_lshlrev_b32_e32 v65, 4, v65
	v_and_or_b32 v62, v64, s9, v62
	v_and_or_b32 v63, v65, s9, v63
	ds_write2_b32 v15, v62, v63 offset1:8
	s_mov_b64 s[0:1], -1
	s_waitcnt vmcnt(21)
	v_lshrrev_b32_e32 v63, 4, v71
	s_waitcnt vmcnt(20)
	v_ashrrev_i32_e32 v64, v122, v72
	v_ashrrev_i32_e32 v65, v123, v72
	v_and_b32_e32 v62, 0xf0f0f0f, v71
	v_and_b32_e32 v63, 0xf0f0f0f, v63
	v_lshlrev_b32_e32 v64, 4, v64
	v_lshlrev_b32_e32 v65, 4, v65
	v_and_or_b32 v62, v64, s9, v62
	v_and_or_b32 v63, v65, s9, v63
	ds_write2_b32 v16, v62, v63 offset1:8
	s_waitcnt vmcnt(19)
	v_lshrrev_b32_e32 v63, 4, v73
	s_waitcnt vmcnt(18)
	v_ashrrev_i32_e32 v64, v122, v74
	v_ashrrev_i32_e32 v65, v123, v74
	v_and_b32_e32 v62, 0xf0f0f0f, v73
	v_and_b32_e32 v63, 0xf0f0f0f, v63
	v_lshlrev_b32_e32 v64, 4, v64
	v_lshlrev_b32_e32 v65, 4, v65
	v_and_or_b32 v62, v64, s9, v62
	v_and_or_b32 v63, v65, s9, v63
	ds_write2_b32 v17, v62, v63 offset1:8
	;; [unrolled: 12-line block ×4, first 2 shown]
	s_waitcnt vmcnt(13)
	ds_write_b32 v142, v83
	s_waitcnt vmcnt(12)
	v_ashrrev_i32_e32 v62, v143, v84
	v_and_b32_e32 v62, 0xf0f0f0f, v62
	s_waitcnt vmcnt(11)
	v_ashrrev_i32_e32 v63, v144, v85
	v_and_or_b32 v62, v63, s16, v62
	ds_write_b32 v177, v62
	s_waitcnt vmcnt(10)
	v_ashrrev_i32_e32 v62, v143, v86
	v_and_b32_e32 v62, 0xf0f0f0f, v62
	s_waitcnt vmcnt(9)
	v_ashrrev_i32_e32 v63, v144, v87
	v_and_or_b32 v62, v63, s16, v62
	ds_write_b32 v178, v62
	s_waitcnt vmcnt(8)
	ds_write_b32 v179, v53
	s_waitcnt vmcnt(7)
	;; [unrolled: 2-line block ×9, first 2 shown]
	ds_write_b32 v147, v61
	s_waitcnt lgkmcnt(0)
	s_barrier
	ds_read_b32 v53, v157
	ds_read_b32 v54, v159 offset:128
	ds_read_b32 v55, v161 offset:256
	;; [unrolled: 1-line block ×3, first 2 shown]
	s_waitcnt lgkmcnt(3)
	v_cvt_f32_f16_e32 v196, v53
	v_cvt_f32_f16_sdwa v197, v53 dst_sel:DWORD dst_unused:UNUSED_PAD src0_sel:WORD_1
	s_waitcnt lgkmcnt(2)
	v_cvt_f32_f16_e32 v198, v54
	v_cvt_f32_f16_sdwa v199, v54 dst_sel:DWORD dst_unused:UNUSED_PAD src0_sel:WORD_1
	;; [unrolled: 3-line block ×4, first 2 shown]
	v_mov_b32_e32 v204, v196
	v_mov_b32_e32 v205, v197
	;; [unrolled: 1-line block ×8, first 2 shown]
.LBB154_6:                              ;   Parent Loop BB154_5 Depth=1
                                        ; =>  This Inner Loop Header: Depth=2
	s_lshl_b32 s19, s18, 1
	s_lshr_b32 s20, s18, 2
	v_or_b32_e32 v53, s19, v140
	s_lshl_b32 s18, s18, 3
	v_lshlrev_b32_e32 v54, 2, v53
	v_lshrrev_b32_e32 v53, 1, v53
	v_add_u32_e32 v67, s18, v171
	ds_read_b128 v[103:106], v54 offset:33280
	ds_read_b128 v[107:110], v54 offset:33296
	ds_read_b128 v[111:114], v54 offset:33312
	ds_read_b128 v[226:229], v54 offset:33328
	ds_read_b64 v[244:245], v53 offset:43584
	ds_read2_b32 v[53:54], v67 offset1:1
	s_add_i32 s20, s20, 0xa200
	v_lshlrev_b32_e32 v190, 2, v148
	v_lshlrev_b32_e32 v191, 2, v119
	v_add3_u32 v61, s20, v190, v191
	s_waitcnt lgkmcnt(0)
	v_dot4_i32_i8 v55, v53, v103, 0
	v_dot4_i32_i8 v57, v54, v104, v55
	ds_read2_b32 v[55:56], v67 offset0:2 offset1:3
	v_add_u32_e32 v83, s18, v172
	v_lshlrev_b32_e32 v192, 2, v158
	v_add3_u32 v77, s20, v192, v187
	v_add_u32_e32 v99, s18, v173
	s_waitcnt lgkmcnt(0)
	v_dot4_i32_i8 v57, v55, v105, v57
	v_dot4_i32_i8 v59, v56, v106, v57
	ds_read2_b32 v[57:58], v67 offset0:4 offset1:5
	v_lshlrev_b32_e32 v193, 2, v160
	v_add3_u32 v93, s20, v193, v188
	v_add_u32_e32 v116, s18, v174
	v_lshlrev_b32_e32 v194, 2, v162
	s_waitcnt lgkmcnt(0)
	v_dot4_i32_i8 v59, v57, v107, v59
	v_dot4_i32_i8 v62, v58, v108, v59
	ds_read2_b32 v[59:60], v67 offset0:6 offset1:7
	ds_read_u16 v69, v61
	ds_read_u16 v70, v61 offset:8
	s_mov_b32 s18, 8
	s_and_b64 vcc, exec, s[0:1]
	s_mov_b64 s[0:1], 0
	s_waitcnt lgkmcnt(2)
	v_dot4_i32_i8 v62, v59, v109, v62
	v_dot4_i32_i8 v248, v60, v110, v62
	ds_read2_b32 v[61:62], v67 offset0:8 offset1:9
	s_waitcnt lgkmcnt(2)
	v_and_b32_e32 v213, 0xff, v69
	s_waitcnt lgkmcnt(1)
	v_cvt_f32_ubyte0_e32 v212, v70
	v_lshrrev_b16_e32 v215, 8, v69
	v_cvt_f32_ubyte1_e32 v214, v70
	ds_read2_b32 v[69:70], v83 offset1:1
	s_waitcnt lgkmcnt(1)
	v_dot4_i32_i8 v63, v61, v111, 0
	v_dot4_i32_i8 v65, v62, v112, v63
	ds_read2_b32 v[63:64], v67 offset0:10 offset1:11
	v_mul_lo_u32 v248, v248, v213
	v_fma_mix_f32 v0, v212, v244, 0 op_sel:[0,1,0] op_sel_hi:[0,1,0]
	v_fma_mix_f32 v0, v214, v245, v0 op_sel:[0,1,0] op_sel_hi:[0,1,0]
	v_mul_f32_e32 v0, v0, v197
	s_waitcnt lgkmcnt(0)
	v_dot4_i32_i8 v65, v63, v113, v65
	v_dot4_i32_i8 v68, v64, v114, v65
	ds_read2_b32 v[65:66], v67 offset0:12 offset1:13
	v_cvt_f32_i32_e32 v248, v248
	s_waitcnt lgkmcnt(0)
	v_dot4_i32_i8 v68, v65, v226, v68
	v_dot4_i32_i8 v71, v66, v227, v68
	ds_read2_b32 v[67:68], v67 offset0:14 offset1:15
	v_fma_mix_f32 v248, v244, v248, 0 op_sel_hi:[1,0,0]
	s_waitcnt lgkmcnt(0)
	v_dot4_i32_i8 v71, v67, v228, v71
	v_dot4_i32_i8 v249, v68, v229, v71
	;; [unrolled: 1-line block ×4, first 2 shown]
	ds_read2_b32 v[71:72], v83 offset0:2 offset1:3
	v_mul_lo_u32 v249, v249, v215
	s_waitcnt lgkmcnt(0)
	v_dot4_i32_i8 v73, v71, v105, v73
	v_dot4_i32_i8 v75, v72, v106, v73
	ds_read2_b32 v[73:74], v83 offset0:4 offset1:5
	v_cvt_f32_i32_e32 v249, v249
	s_waitcnt lgkmcnt(0)
	v_dot4_i32_i8 v75, v73, v107, v75
	v_dot4_i32_i8 v78, v74, v108, v75
	ds_read2_b32 v[75:76], v83 offset0:6 offset1:7
	ds_read_u16 v85, v77
	ds_read_u16 v86, v77 offset:8
	s_waitcnt lgkmcnt(2)
	v_dot4_i32_i8 v78, v75, v109, v78
	v_dot4_i32_i8 v250, v76, v110, v78
	ds_read2_b32 v[77:78], v83 offset0:8 offset1:9
	s_waitcnt lgkmcnt(2)
	v_and_b32_e32 v217, 0xff, v85
	s_waitcnt lgkmcnt(1)
	v_cvt_f32_ubyte0_e32 v216, v86
	v_lshrrev_b16_e32 v219, 8, v85
	v_cvt_f32_ubyte1_e32 v218, v86
	ds_read2_b32 v[85:86], v99 offset1:1
	s_waitcnt lgkmcnt(1)
	v_dot4_i32_i8 v79, v77, v111, 0
	v_dot4_i32_i8 v81, v78, v112, v79
	ds_read2_b32 v[79:80], v83 offset0:10 offset1:11
	s_waitcnt lgkmcnt(0)
	v_dot4_i32_i8 v81, v79, v113, v81
	v_dot4_i32_i8 v84, v80, v114, v81
	ds_read2_b32 v[81:82], v83 offset0:12 offset1:13
	;; [unrolled: 4-line block ×3, first 2 shown]
	s_waitcnt lgkmcnt(0)
	v_dot4_i32_i8 v87, v83, v228, v87
	v_dot4_i32_i8 v251, v84, v229, v87
	;; [unrolled: 1-line block ×4, first 2 shown]
	ds_read2_b32 v[87:88], v99 offset0:2 offset1:3
	s_waitcnt lgkmcnt(0)
	v_dot4_i32_i8 v89, v87, v105, v89
	v_dot4_i32_i8 v91, v88, v106, v89
	ds_read2_b32 v[89:90], v99 offset0:4 offset1:5
	s_waitcnt lgkmcnt(0)
	v_dot4_i32_i8 v91, v89, v107, v91
	v_dot4_i32_i8 v94, v90, v108, v91
	ds_read2_b32 v[91:92], v99 offset0:6 offset1:7
	ds_read_u16 v101, v93
	ds_read_u16 v102, v93 offset:8
	s_waitcnt lgkmcnt(2)
	v_dot4_i32_i8 v94, v91, v109, v94
	v_dot4_i32_i8 v252, v92, v110, v94
	ds_read2_b32 v[93:94], v99 offset0:8 offset1:9
	s_waitcnt lgkmcnt(2)
	v_and_b32_e32 v221, 0xff, v101
	s_waitcnt lgkmcnt(1)
	v_cvt_f32_ubyte0_e32 v220, v102
	v_lshrrev_b16_e32 v223, 8, v101
	v_cvt_f32_ubyte1_e32 v222, v102
	ds_read2_b32 v[101:102], v116 offset1:1
	s_waitcnt lgkmcnt(1)
	v_dot4_i32_i8 v95, v93, v111, 0
	v_dot4_i32_i8 v97, v94, v112, v95
	ds_read2_b32 v[95:96], v99 offset0:10 offset1:11
	s_waitcnt lgkmcnt(1)
	v_dot4_i32_i8 v103, v101, v103, 0
	v_dot4_i32_i8 v224, v102, v104, v103
	ds_read2_b32 v[103:104], v116 offset0:2 offset1:3
	;; [unrolled: 4-line block ×6, first 2 shown]
	s_waitcnt lgkmcnt(1)
	v_dot4_i32_i8 v115, v99, v228, v115
	v_dot4_i32_i8 v253, v100, v229, v115
	v_add3_u32 v115, s20, v194, v189
	ds_read_u16 v230, v115
	ds_read_u16 v231, v115 offset:8
	s_waitcnt lgkmcnt(2)
	v_dot4_i32_i8 v109, v107, v109, v224
	v_dot4_i32_i8 v254, v108, v110, v109
	ds_read2_b32 v[109:110], v116 offset0:8 offset1:9
	s_waitcnt lgkmcnt(2)
	v_and_b32_e32 v225, 0xff, v230
	s_waitcnt lgkmcnt(1)
	v_cvt_f32_ubyte0_e32 v224, v231
	s_waitcnt lgkmcnt(0)
	v_dot4_i32_i8 v111, v109, v111, 0
	v_dot4_i32_i8 v115, v110, v112, v111
	ds_read2_b32 v[111:112], v116 offset0:10 offset1:11
	s_waitcnt lgkmcnt(0)
	v_dot4_i32_i8 v113, v111, v113, v115
	v_dot4_i32_i8 v115, v112, v114, v113
	ds_read2_b32 v[113:114], v116 offset0:12 offset1:13
	;; [unrolled: 4-line block ×3, first 2 shown]
	v_lshrrev_b16_e32 v227, 8, v230
	s_waitcnt lgkmcnt(0)
	v_dot4_i32_i8 v226, v115, v228, v226
	v_or_b32_e32 v228, s19, v164
	v_lshlrev_b32_e32 v240, 2, v228
	v_lshrrev_b32_e32 v246, 1, v228
	v_dot4_i32_i8 v255, v116, v229, v226
	v_cvt_f32_ubyte1_e32 v226, v231
	ds_read_b128 v[228:231], v240 offset:33280
	ds_read_b128 v[232:235], v240 offset:33296
	;; [unrolled: 1-line block ×4, first 2 shown]
	ds_read_b64 v[246:247], v246 offset:43584
	s_waitcnt lgkmcnt(4)
	v_dot4_i32_i8 v117, v53, v228, 0
	v_dot4_i32_i8 v117, v54, v229, v117
	s_waitcnt lgkmcnt(2)
	v_dot4_i32_i8 v118, v61, v236, 0
	v_dot4_i32_i8 v117, v55, v230, v117
	;; [unrolled: 1-line block ×8, first 2 shown]
	s_waitcnt lgkmcnt(1)
	v_dot4_i32_i8 v118, v65, v240, v118
	v_dot4_i32_i8 v117, v59, v234, v117
	;; [unrolled: 1-line block ×6, first 2 shown]
	v_mul_lo_u32 v117, v117, v213
	v_mul_lo_u32 v118, v118, v215
	s_waitcnt lgkmcnt(0)
	v_fma_mix_f32 v124, v212, v246, 0 op_sel:[0,1,0] op_sel_hi:[0,1,0]
	v_fma_mix_f32 v124, v214, v247, v124 op_sel:[0,1,0] op_sel_hi:[0,1,0]
	v_cvt_f32_i32_e32 v117, v117
	v_cvt_f32_i32_e32 v118, v118
	v_mul_f32_e32 v124, v124, v205
	v_fma_mix_f32 v117, v246, v117, 0 op_sel_hi:[1,0,0]
	v_fma_mix_f32 v117, v247, v118, v117 op_sel_hi:[1,0,0]
	;; [unrolled: 1-line block ×3, first 2 shown]
	v_fma_f32 v0, v118, v196, -v0
	v_fma_f32 v117, v117, v204, -v124
	v_add_f32_e32 v2, v2, v0
	v_dot4_i32_i8 v0, v69, v228, 0
	v_add_f32_e32 v3, v3, v117
	v_dot4_i32_i8 v0, v70, v229, v0
	v_dot4_i32_i8 v117, v77, v236, 0
	v_dot4_i32_i8 v0, v71, v230, v0
	v_dot4_i32_i8 v117, v78, v237, v117
	v_dot4_i32_i8 v0, v72, v231, v0
	v_dot4_i32_i8 v117, v79, v238, v117
	v_dot4_i32_i8 v0, v73, v232, v0
	v_dot4_i32_i8 v117, v80, v239, v117
	v_dot4_i32_i8 v0, v74, v233, v0
	v_dot4_i32_i8 v117, v81, v240, v117
	v_dot4_i32_i8 v0, v75, v234, v0
	v_dot4_i32_i8 v117, v82, v241, v117
	v_dot4_i32_i8 v0, v76, v235, v0
	v_dot4_i32_i8 v117, v83, v242, v117
	v_dot4_i32_i8 v117, v84, v243, v117
	v_mul_lo_u32 v118, v250, v217
	v_mul_lo_u32 v0, v0, v217
	v_mul_lo_u32 v117, v117, v219
	v_mul_lo_u32 v249, v251, v219
	v_cvt_f32_i32_e32 v118, v118
	v_cvt_f32_i32_e32 v0, v0
	v_cvt_f32_i32_e32 v117, v117
	v_cvt_f32_i32_e32 v249, v249
	v_fma_mix_f32 v124, v216, v246, 0 op_sel:[0,1,0] op_sel_hi:[0,1,0]
	v_fma_mix_f32 v118, v244, v118, 0 op_sel_hi:[1,0,0]
	v_fma_mix_f32 v0, v246, v0, 0 op_sel_hi:[1,0,0]
	v_fma_mix_f32 v248, v216, v244, 0 op_sel:[0,1,0] op_sel_hi:[0,1,0]
	v_fma_mix_f32 v124, v218, v247, v124 op_sel:[0,1,0] op_sel_hi:[0,1,0]
	v_fma_mix_f32 v0, v247, v117, v0 op_sel_hi:[1,0,0]
	v_fma_mix_f32 v117, v245, v249, v118 op_sel_hi:[1,0,0]
	v_fma_mix_f32 v118, v218, v245, v248 op_sel:[0,1,0] op_sel_hi:[0,1,0]
	v_mul_f32_e32 v124, v124, v207
	v_mul_f32_e32 v118, v118, v199
	v_fma_f32 v0, v0, v206, -v124
	v_fma_f32 v117, v117, v198, -v118
	v_add_f32_e32 v48, v48, v0
	v_dot4_i32_i8 v0, v85, v228, 0
	v_add_f32_e32 v47, v47, v117
	v_dot4_i32_i8 v0, v86, v229, v0
	v_dot4_i32_i8 v117, v93, v236, 0
	v_dot4_i32_i8 v0, v87, v230, v0
	v_dot4_i32_i8 v117, v94, v237, v117
	v_dot4_i32_i8 v0, v88, v231, v0
	v_dot4_i32_i8 v117, v95, v238, v117
	v_dot4_i32_i8 v0, v89, v232, v0
	v_dot4_i32_i8 v117, v96, v239, v117
	v_dot4_i32_i8 v0, v90, v233, v0
	v_dot4_i32_i8 v117, v97, v240, v117
	v_dot4_i32_i8 v0, v91, v234, v0
	v_dot4_i32_i8 v117, v98, v241, v117
	v_dot4_i32_i8 v0, v92, v235, v0
	v_dot4_i32_i8 v117, v99, v242, v117
	v_dot4_i32_i8 v117, v100, v243, v117
	v_mul_lo_u32 v118, v252, v221
	v_mul_lo_u32 v0, v0, v221
	v_mul_lo_u32 v117, v117, v223
	v_mul_lo_u32 v249, v253, v223
	v_cvt_f32_i32_e32 v118, v118
	v_cvt_f32_i32_e32 v0, v0
	v_cvt_f32_i32_e32 v117, v117
	v_cvt_f32_i32_e32 v249, v249
	v_fma_mix_f32 v124, v220, v246, 0 op_sel:[0,1,0] op_sel_hi:[0,1,0]
	v_fma_mix_f32 v118, v244, v118, 0 op_sel_hi:[1,0,0]
	v_fma_mix_f32 v0, v246, v0, 0 op_sel_hi:[1,0,0]
	v_fma_mix_f32 v248, v220, v244, 0 op_sel:[0,1,0] op_sel_hi:[0,1,0]
	v_fma_mix_f32 v124, v222, v247, v124 op_sel:[0,1,0] op_sel_hi:[0,1,0]
	v_fma_mix_f32 v0, v247, v117, v0 op_sel_hi:[1,0,0]
	v_fma_mix_f32 v117, v245, v249, v118 op_sel_hi:[1,0,0]
	v_fma_mix_f32 v118, v222, v245, v248 op_sel:[0,1,0] op_sel_hi:[0,1,0]
	v_mul_f32_e32 v124, v124, v209
	v_mul_f32_e32 v118, v118, v201
	v_fma_f32 v0, v0, v208, -v124
	v_fma_f32 v117, v117, v200, -v118
	v_add_f32_e32 v50, v50, v0
	v_dot4_i32_i8 v0, v101, v228, 0
	v_add_f32_e32 v49, v49, v117
	v_dot4_i32_i8 v0, v102, v229, v0
	v_dot4_i32_i8 v117, v109, v236, 0
	v_dot4_i32_i8 v0, v103, v230, v0
	v_dot4_i32_i8 v117, v110, v237, v117
	v_dot4_i32_i8 v0, v104, v231, v0
	v_dot4_i32_i8 v117, v111, v238, v117
	v_dot4_i32_i8 v0, v105, v232, v0
	v_dot4_i32_i8 v117, v112, v239, v117
	v_dot4_i32_i8 v0, v106, v233, v0
	v_dot4_i32_i8 v117, v113, v240, v117
	v_dot4_i32_i8 v0, v107, v234, v0
	v_dot4_i32_i8 v117, v114, v241, v117
	v_dot4_i32_i8 v0, v108, v235, v0
	v_dot4_i32_i8 v117, v115, v242, v117
	v_dot4_i32_i8 v117, v116, v243, v117
	v_mul_lo_u32 v118, v254, v225
	v_mul_lo_u32 v0, v0, v225
	v_mul_lo_u32 v117, v117, v227
	v_mul_lo_u32 v229, v255, v227
	v_cvt_f32_i32_e32 v118, v118
	v_cvt_f32_i32_e32 v0, v0
	v_cvt_f32_i32_e32 v117, v117
	v_cvt_f32_i32_e32 v229, v229
	v_fma_mix_f32 v124, v224, v246, 0 op_sel:[0,1,0] op_sel_hi:[0,1,0]
	v_fma_mix_f32 v118, v244, v118, 0 op_sel_hi:[1,0,0]
	v_fma_mix_f32 v0, v246, v0, 0 op_sel_hi:[1,0,0]
	v_fma_mix_f32 v228, v224, v244, 0 op_sel:[0,1,0] op_sel_hi:[0,1,0]
	v_fma_mix_f32 v124, v226, v247, v124 op_sel:[0,1,0] op_sel_hi:[0,1,0]
	v_fma_mix_f32 v0, v247, v117, v0 op_sel_hi:[1,0,0]
	v_fma_mix_f32 v117, v245, v229, v118 op_sel_hi:[1,0,0]
	v_fma_mix_f32 v118, v226, v245, v228 op_sel:[0,1,0] op_sel_hi:[0,1,0]
	v_mul_f32_e32 v124, v124, v211
	v_mul_f32_e32 v118, v118, v203
	v_fma_f32 v0, v0, v210, -v124
	v_fma_f32 v117, v117, v202, -v118
	v_add_f32_e32 v52, v52, v0
	v_or_b32_e32 v0, s19, v165
	v_add_f32_e32 v51, v51, v117
	v_lshlrev_b32_e32 v117, 2, v0
	v_lshrrev_b32_e32 v0, 1, v0
	ds_read_b128 v[228:231], v117 offset:33280
	ds_read_b128 v[232:235], v117 offset:33296
	;; [unrolled: 1-line block ×4, first 2 shown]
	ds_read_b64 v[244:245], v0 offset:43584
	s_waitcnt lgkmcnt(4)
	v_dot4_i32_i8 v0, v53, v228, 0
	v_dot4_i32_i8 v118, v69, v228, 0
	;; [unrolled: 1-line block ×10, first 2 shown]
	s_waitcnt lgkmcnt(3)
	v_dot4_i32_i8 v228, v105, v232, v228
	v_dot4_i32_i8 v246, v89, v232, v246
	;; [unrolled: 1-line block ×7, first 2 shown]
	s_waitcnt lgkmcnt(2)
	v_dot4_i32_i8 v228, v109, v236, 0
	v_dot4_i32_i8 v248, v92, v235, v246
	;; [unrolled: 1-line block ×19, first 2 shown]
	s_waitcnt lgkmcnt(1)
	v_dot4_i32_i8 v228, v113, v240, v228
	v_dot4_i32_i8 v0, v56, v231, v0
	;; [unrolled: 1-line block ×19, first 2 shown]
	v_or_b32_e32 v228, s19, v166
	v_dot4_i32_i8 v0, v59, v234, v0
	v_dot4_i32_i8 v117, v67, v242, v117
	;; [unrolled: 1-line block ×5, first 2 shown]
	v_lshlrev_b32_e32 v240, 2, v228
	v_lshrrev_b32_e32 v246, 1, v228
	v_dot4_i32_i8 v0, v60, v235, v0
	v_dot4_i32_i8 v117, v68, v243, v117
	;; [unrolled: 1-line block ×4, first 2 shown]
	ds_read_b128 v[228:231], v240 offset:33280
	ds_read_b128 v[232:235], v240 offset:33296
	;; [unrolled: 1-line block ×4, first 2 shown]
	ds_read_b64 v[246:247], v246 offset:43584
	s_waitcnt lgkmcnt(4)
	v_dot4_i32_i8 v252, v53, v228, 0
	v_dot4_i32_i8 v252, v54, v229, v252
	s_waitcnt lgkmcnt(2)
	v_dot4_i32_i8 v253, v61, v236, 0
	v_dot4_i32_i8 v252, v55, v230, v252
	;; [unrolled: 1-line block ×8, first 2 shown]
	s_waitcnt lgkmcnt(1)
	v_dot4_i32_i8 v253, v65, v240, v253
	v_dot4_i32_i8 v252, v59, v234, v252
	;; [unrolled: 1-line block ×5, first 2 shown]
	v_mul_lo_u32 v0, v0, v213
	v_dot4_i32_i8 v253, v68, v243, v253
	v_mul_lo_u32 v252, v252, v213
	v_mul_lo_u32 v117, v117, v215
	;; [unrolled: 1-line block ×3, first 2 shown]
	v_cvt_f32_i32_e32 v0, v0
	v_cvt_f32_i32_e32 v252, v252
	;; [unrolled: 1-line block ×4, first 2 shown]
	v_fma_mix_f32 v0, v0, v244, 0 op_sel_hi:[0,1,0]
	v_fma_mix_f32 v255, v212, v244, 0 op_sel:[0,1,0] op_sel_hi:[0,1,0]
	s_waitcnt lgkmcnt(0)
	v_fma_mix_f32 v252, v252, v246, 0 op_sel_hi:[0,1,0]
	v_fma_mix_f32 v254, v212, v246, 0 op_sel:[0,1,0] op_sel_hi:[0,1,0]
	v_fma_mix_f32 v0, v117, v245, v0 op_sel_hi:[0,1,0]
	v_fma_mix_f32 v117, v214, v245, v255 op_sel:[0,1,0] op_sel_hi:[0,1,0]
	;; [unrolled: 2-line block ×3, first 2 shown]
	v_mul_f32_e32 v117, v117, v197
	v_mul_f32_e32 v253, v253, v205
	v_fma_f32 v0, v0, v196, -v117
	v_fma_f32 v117, v252, v204, -v253
	v_add_f32_e32 v39, v39, v0
	v_dot4_i32_i8 v0, v69, v228, 0
	v_add_f32_e32 v40, v40, v117
	v_dot4_i32_i8 v0, v70, v229, v0
	v_dot4_i32_i8 v117, v77, v236, 0
	;; [unrolled: 1-line block ×15, first 2 shown]
	v_mul_lo_u32 v118, v118, v217
	v_mul_lo_u32 v0, v0, v217
	;; [unrolled: 1-line block ×4, first 2 shown]
	v_cvt_f32_i32_e32 v118, v118
	v_cvt_f32_i32_e32 v0, v0
	;; [unrolled: 1-line block ×4, first 2 shown]
	v_fma_mix_f32 v118, v118, v244, 0 op_sel_hi:[0,1,0]
	v_fma_mix_f32 v0, v0, v246, 0 op_sel_hi:[0,1,0]
	v_fma_mix_f32 v252, v216, v246, 0 op_sel:[0,1,0] op_sel_hi:[0,1,0]
	v_fma_mix_f32 v253, v216, v244, 0 op_sel:[0,1,0] op_sel_hi:[0,1,0]
	v_fma_mix_f32 v0, v117, v247, v0 op_sel_hi:[0,1,0]
	v_fma_mix_f32 v117, v124, v245, v118 op_sel_hi:[0,1,0]
	v_fma_mix_f32 v124, v218, v247, v252 op_sel:[0,1,0] op_sel_hi:[0,1,0]
	v_fma_mix_f32 v118, v218, v245, v253 op_sel:[0,1,0] op_sel_hi:[0,1,0]
	v_mul_f32_e32 v124, v124, v207
	v_mul_f32_e32 v118, v118, v199
	v_fma_f32 v0, v0, v206, -v124
	v_fma_f32 v117, v117, v198, -v118
	v_add_f32_e32 v42, v42, v0
	v_dot4_i32_i8 v0, v85, v228, 0
	v_add_f32_e32 v41, v41, v117
	v_dot4_i32_i8 v0, v86, v229, v0
	v_dot4_i32_i8 v117, v93, v236, 0
	;; [unrolled: 1-line block ×15, first 2 shown]
	v_mul_lo_u32 v118, v248, v221
	v_mul_lo_u32 v0, v0, v221
	;; [unrolled: 1-line block ×4, first 2 shown]
	v_cvt_f32_i32_e32 v118, v118
	v_cvt_f32_i32_e32 v0, v0
	v_cvt_f32_i32_e32 v117, v117
	v_cvt_f32_i32_e32 v249, v249
	v_fma_mix_f32 v124, v220, v246, 0 op_sel:[0,1,0] op_sel_hi:[0,1,0]
	v_fma_mix_f32 v118, v118, v244, 0 op_sel_hi:[0,1,0]
	v_fma_mix_f32 v0, v0, v246, 0 op_sel_hi:[0,1,0]
	v_fma_mix_f32 v248, v220, v244, 0 op_sel:[0,1,0] op_sel_hi:[0,1,0]
	v_fma_mix_f32 v124, v222, v247, v124 op_sel:[0,1,0] op_sel_hi:[0,1,0]
	v_fma_mix_f32 v0, v117, v247, v0 op_sel_hi:[0,1,0]
	v_fma_mix_f32 v117, v249, v245, v118 op_sel_hi:[0,1,0]
	v_fma_mix_f32 v118, v222, v245, v248 op_sel:[0,1,0] op_sel_hi:[0,1,0]
	v_mul_f32_e32 v124, v124, v209
	v_mul_f32_e32 v118, v118, v201
	v_fma_f32 v0, v0, v208, -v124
	v_fma_f32 v117, v117, v200, -v118
	v_add_f32_e32 v44, v44, v0
	v_dot4_i32_i8 v0, v101, v228, 0
	v_add_f32_e32 v43, v43, v117
	v_dot4_i32_i8 v0, v102, v229, v0
	v_dot4_i32_i8 v117, v109, v236, 0
	;; [unrolled: 1-line block ×15, first 2 shown]
	v_mul_lo_u32 v118, v250, v225
	v_mul_lo_u32 v0, v0, v225
	;; [unrolled: 1-line block ×4, first 2 shown]
	v_cvt_f32_i32_e32 v118, v118
	v_cvt_f32_i32_e32 v0, v0
	;; [unrolled: 1-line block ×4, first 2 shown]
	v_fma_mix_f32 v124, v224, v246, 0 op_sel:[0,1,0] op_sel_hi:[0,1,0]
	v_fma_mix_f32 v118, v118, v244, 0 op_sel_hi:[0,1,0]
	v_fma_mix_f32 v0, v0, v246, 0 op_sel_hi:[0,1,0]
	v_fma_mix_f32 v228, v224, v244, 0 op_sel:[0,1,0] op_sel_hi:[0,1,0]
	v_fma_mix_f32 v124, v226, v247, v124 op_sel:[0,1,0] op_sel_hi:[0,1,0]
	v_fma_mix_f32 v0, v117, v247, v0 op_sel_hi:[0,1,0]
	v_fma_mix_f32 v117, v229, v245, v118 op_sel_hi:[0,1,0]
	v_fma_mix_f32 v118, v226, v245, v228 op_sel:[0,1,0] op_sel_hi:[0,1,0]
	v_mul_f32_e32 v124, v124, v211
	v_mul_f32_e32 v118, v118, v203
	v_fma_f32 v0, v0, v210, -v124
	v_fma_f32 v117, v117, v202, -v118
	v_add_f32_e32 v46, v46, v0
	v_or_b32_e32 v0, s19, v167
	v_add_f32_e32 v45, v45, v117
	v_lshlrev_b32_e32 v117, 2, v0
	v_lshrrev_b32_e32 v0, 1, v0
	ds_read_b128 v[228:231], v117 offset:33280
	ds_read_b128 v[232:235], v117 offset:33296
	;; [unrolled: 1-line block ×4, first 2 shown]
	ds_read_b64 v[244:245], v0 offset:43584
	s_waitcnt lgkmcnt(4)
	v_dot4_i32_i8 v0, v53, v228, 0
	v_dot4_i32_i8 v118, v69, v228, 0
	;; [unrolled: 1-line block ×10, first 2 shown]
	s_waitcnt lgkmcnt(3)
	v_dot4_i32_i8 v228, v105, v232, v228
	v_dot4_i32_i8 v246, v89, v232, v246
	;; [unrolled: 1-line block ×7, first 2 shown]
	s_waitcnt lgkmcnt(2)
	v_dot4_i32_i8 v228, v109, v236, 0
	v_dot4_i32_i8 v248, v92, v235, v246
	;; [unrolled: 1-line block ×19, first 2 shown]
	s_waitcnt lgkmcnt(1)
	v_dot4_i32_i8 v228, v113, v240, v228
	v_dot4_i32_i8 v0, v56, v231, v0
	;; [unrolled: 1-line block ×19, first 2 shown]
	v_or_b32_e32 v228, s19, v168
	v_dot4_i32_i8 v0, v59, v234, v0
	v_dot4_i32_i8 v117, v67, v242, v117
	;; [unrolled: 1-line block ×5, first 2 shown]
	v_lshlrev_b32_e32 v240, 2, v228
	v_lshrrev_b32_e32 v246, 1, v228
	v_dot4_i32_i8 v0, v60, v235, v0
	v_dot4_i32_i8 v117, v68, v243, v117
	;; [unrolled: 1-line block ×4, first 2 shown]
	ds_read_b128 v[228:231], v240 offset:33280
	ds_read_b128 v[232:235], v240 offset:33296
	;; [unrolled: 1-line block ×4, first 2 shown]
	ds_read_b64 v[246:247], v246 offset:43584
	s_waitcnt lgkmcnt(4)
	v_dot4_i32_i8 v252, v53, v228, 0
	v_dot4_i32_i8 v252, v54, v229, v252
	s_waitcnt lgkmcnt(2)
	v_dot4_i32_i8 v253, v61, v236, 0
	v_dot4_i32_i8 v252, v55, v230, v252
	;; [unrolled: 1-line block ×8, first 2 shown]
	s_waitcnt lgkmcnt(1)
	v_dot4_i32_i8 v253, v65, v240, v253
	v_dot4_i32_i8 v252, v59, v234, v252
	;; [unrolled: 1-line block ×5, first 2 shown]
	v_mul_lo_u32 v0, v0, v213
	v_dot4_i32_i8 v253, v68, v243, v253
	v_mul_lo_u32 v252, v252, v213
	v_mul_lo_u32 v117, v117, v215
	;; [unrolled: 1-line block ×3, first 2 shown]
	v_cvt_f32_i32_e32 v0, v0
	v_cvt_f32_i32_e32 v252, v252
	v_cvt_f32_i32_e32 v117, v117
	v_cvt_f32_i32_e32 v253, v253
	v_fma_mix_f32 v0, v0, v244, 0 op_sel_hi:[0,1,0]
	v_fma_mix_f32 v255, v212, v244, 0 op_sel:[0,1,0] op_sel_hi:[0,1,0]
	s_waitcnt lgkmcnt(0)
	v_fma_mix_f32 v252, v252, v246, 0 op_sel_hi:[0,1,0]
	v_fma_mix_f32 v254, v212, v246, 0 op_sel:[0,1,0] op_sel_hi:[0,1,0]
	v_fma_mix_f32 v0, v117, v245, v0 op_sel_hi:[0,1,0]
	v_fma_mix_f32 v117, v214, v245, v255 op_sel:[0,1,0] op_sel_hi:[0,1,0]
	;; [unrolled: 2-line block ×3, first 2 shown]
	v_mul_f32_e32 v117, v117, v197
	v_mul_f32_e32 v253, v253, v205
	v_fma_f32 v0, v0, v196, -v117
	v_fma_f32 v117, v252, v204, -v253
	v_add_f32_e32 v29, v29, v0
	v_dot4_i32_i8 v0, v69, v228, 0
	v_add_f32_e32 v30, v30, v117
	v_dot4_i32_i8 v0, v70, v229, v0
	v_dot4_i32_i8 v117, v77, v236, 0
	;; [unrolled: 1-line block ×15, first 2 shown]
	v_mul_lo_u32 v118, v118, v217
	v_mul_lo_u32 v0, v0, v217
	;; [unrolled: 1-line block ×4, first 2 shown]
	v_cvt_f32_i32_e32 v118, v118
	v_cvt_f32_i32_e32 v0, v0
	;; [unrolled: 1-line block ×4, first 2 shown]
	v_fma_mix_f32 v118, v118, v244, 0 op_sel_hi:[0,1,0]
	v_fma_mix_f32 v0, v0, v246, 0 op_sel_hi:[0,1,0]
	v_fma_mix_f32 v252, v216, v246, 0 op_sel:[0,1,0] op_sel_hi:[0,1,0]
	v_fma_mix_f32 v253, v216, v244, 0 op_sel:[0,1,0] op_sel_hi:[0,1,0]
	v_fma_mix_f32 v0, v117, v247, v0 op_sel_hi:[0,1,0]
	v_fma_mix_f32 v117, v124, v245, v118 op_sel_hi:[0,1,0]
	v_fma_mix_f32 v124, v218, v247, v252 op_sel:[0,1,0] op_sel_hi:[0,1,0]
	v_fma_mix_f32 v118, v218, v245, v253 op_sel:[0,1,0] op_sel_hi:[0,1,0]
	v_mul_f32_e32 v124, v124, v207
	v_mul_f32_e32 v118, v118, v199
	v_fma_f32 v0, v0, v206, -v124
	v_fma_f32 v117, v117, v198, -v118
	v_add_f32_e32 v32, v32, v0
	v_dot4_i32_i8 v0, v85, v228, 0
	v_add_f32_e32 v31, v31, v117
	v_dot4_i32_i8 v0, v86, v229, v0
	v_dot4_i32_i8 v117, v93, v236, 0
	;; [unrolled: 1-line block ×15, first 2 shown]
	v_mul_lo_u32 v118, v248, v221
	v_mul_lo_u32 v0, v0, v221
	;; [unrolled: 1-line block ×4, first 2 shown]
	v_cvt_f32_i32_e32 v118, v118
	v_cvt_f32_i32_e32 v0, v0
	v_cvt_f32_i32_e32 v117, v117
	v_cvt_f32_i32_e32 v249, v249
	v_fma_mix_f32 v124, v220, v246, 0 op_sel:[0,1,0] op_sel_hi:[0,1,0]
	v_fma_mix_f32 v118, v118, v244, 0 op_sel_hi:[0,1,0]
	v_fma_mix_f32 v0, v0, v246, 0 op_sel_hi:[0,1,0]
	v_fma_mix_f32 v248, v220, v244, 0 op_sel:[0,1,0] op_sel_hi:[0,1,0]
	v_fma_mix_f32 v124, v222, v247, v124 op_sel:[0,1,0] op_sel_hi:[0,1,0]
	v_fma_mix_f32 v0, v117, v247, v0 op_sel_hi:[0,1,0]
	v_fma_mix_f32 v117, v249, v245, v118 op_sel_hi:[0,1,0]
	v_fma_mix_f32 v118, v222, v245, v248 op_sel:[0,1,0] op_sel_hi:[0,1,0]
	v_mul_f32_e32 v124, v124, v209
	v_mul_f32_e32 v118, v118, v201
	v_fma_f32 v0, v0, v208, -v124
	v_fma_f32 v117, v117, v200, -v118
	v_add_f32_e32 v34, v34, v0
	v_dot4_i32_i8 v0, v101, v228, 0
	v_add_f32_e32 v33, v33, v117
	v_dot4_i32_i8 v0, v102, v229, v0
	v_dot4_i32_i8 v117, v109, v236, 0
	v_dot4_i32_i8 v0, v103, v230, v0
	v_dot4_i32_i8 v117, v110, v237, v117
	v_dot4_i32_i8 v0, v104, v231, v0
	v_dot4_i32_i8 v117, v111, v238, v117
	v_dot4_i32_i8 v0, v105, v232, v0
	v_dot4_i32_i8 v117, v112, v239, v117
	v_dot4_i32_i8 v0, v106, v233, v0
	v_dot4_i32_i8 v117, v113, v240, v117
	v_dot4_i32_i8 v0, v107, v234, v0
	v_dot4_i32_i8 v117, v114, v241, v117
	v_dot4_i32_i8 v0, v108, v235, v0
	v_dot4_i32_i8 v117, v115, v242, v117
	v_dot4_i32_i8 v117, v116, v243, v117
	v_mul_lo_u32 v118, v250, v225
	v_mul_lo_u32 v0, v0, v225
	;; [unrolled: 1-line block ×4, first 2 shown]
	v_cvt_f32_i32_e32 v118, v118
	v_cvt_f32_i32_e32 v0, v0
	;; [unrolled: 1-line block ×4, first 2 shown]
	v_fma_mix_f32 v124, v224, v246, 0 op_sel:[0,1,0] op_sel_hi:[0,1,0]
	v_fma_mix_f32 v118, v118, v244, 0 op_sel_hi:[0,1,0]
	v_fma_mix_f32 v0, v0, v246, 0 op_sel_hi:[0,1,0]
	v_fma_mix_f32 v228, v224, v244, 0 op_sel:[0,1,0] op_sel_hi:[0,1,0]
	v_fma_mix_f32 v124, v226, v247, v124 op_sel:[0,1,0] op_sel_hi:[0,1,0]
	v_fma_mix_f32 v0, v117, v247, v0 op_sel_hi:[0,1,0]
	v_fma_mix_f32 v117, v229, v245, v118 op_sel_hi:[0,1,0]
	v_fma_mix_f32 v118, v226, v245, v228 op_sel:[0,1,0] op_sel_hi:[0,1,0]
	v_mul_f32_e32 v124, v124, v211
	v_mul_f32_e32 v118, v118, v203
	v_fma_f32 v0, v0, v210, -v124
	v_fma_f32 v117, v117, v202, -v118
	v_add_f32_e32 v36, v36, v0
	v_or_b32_e32 v0, s19, v169
	v_add_f32_e32 v35, v35, v117
	v_lshlrev_b32_e32 v117, 2, v0
	v_lshrrev_b32_e32 v0, 1, v0
	ds_read_b128 v[228:231], v117 offset:33280
	ds_read_b128 v[232:235], v117 offset:33296
	;; [unrolled: 1-line block ×4, first 2 shown]
	ds_read_b64 v[244:245], v0 offset:43584
	s_waitcnt lgkmcnt(4)
	v_dot4_i32_i8 v0, v53, v228, 0
	v_dot4_i32_i8 v118, v69, v228, 0
	;; [unrolled: 1-line block ×10, first 2 shown]
	s_waitcnt lgkmcnt(3)
	v_dot4_i32_i8 v228, v105, v232, v228
	v_dot4_i32_i8 v246, v89, v232, v246
	;; [unrolled: 1-line block ×7, first 2 shown]
	s_waitcnt lgkmcnt(2)
	v_dot4_i32_i8 v228, v109, v236, 0
	v_dot4_i32_i8 v248, v92, v235, v246
	;; [unrolled: 1-line block ×19, first 2 shown]
	s_waitcnt lgkmcnt(1)
	v_dot4_i32_i8 v228, v113, v240, v228
	v_dot4_i32_i8 v0, v56, v231, v0
	;; [unrolled: 1-line block ×19, first 2 shown]
	v_or_b32_e32 v228, s19, v170
	v_dot4_i32_i8 v0, v59, v234, v0
	v_dot4_i32_i8 v117, v67, v242, v117
	;; [unrolled: 1-line block ×5, first 2 shown]
	v_lshlrev_b32_e32 v240, 2, v228
	v_lshrrev_b32_e32 v246, 1, v228
	v_dot4_i32_i8 v0, v60, v235, v0
	v_dot4_i32_i8 v117, v68, v243, v117
	;; [unrolled: 1-line block ×4, first 2 shown]
	ds_read_b128 v[228:231], v240 offset:33280
	ds_read_b128 v[232:235], v240 offset:33296
	ds_read_b128 v[236:239], v240 offset:33312
	ds_read_b128 v[240:243], v240 offset:33328
	ds_read_b64 v[246:247], v246 offset:43584
	s_waitcnt lgkmcnt(4)
	v_dot4_i32_i8 v53, v53, v228, 0
	v_dot4_i32_i8 v53, v54, v229, v53
	s_waitcnt lgkmcnt(2)
	v_dot4_i32_i8 v54, v61, v236, 0
	v_dot4_i32_i8 v53, v55, v230, v53
	;; [unrolled: 1-line block ×8, first 2 shown]
	s_waitcnt lgkmcnt(1)
	v_dot4_i32_i8 v54, v65, v240, v54
	v_dot4_i32_i8 v53, v59, v234, v53
	;; [unrolled: 1-line block ×6, first 2 shown]
	v_mul_lo_u32 v53, v53, v213
	v_mul_lo_u32 v0, v0, v213
	;; [unrolled: 1-line block ×4, first 2 shown]
	v_cvt_f32_i32_e32 v53, v53
	v_cvt_f32_i32_e32 v0, v0
	;; [unrolled: 1-line block ×4, first 2 shown]
	s_waitcnt lgkmcnt(0)
	v_fma_mix_f32 v53, v53, v246, 0 op_sel_hi:[0,1,0]
	v_fma_mix_f32 v56, v212, v244, 0 op_sel:[0,1,0] op_sel_hi:[0,1,0]
	v_fma_mix_f32 v0, v0, v244, 0 op_sel_hi:[0,1,0]
	v_fma_mix_f32 v55, v212, v246, 0 op_sel:[0,1,0] op_sel_hi:[0,1,0]
	;; [unrolled: 2-line block ×4, first 2 shown]
	v_mul_f32_e32 v54, v54, v197
	v_mul_f32_e32 v55, v55, v205
	v_fma_f32 v0, v0, v196, -v54
	v_fma_f32 v53, v53, v204, -v55
	v_add_f32_e32 v21, v21, v0
	v_dot4_i32_i8 v0, v69, v228, 0
	v_add_f32_e32 v22, v22, v53
	v_dot4_i32_i8 v0, v70, v229, v0
	v_dot4_i32_i8 v53, v77, v236, 0
	;; [unrolled: 1-line block ×15, first 2 shown]
	v_mul_lo_u32 v54, v118, v217
	v_mul_lo_u32 v0, v0, v217
	;; [unrolled: 1-line block ×4, first 2 shown]
	v_cvt_f32_i32_e32 v54, v54
	v_cvt_f32_i32_e32 v0, v0
	v_cvt_f32_i32_e32 v53, v53
	v_cvt_f32_i32_e32 v57, v57
	v_fma_mix_f32 v55, v216, v246, 0 op_sel:[0,1,0] op_sel_hi:[0,1,0]
	v_fma_mix_f32 v54, v54, v244, 0 op_sel_hi:[0,1,0]
	v_fma_mix_f32 v0, v0, v246, 0 op_sel_hi:[0,1,0]
	v_fma_mix_f32 v56, v216, v244, 0 op_sel:[0,1,0] op_sel_hi:[0,1,0]
	v_fma_mix_f32 v55, v218, v247, v55 op_sel:[0,1,0] op_sel_hi:[0,1,0]
	v_fma_mix_f32 v0, v53, v247, v0 op_sel_hi:[0,1,0]
	v_fma_mix_f32 v53, v57, v245, v54 op_sel_hi:[0,1,0]
	v_fma_mix_f32 v54, v218, v245, v56 op_sel:[0,1,0] op_sel_hi:[0,1,0]
	v_mul_f32_e32 v55, v55, v207
	v_mul_f32_e32 v54, v54, v199
	v_fma_f32 v0, v0, v206, -v55
	v_fma_f32 v53, v53, v198, -v54
	v_add_f32_e32 v24, v24, v0
	v_dot4_i32_i8 v0, v85, v228, 0
	v_add_f32_e32 v23, v23, v53
	v_dot4_i32_i8 v0, v86, v229, v0
	v_dot4_i32_i8 v53, v93, v236, 0
	;; [unrolled: 1-line block ×15, first 2 shown]
	v_mul_lo_u32 v54, v248, v221
	v_mul_lo_u32 v0, v0, v221
	;; [unrolled: 1-line block ×4, first 2 shown]
	v_cvt_f32_i32_e32 v54, v54
	v_cvt_f32_i32_e32 v0, v0
	;; [unrolled: 1-line block ×4, first 2 shown]
	v_fma_mix_f32 v55, v220, v246, 0 op_sel:[0,1,0] op_sel_hi:[0,1,0]
	v_fma_mix_f32 v54, v54, v244, 0 op_sel_hi:[0,1,0]
	v_fma_mix_f32 v0, v0, v246, 0 op_sel_hi:[0,1,0]
	v_fma_mix_f32 v56, v220, v244, 0 op_sel:[0,1,0] op_sel_hi:[0,1,0]
	v_fma_mix_f32 v55, v222, v247, v55 op_sel:[0,1,0] op_sel_hi:[0,1,0]
	v_fma_mix_f32 v0, v53, v247, v0 op_sel_hi:[0,1,0]
	v_fma_mix_f32 v53, v57, v245, v54 op_sel_hi:[0,1,0]
	v_fma_mix_f32 v54, v222, v245, v56 op_sel:[0,1,0] op_sel_hi:[0,1,0]
	v_mul_f32_e32 v55, v55, v209
	v_mul_f32_e32 v54, v54, v201
	v_fma_f32 v0, v0, v208, -v55
	v_fma_f32 v53, v53, v200, -v54
	v_add_f32_e32 v26, v26, v0
	v_dot4_i32_i8 v0, v101, v228, 0
	v_add_f32_e32 v25, v25, v53
	v_dot4_i32_i8 v0, v102, v229, v0
	v_dot4_i32_i8 v53, v109, v236, 0
	;; [unrolled: 1-line block ×15, first 2 shown]
	v_mul_lo_u32 v54, v250, v225
	v_mul_lo_u32 v0, v0, v225
	;; [unrolled: 1-line block ×4, first 2 shown]
	v_cvt_f32_i32_e32 v54, v54
	v_cvt_f32_i32_e32 v0, v0
	;; [unrolled: 1-line block ×4, first 2 shown]
	v_fma_mix_f32 v54, v54, v244, 0 op_sel_hi:[0,1,0]
	v_fma_mix_f32 v0, v0, v246, 0 op_sel_hi:[0,1,0]
	v_fma_mix_f32 v55, v224, v246, 0 op_sel:[0,1,0] op_sel_hi:[0,1,0]
	v_fma_mix_f32 v56, v224, v244, 0 op_sel:[0,1,0] op_sel_hi:[0,1,0]
	v_fma_mix_f32 v0, v53, v247, v0 op_sel_hi:[0,1,0]
	v_fma_mix_f32 v53, v57, v245, v54 op_sel_hi:[0,1,0]
	v_fma_mix_f32 v54, v226, v245, v56 op_sel:[0,1,0] op_sel_hi:[0,1,0]
	v_fma_mix_f32 v55, v226, v247, v55 op_sel:[0,1,0] op_sel_hi:[0,1,0]
	v_mul_f32_e32 v55, v55, v211
	v_mul_f32_e32 v54, v54, v203
	v_fma_f32 v53, v53, v202, -v54
	v_fma_f32 v0, v0, v210, -v55
	v_add_f32_e32 v28, v28, v0
	v_add_f32_e32 v27, v27, v53
	s_cbranch_vccnz .LBB154_6
; %bb.7:                                ;   in Loop: Header=BB154_5 Depth=1
	v_add_u32_e32 v0, s17, v158
	v_add_u32_e32 v67, 4, v195
	;; [unrolled: 1-line block ×3, first 2 shown]
	v_mad_u64_u32 v[67:68], s[0:1], v67, 36, s[2:3]
	v_mad_i64_i32 v[53:54], s[0:1], v53, 36, v[37:38]
	v_add_u32_e32 v55, v0, v150
	v_mad_i64_i32 v[55:56], s[0:1], v55, 36, v[37:38]
	v_add_u32_e32 v57, v0, v151
	v_add_u32_e32 v59, v0, v152
	v_mad_i64_i32 v[57:58], s[0:1], v57, 36, v[37:38]
	v_mad_i64_i32 v[59:60], s[0:1], v59, 36, v[37:38]
	v_add_u32_e32 v61, v0, v153
	v_add_u32_e32 v63, v0, v154
	;; [unrolled: 1-line block ×4, first 2 shown]
	s_barrier
	v_mad_i64_i32 v[61:62], s[0:1], v61, 36, v[37:38]
	v_mad_i64_i32 v[63:64], s[0:1], v63, 36, v[37:38]
	;; [unrolled: 1-line block ×4, first 2 shown]
	global_load_dword v0, v[67:68], off
	s_nop 0
	global_load_dword v53, v[53:54], off offset:4
	s_nop 0
	global_load_dword v54, v[55:56], off offset:4
	;; [unrolled: 2-line block ×3, first 2 shown]
	global_load_dword v56, v[59:60], off offset:4
	s_nop 0
	global_load_dword v57, v[61:62], off offset:4
	global_load_dword v58, v[63:64], off offset:4
	;; [unrolled: 1-line block ×4, first 2 shown]
	s_mov_b32 s0, 16
	s_waitcnt vmcnt(8)
	ds_write_b32 v147, v0
	s_waitcnt vmcnt(7)
	ds_write_b32 v179, v53
	;; [unrolled: 2-line block ×9, first 2 shown]
	s_waitcnt lgkmcnt(0)
	s_barrier
	ds_read_b32 v0, v157
	ds_read_b32 v53, v159 offset:128
	ds_read_b32 v54, v161 offset:256
	;; [unrolled: 1-line block ×3, first 2 shown]
	s_waitcnt lgkmcnt(2)
	v_cvt_f32_f16_e32 v197, v53
	v_cvt_f32_f16_e32 v195, v0
	v_cvt_f32_f16_sdwa v196, v0 dst_sel:DWORD dst_unused:UNUSED_PAD src0_sel:WORD_1
	v_cvt_f32_f16_sdwa v198, v53 dst_sel:DWORD dst_unused:UNUSED_PAD src0_sel:WORD_1
	s_waitcnt lgkmcnt(1)
	v_cvt_f32_f16_e32 v199, v54
	v_cvt_f32_f16_sdwa v200, v54 dst_sel:DWORD dst_unused:UNUSED_PAD src0_sel:WORD_1
	s_waitcnt lgkmcnt(0)
	v_cvt_f32_f16_e32 v201, v55
	v_cvt_f32_f16_sdwa v202, v55 dst_sel:DWORD dst_unused:UNUSED_PAD src0_sel:WORD_1
	v_mov_b32_e32 v203, v195
	v_mov_b32_e32 v204, v196
	;; [unrolled: 1-line block ×8, first 2 shown]
.LBB154_8:                              ;   Parent Loop BB154_5 Depth=1
                                        ; =>  This Inner Loop Header: Depth=2
	s_lshr_b32 s1, s0, 2
	s_and_b32 s17, s1, 0x3ffffffe
	s_lshl_b32 s1, s0, 1
	s_and_b32 s1, s1, 16
	v_or_b32_e32 v0, s1, v140
	s_lshl_b32 s18, s0, 3
	v_lshlrev_b32_e32 v53, 2, v0
	v_add_u32_e32 v54, s18, v171
	ds_read_b128 v[55:58], v53 offset:33280
	ds_read_b128 v[71:74], v53 offset:33296
	;; [unrolled: 1-line block ×4, first 2 shown]
	ds_read2_b32 v[93:94], v54 offset1:1
	ds_read2_b32 v[97:98], v54 offset0:2 offset1:3
	ds_read2_b32 v[101:102], v54 offset0:4 offset1:5
	;; [unrolled: 1-line block ×3, first 2 shown]
	s_add_i32 s17, s17, 0xa200
	s_waitcnt lgkmcnt(3)
	v_dot4_i32_i8 v59, v93, v55, 0
	v_dot4_i32_i8 v59, v94, v56, v59
	s_waitcnt lgkmcnt(2)
	v_dot4_i32_i8 v59, v97, v57, v59
	v_dot4_i32_i8 v59, v98, v58, v59
	;; [unrolled: 3-line block ×3, first 2 shown]
	v_add3_u32 v53, s17, v190, v191
	s_waitcnt lgkmcnt(0)
	v_dot4_i32_i8 v59, v105, v73, v59
	v_dot4_i32_i8 v117, v106, v74, v59
	ds_read_u16 v59, v53
	ds_read_u16 v53, v53 offset:8
	ds_read2_b32 v[109:110], v54 offset0:8 offset1:9
	ds_read2_b32 v[111:112], v54 offset0:10 offset1:11
	;; [unrolled: 1-line block ×4, first 2 shown]
	s_waitcnt lgkmcnt(5)
	v_and_b32_e32 v223, 0xff, v59
	s_waitcnt lgkmcnt(3)
	v_dot4_i32_i8 v60, v109, v227, 0
	v_dot4_i32_i8 v60, v110, v228, v60
	s_waitcnt lgkmcnt(2)
	v_dot4_i32_i8 v60, v111, v229, v60
	v_dot4_i32_i8 v60, v112, v230, v60
	;; [unrolled: 3-line block ×4, first 2 shown]
	v_add_u32_e32 v54, s18, v172
	ds_read2_b32 v[77:78], v54 offset1:1
	ds_read2_b32 v[79:80], v54 offset0:2 offset1:3
	ds_read2_b32 v[81:82], v54 offset0:4 offset1:5
	ds_read2_b32 v[85:86], v54 offset0:6 offset1:7
	v_lshrrev_b16_e32 v226, 8, v59
	s_waitcnt lgkmcnt(3)
	v_dot4_i32_i8 v59, v77, v55, 0
	v_dot4_i32_i8 v59, v78, v56, v59
	s_waitcnt lgkmcnt(2)
	v_dot4_i32_i8 v59, v79, v57, v59
	v_dot4_i32_i8 v59, v80, v58, v59
	;; [unrolled: 3-line block ×3, first 2 shown]
	v_cvt_f32_ubyte0_e32 v221, v53
	v_cvt_f32_ubyte1_e32 v225, v53
	v_add3_u32 v53, s17, v192, v187
	s_waitcnt lgkmcnt(0)
	v_dot4_i32_i8 v59, v85, v73, v59
	v_dot4_i32_i8 v124, v86, v74, v59
	ds_read_u16 v59, v53
	ds_read_u16 v53, v53 offset:8
	ds_read2_b32 v[95:96], v54 offset0:8 offset1:9
	ds_read2_b32 v[99:100], v54 offset0:10 offset1:11
	ds_read2_b32 v[103:104], v54 offset0:12 offset1:13
	ds_read2_b32 v[107:108], v54 offset0:14 offset1:15
	s_waitcnt lgkmcnt(5)
	v_and_b32_e32 v219, 0xff, v59
	s_waitcnt lgkmcnt(3)
	v_dot4_i32_i8 v60, v95, v227, 0
	v_dot4_i32_i8 v60, v96, v228, v60
	s_waitcnt lgkmcnt(2)
	v_dot4_i32_i8 v60, v99, v229, v60
	v_dot4_i32_i8 v60, v100, v230, v60
	s_waitcnt lgkmcnt(1)
	v_dot4_i32_i8 v60, v103, v231, v60
	v_dot4_i32_i8 v60, v104, v232, v60
	s_waitcnt lgkmcnt(0)
	v_dot4_i32_i8 v54, v107, v233, v60
	v_dot4_i32_i8 v247, v108, v234, v54
	v_add_u32_e32 v54, s18, v173
	ds_read2_b32 v[61:62], v54 offset1:1
	ds_read2_b32 v[63:64], v54 offset0:2 offset1:3
	ds_read2_b32 v[65:66], v54 offset0:4 offset1:5
	;; [unrolled: 1-line block ×3, first 2 shown]
	v_lshrrev_b16_e32 v224, 8, v59
	s_waitcnt lgkmcnt(3)
	v_dot4_i32_i8 v59, v61, v55, 0
	v_dot4_i32_i8 v59, v62, v56, v59
	s_waitcnt lgkmcnt(2)
	v_dot4_i32_i8 v59, v63, v57, v59
	v_dot4_i32_i8 v59, v64, v58, v59
	;; [unrolled: 3-line block ×3, first 2 shown]
	v_cvt_f32_ubyte0_e32 v217, v53
	v_cvt_f32_ubyte1_e32 v222, v53
	v_add3_u32 v53, s17, v193, v188
	s_waitcnt lgkmcnt(0)
	v_dot4_i32_i8 v59, v69, v73, v59
	v_dot4_i32_i8 v248, v70, v74, v59
	ds_read_u16 v59, v53
	ds_read_u16 v53, v53 offset:8
	ds_read2_b32 v[83:84], v54 offset0:8 offset1:9
	ds_read2_b32 v[87:88], v54 offset0:10 offset1:11
	;; [unrolled: 1-line block ×4, first 2 shown]
	v_add_u32_e32 v75, s18, v174
	s_waitcnt lgkmcnt(3)
	v_dot4_i32_i8 v60, v83, v227, 0
	v_dot4_i32_i8 v60, v84, v228, v60
	s_waitcnt lgkmcnt(2)
	v_dot4_i32_i8 v60, v87, v229, v60
	v_dot4_i32_i8 v60, v88, v230, v60
	;; [unrolled: 3-line block ×3, first 2 shown]
	s_waitcnt lgkmcnt(0)
	v_dot4_i32_i8 v54, v91, v233, v60
	v_cvt_f32_ubyte0_e32 v213, v53
	v_dot4_i32_i8 v249, v92, v234, v54
	v_cvt_f32_ubyte1_e32 v218, v53
	ds_read2_b32 v[53:54], v75 offset1:1
	v_and_b32_e32 v215, 0xff, v59
	v_lshrrev_b16_e32 v220, 8, v59
	v_add3_u32 v67, s17, v194, v189
	v_lshrrev_b32_e32 v0, 1, v0
	s_waitcnt lgkmcnt(0)
	v_dot4_i32_i8 v55, v53, v55, 0
	v_dot4_i32_i8 v59, v54, v56, v55
	ds_read2_b32 v[55:56], v75 offset0:2 offset1:3
	v_mul_lo_u32 v118, v118, v226
	v_mul_lo_u32 v247, v247, v224
	s_waitcnt lgkmcnt(0)
	v_dot4_i32_i8 v57, v55, v57, v59
	v_dot4_i32_i8 v59, v56, v58, v57
	ds_read2_b32 v[57:58], v75 offset0:4 offset1:5
	v_cvt_f32_i32_e32 v118, v118
	v_cvt_f32_i32_e32 v247, v247
	s_waitcnt lgkmcnt(0)
	v_dot4_i32_i8 v59, v57, v71, v59
	v_dot4_i32_i8 v68, v58, v72, v59
	ds_read2_b32 v[59:60], v75 offset0:6 offset1:7
	ds_read_u16 v214, v67
	ds_read_u16 v235, v67 offset:8
	s_waitcnt lgkmcnt(2)
	v_dot4_i32_i8 v68, v59, v73, v68
	v_dot4_i32_i8 v250, v60, v74, v68
	ds_read2_b32 v[67:68], v75 offset0:8 offset1:9
	s_waitcnt lgkmcnt(2)
	v_and_b32_e32 v212, 0xff, v214
	s_waitcnt lgkmcnt(1)
	v_cvt_f32_ubyte0_e32 v211, v235
	s_waitcnt lgkmcnt(0)
	v_dot4_i32_i8 v71, v67, v227, 0
	v_dot4_i32_i8 v73, v68, v228, v71
	ds_read2_b32 v[71:72], v75 offset0:10 offset1:11
	v_or_b32_e32 v227, s1, v164
	v_lshlrev_b32_e32 v239, 2, v227
	v_lshrrev_b32_e32 v245, 1, v227
	s_waitcnt lgkmcnt(0)
	v_dot4_i32_i8 v73, v71, v229, v73
	v_dot4_i32_i8 v76, v72, v230, v73
	ds_read2_b32 v[73:74], v75 offset0:12 offset1:13
	s_waitcnt lgkmcnt(0)
	v_dot4_i32_i8 v76, v73, v231, v76
	v_dot4_i32_i8 v216, v74, v232, v76
	ds_read2_b32 v[75:76], v75 offset0:14 offset1:15
	s_waitcnt lgkmcnt(0)
	v_dot4_i32_i8 v216, v75, v233, v216
	v_dot4_i32_i8 v251, v76, v234, v216
	v_lshrrev_b16_e32 v216, 8, v214
	v_cvt_f32_ubyte1_e32 v214, v235
	ds_read_b128 v[227:230], v239 offset:33280
	ds_read_b128 v[231:234], v239 offset:33296
	;; [unrolled: 1-line block ×4, first 2 shown]
	s_waitcnt lgkmcnt(3)
	v_dot4_i32_i8 v243, v93, v227, 0
	v_dot4_i32_i8 v243, v94, v228, v243
	v_dot4_i32_i8 v243, v97, v229, v243
	v_dot4_i32_i8 v243, v98, v230, v243
	s_waitcnt lgkmcnt(2)
	v_dot4_i32_i8 v243, v101, v231, v243
	v_dot4_i32_i8 v243, v102, v232, v243
	v_dot4_i32_i8 v243, v105, v233, v243
	v_dot4_i32_i8 v252, v106, v234, v243
	;; [unrolled: 5-line block ×4, first 2 shown]
	ds_read_b64 v[243:244], v0 offset:43584
	ds_read_b64 v[245:246], v245 offset:43584
	v_mul_lo_u32 v0, v117, v223
	v_mul_lo_u32 v117, v252, v223
	;; [unrolled: 1-line block ×3, first 2 shown]
	s_waitcnt lgkmcnt(1)
	v_fma_mix_f32 v254, v221, v243, 0 op_sel:[0,1,0] op_sel_hi:[0,1,0]
	v_cvt_f32_i32_e32 v0, v0
	v_cvt_f32_i32_e32 v117, v117
	v_cvt_f32_i32_e32 v253, v253
	s_waitcnt lgkmcnt(0)
	v_fma_mix_f32 v252, v221, v245, 0 op_sel:[0,1,0] op_sel_hi:[0,1,0]
	v_fma_mix_f32 v0, v243, v0, 0 op_sel_hi:[1,0,0]
	v_fma_mix_f32 v0, v244, v118, v0 op_sel_hi:[1,0,0]
	v_fma_mix_f32 v118, v225, v244, v254 op_sel:[0,1,0] op_sel_hi:[0,1,0]
	v_fma_mix_f32 v117, v245, v117, 0 op_sel_hi:[1,0,0]
	v_fma_mix_f32 v252, v225, v246, v252 op_sel:[0,1,0] op_sel_hi:[0,1,0]
	v_mul_f32_e32 v118, v118, v196
	v_fma_mix_f32 v117, v246, v253, v117 op_sel_hi:[1,0,0]
	v_mul_f32_e32 v252, v252, v204
	v_fma_f32 v0, v0, v195, -v118
	v_fma_f32 v117, v117, v203, -v252
	v_add_f32_e32 v2, v2, v0
	v_dot4_i32_i8 v0, v77, v227, 0
	v_add_f32_e32 v3, v3, v117
	v_dot4_i32_i8 v0, v78, v228, v0
	v_dot4_i32_i8 v117, v95, v235, 0
	;; [unrolled: 1-line block ×15, first 2 shown]
	v_mul_lo_u32 v118, v124, v219
	v_mul_lo_u32 v0, v0, v219
	;; [unrolled: 1-line block ×3, first 2 shown]
	v_fma_mix_f32 v124, v217, v245, 0 op_sel:[0,1,0] op_sel_hi:[0,1,0]
	v_cvt_f32_i32_e32 v118, v118
	v_cvt_f32_i32_e32 v0, v0
	;; [unrolled: 1-line block ×3, first 2 shown]
	v_fma_mix_f32 v252, v217, v243, 0 op_sel:[0,1,0] op_sel_hi:[0,1,0]
	v_fma_mix_f32 v118, v243, v118, 0 op_sel_hi:[1,0,0]
	v_fma_mix_f32 v0, v245, v0, 0 op_sel_hi:[1,0,0]
	v_fma_mix_f32 v124, v222, v246, v124 op_sel:[0,1,0] op_sel_hi:[0,1,0]
	v_fma_mix_f32 v0, v246, v117, v0 op_sel_hi:[1,0,0]
	v_fma_mix_f32 v117, v244, v247, v118 op_sel_hi:[1,0,0]
	v_fma_mix_f32 v118, v222, v244, v252 op_sel:[0,1,0] op_sel_hi:[0,1,0]
	v_mul_f32_e32 v124, v124, v206
	v_mul_f32_e32 v118, v118, v198
	v_fma_f32 v0, v0, v205, -v124
	v_fma_f32 v117, v117, v197, -v118
	v_add_f32_e32 v48, v48, v0
	v_dot4_i32_i8 v0, v61, v227, 0
	v_add_f32_e32 v47, v47, v117
	v_dot4_i32_i8 v0, v62, v228, v0
	v_dot4_i32_i8 v117, v83, v235, 0
	;; [unrolled: 1-line block ×15, first 2 shown]
	v_mul_lo_u32 v118, v248, v215
	v_mul_lo_u32 v0, v0, v215
	;; [unrolled: 1-line block ×4, first 2 shown]
	v_cvt_f32_i32_e32 v118, v118
	v_cvt_f32_i32_e32 v0, v0
	;; [unrolled: 1-line block ×4, first 2 shown]
	v_fma_mix_f32 v124, v213, v245, 0 op_sel:[0,1,0] op_sel_hi:[0,1,0]
	v_fma_mix_f32 v118, v243, v118, 0 op_sel_hi:[1,0,0]
	v_fma_mix_f32 v0, v245, v0, 0 op_sel_hi:[1,0,0]
	v_fma_mix_f32 v247, v213, v243, 0 op_sel:[0,1,0] op_sel_hi:[0,1,0]
	v_fma_mix_f32 v124, v218, v246, v124 op_sel:[0,1,0] op_sel_hi:[0,1,0]
	v_fma_mix_f32 v0, v246, v117, v0 op_sel_hi:[1,0,0]
	v_fma_mix_f32 v117, v244, v248, v118 op_sel_hi:[1,0,0]
	v_fma_mix_f32 v118, v218, v244, v247 op_sel:[0,1,0] op_sel_hi:[0,1,0]
	v_mul_f32_e32 v124, v124, v208
	v_mul_f32_e32 v118, v118, v200
	v_fma_f32 v0, v0, v207, -v124
	v_fma_f32 v117, v117, v199, -v118
	v_add_f32_e32 v50, v50, v0
	v_dot4_i32_i8 v0, v53, v227, 0
	v_add_f32_e32 v49, v49, v117
	v_dot4_i32_i8 v0, v54, v228, v0
	v_dot4_i32_i8 v117, v67, v235, 0
	;; [unrolled: 1-line block ×15, first 2 shown]
	v_mul_lo_u32 v118, v250, v212
	v_mul_lo_u32 v0, v0, v212
	;; [unrolled: 1-line block ×4, first 2 shown]
	v_cvt_f32_i32_e32 v118, v118
	v_cvt_f32_i32_e32 v0, v0
	;; [unrolled: 1-line block ×4, first 2 shown]
	v_fma_mix_f32 v124, v211, v245, 0 op_sel:[0,1,0] op_sel_hi:[0,1,0]
	v_fma_mix_f32 v118, v243, v118, 0 op_sel_hi:[1,0,0]
	v_fma_mix_f32 v0, v245, v0, 0 op_sel_hi:[1,0,0]
	v_fma_mix_f32 v227, v211, v243, 0 op_sel:[0,1,0] op_sel_hi:[0,1,0]
	v_fma_mix_f32 v124, v214, v246, v124 op_sel:[0,1,0] op_sel_hi:[0,1,0]
	v_fma_mix_f32 v0, v246, v117, v0 op_sel_hi:[1,0,0]
	v_fma_mix_f32 v117, v244, v228, v118 op_sel_hi:[1,0,0]
	v_fma_mix_f32 v118, v214, v244, v227 op_sel:[0,1,0] op_sel_hi:[0,1,0]
	v_mul_f32_e32 v124, v124, v210
	v_mul_f32_e32 v118, v118, v202
	v_fma_f32 v0, v0, v209, -v124
	v_fma_f32 v117, v117, v201, -v118
	v_add_f32_e32 v52, v52, v0
	v_or_b32_e32 v0, s1, v165
	v_add_f32_e32 v51, v51, v117
	v_lshlrev_b32_e32 v117, 2, v0
	ds_read_b128 v[227:230], v117 offset:33280
	ds_read_b128 v[231:234], v117 offset:33296
	;; [unrolled: 1-line block ×4, first 2 shown]
	v_lshrrev_b32_e32 v0, 1, v0
	s_waitcnt lgkmcnt(3)
	v_dot4_i32_i8 v117, v93, v227, 0
	v_dot4_i32_i8 v124, v77, v227, 0
	s_waitcnt lgkmcnt(1)
	v_dot4_i32_i8 v243, v95, v235, 0
	v_dot4_i32_i8 v243, v96, v236, v243
	;; [unrolled: 1-line block ×4, first 2 shown]
	s_waitcnt lgkmcnt(0)
	v_dot4_i32_i8 v243, v103, v239, v243
	v_dot4_i32_i8 v243, v104, v240, v243
	;; [unrolled: 1-line block ×50, first 2 shown]
	v_or_b32_e32 v227, s1, v166
	v_dot4_i32_i8 v117, v105, v233, v117
	v_dot4_i32_i8 v118, v115, v241, v118
	;; [unrolled: 1-line block ×4, first 2 shown]
	v_lshlrev_b32_e32 v239, 2, v227
	v_dot4_i32_i8 v117, v106, v234, v117
	v_dot4_i32_i8 v118, v116, v242, v118
	;; [unrolled: 1-line block ×4, first 2 shown]
	v_lshrrev_b32_e32 v245, 1, v227
	ds_read_b128 v[227:230], v239 offset:33280
	ds_read_b128 v[231:234], v239 offset:33296
	;; [unrolled: 1-line block ×4, first 2 shown]
	v_mul_lo_u32 v118, v118, v226
	s_waitcnt lgkmcnt(3)
	v_dot4_i32_i8 v243, v93, v227, 0
	v_dot4_i32_i8 v243, v94, v228, v243
	v_dot4_i32_i8 v243, v97, v229, v243
	v_dot4_i32_i8 v243, v98, v230, v243
	s_waitcnt lgkmcnt(2)
	v_dot4_i32_i8 v243, v101, v231, v243
	v_dot4_i32_i8 v243, v102, v232, v243
	v_dot4_i32_i8 v243, v105, v233, v243
	v_dot4_i32_i8 v252, v106, v234, v243
	;; [unrolled: 5-line block ×4, first 2 shown]
	ds_read_b64 v[243:244], v0 offset:43584
	ds_read_b64 v[245:246], v245 offset:43584
	v_mul_lo_u32 v0, v117, v223
	v_mul_lo_u32 v117, v252, v223
	;; [unrolled: 1-line block ×3, first 2 shown]
	v_cvt_f32_i32_e32 v118, v118
	v_cvt_f32_i32_e32 v0, v0
	;; [unrolled: 1-line block ×4, first 2 shown]
	s_waitcnt lgkmcnt(1)
	v_fma_mix_f32 v254, v221, v243, 0 op_sel:[0,1,0] op_sel_hi:[0,1,0]
	v_fma_mix_f32 v0, v0, v243, 0 op_sel_hi:[0,1,0]
	s_waitcnt lgkmcnt(0)
	v_fma_mix_f32 v252, v221, v245, 0 op_sel:[0,1,0] op_sel_hi:[0,1,0]
	v_fma_mix_f32 v0, v118, v244, v0 op_sel_hi:[0,1,0]
	v_fma_mix_f32 v118, v225, v244, v254 op_sel:[0,1,0] op_sel_hi:[0,1,0]
	v_fma_mix_f32 v117, v117, v245, 0 op_sel_hi:[0,1,0]
	v_fma_mix_f32 v252, v225, v246, v252 op_sel:[0,1,0] op_sel_hi:[0,1,0]
	v_mul_f32_e32 v118, v118, v196
	v_fma_mix_f32 v117, v253, v246, v117 op_sel_hi:[0,1,0]
	v_mul_f32_e32 v252, v252, v204
	v_fma_f32 v0, v0, v195, -v118
	v_fma_f32 v117, v117, v203, -v252
	v_add_f32_e32 v39, v39, v0
	v_dot4_i32_i8 v0, v77, v227, 0
	v_add_f32_e32 v40, v40, v117
	v_dot4_i32_i8 v0, v78, v228, v0
	v_dot4_i32_i8 v117, v95, v235, 0
	v_dot4_i32_i8 v0, v79, v229, v0
	v_dot4_i32_i8 v117, v96, v236, v117
	v_dot4_i32_i8 v0, v80, v230, v0
	v_dot4_i32_i8 v117, v99, v237, v117
	v_dot4_i32_i8 v0, v81, v231, v0
	v_dot4_i32_i8 v117, v100, v238, v117
	v_dot4_i32_i8 v0, v82, v232, v0
	v_dot4_i32_i8 v117, v103, v239, v117
	v_dot4_i32_i8 v0, v85, v233, v0
	v_dot4_i32_i8 v117, v104, v240, v117
	v_dot4_i32_i8 v0, v86, v234, v0
	v_dot4_i32_i8 v117, v107, v241, v117
	v_dot4_i32_i8 v117, v108, v242, v117
	v_mul_lo_u32 v118, v124, v219
	v_mul_lo_u32 v0, v0, v219
	v_mul_lo_u32 v117, v117, v224
	v_mul_lo_u32 v247, v247, v224
	v_cvt_f32_i32_e32 v118, v118
	v_cvt_f32_i32_e32 v0, v0
	v_cvt_f32_i32_e32 v117, v117
	v_cvt_f32_i32_e32 v247, v247
	v_fma_mix_f32 v124, v217, v245, 0 op_sel:[0,1,0] op_sel_hi:[0,1,0]
	v_fma_mix_f32 v118, v118, v243, 0 op_sel_hi:[0,1,0]
	v_fma_mix_f32 v0, v0, v245, 0 op_sel_hi:[0,1,0]
	v_fma_mix_f32 v252, v217, v243, 0 op_sel:[0,1,0] op_sel_hi:[0,1,0]
	v_fma_mix_f32 v124, v222, v246, v124 op_sel:[0,1,0] op_sel_hi:[0,1,0]
	v_fma_mix_f32 v0, v117, v246, v0 op_sel_hi:[0,1,0]
	v_fma_mix_f32 v117, v247, v244, v118 op_sel_hi:[0,1,0]
	v_fma_mix_f32 v118, v222, v244, v252 op_sel:[0,1,0] op_sel_hi:[0,1,0]
	v_mul_f32_e32 v124, v124, v206
	v_mul_f32_e32 v118, v118, v198
	v_fma_f32 v0, v0, v205, -v124
	v_fma_f32 v117, v117, v197, -v118
	v_add_f32_e32 v42, v42, v0
	v_dot4_i32_i8 v0, v61, v227, 0
	v_add_f32_e32 v41, v41, v117
	v_dot4_i32_i8 v0, v62, v228, v0
	v_dot4_i32_i8 v117, v83, v235, 0
	v_dot4_i32_i8 v0, v63, v229, v0
	v_dot4_i32_i8 v117, v84, v236, v117
	v_dot4_i32_i8 v0, v64, v230, v0
	v_dot4_i32_i8 v117, v87, v237, v117
	v_dot4_i32_i8 v0, v65, v231, v0
	v_dot4_i32_i8 v117, v88, v238, v117
	v_dot4_i32_i8 v0, v66, v232, v0
	v_dot4_i32_i8 v117, v89, v239, v117
	v_dot4_i32_i8 v0, v69, v233, v0
	v_dot4_i32_i8 v117, v90, v240, v117
	v_dot4_i32_i8 v0, v70, v234, v0
	v_dot4_i32_i8 v117, v91, v241, v117
	v_dot4_i32_i8 v117, v92, v242, v117
	v_mul_lo_u32 v118, v248, v215
	v_mul_lo_u32 v0, v0, v215
	v_mul_lo_u32 v117, v117, v220
	v_mul_lo_u32 v248, v249, v220
	v_cvt_f32_i32_e32 v118, v118
	v_cvt_f32_i32_e32 v0, v0
	v_cvt_f32_i32_e32 v117, v117
	v_cvt_f32_i32_e32 v248, v248
	v_fma_mix_f32 v124, v213, v245, 0 op_sel:[0,1,0] op_sel_hi:[0,1,0]
	v_fma_mix_f32 v118, v118, v243, 0 op_sel_hi:[0,1,0]
	v_fma_mix_f32 v0, v0, v245, 0 op_sel_hi:[0,1,0]
	v_fma_mix_f32 v247, v213, v243, 0 op_sel:[0,1,0] op_sel_hi:[0,1,0]
	v_fma_mix_f32 v124, v218, v246, v124 op_sel:[0,1,0] op_sel_hi:[0,1,0]
	v_fma_mix_f32 v0, v117, v246, v0 op_sel_hi:[0,1,0]
	v_fma_mix_f32 v117, v248, v244, v118 op_sel_hi:[0,1,0]
	v_fma_mix_f32 v118, v218, v244, v247 op_sel:[0,1,0] op_sel_hi:[0,1,0]
	v_mul_f32_e32 v124, v124, v208
	v_mul_f32_e32 v118, v118, v200
	v_fma_f32 v0, v0, v207, -v124
	v_fma_f32 v117, v117, v199, -v118
	v_add_f32_e32 v44, v44, v0
	v_dot4_i32_i8 v0, v53, v227, 0
	v_add_f32_e32 v43, v43, v117
	v_dot4_i32_i8 v0, v54, v228, v0
	v_dot4_i32_i8 v117, v67, v235, 0
	v_dot4_i32_i8 v0, v55, v229, v0
	v_dot4_i32_i8 v117, v68, v236, v117
	v_dot4_i32_i8 v0, v56, v230, v0
	v_dot4_i32_i8 v117, v71, v237, v117
	v_dot4_i32_i8 v0, v57, v231, v0
	v_dot4_i32_i8 v117, v72, v238, v117
	v_dot4_i32_i8 v0, v58, v232, v0
	v_dot4_i32_i8 v117, v73, v239, v117
	v_dot4_i32_i8 v0, v59, v233, v0
	v_dot4_i32_i8 v117, v74, v240, v117
	v_dot4_i32_i8 v0, v60, v234, v0
	v_dot4_i32_i8 v117, v75, v241, v117
	v_dot4_i32_i8 v117, v76, v242, v117
	v_mul_lo_u32 v118, v250, v212
	v_mul_lo_u32 v0, v0, v212
	v_mul_lo_u32 v117, v117, v216
	v_mul_lo_u32 v228, v251, v216
	v_cvt_f32_i32_e32 v118, v118
	v_cvt_f32_i32_e32 v0, v0
	v_cvt_f32_i32_e32 v117, v117
	v_cvt_f32_i32_e32 v228, v228
	v_fma_mix_f32 v124, v211, v245, 0 op_sel:[0,1,0] op_sel_hi:[0,1,0]
	v_fma_mix_f32 v118, v118, v243, 0 op_sel_hi:[0,1,0]
	v_fma_mix_f32 v0, v0, v245, 0 op_sel_hi:[0,1,0]
	v_fma_mix_f32 v227, v211, v243, 0 op_sel:[0,1,0] op_sel_hi:[0,1,0]
	v_fma_mix_f32 v124, v214, v246, v124 op_sel:[0,1,0] op_sel_hi:[0,1,0]
	v_fma_mix_f32 v0, v117, v246, v0 op_sel_hi:[0,1,0]
	v_fma_mix_f32 v117, v228, v244, v118 op_sel_hi:[0,1,0]
	v_fma_mix_f32 v118, v214, v244, v227 op_sel:[0,1,0] op_sel_hi:[0,1,0]
	v_mul_f32_e32 v124, v124, v210
	v_mul_f32_e32 v118, v118, v202
	v_fma_f32 v0, v0, v209, -v124
	v_fma_f32 v117, v117, v201, -v118
	v_add_f32_e32 v46, v46, v0
	v_or_b32_e32 v0, s1, v167
	v_add_f32_e32 v45, v45, v117
	v_lshlrev_b32_e32 v117, 2, v0
	ds_read_b128 v[227:230], v117 offset:33280
	ds_read_b128 v[231:234], v117 offset:33296
	;; [unrolled: 1-line block ×4, first 2 shown]
	v_lshrrev_b32_e32 v0, 1, v0
	s_waitcnt lgkmcnt(3)
	v_dot4_i32_i8 v117, v93, v227, 0
	v_dot4_i32_i8 v124, v77, v227, 0
	s_waitcnt lgkmcnt(1)
	v_dot4_i32_i8 v243, v95, v235, 0
	v_dot4_i32_i8 v243, v96, v236, v243
	;; [unrolled: 1-line block ×4, first 2 shown]
	s_waitcnt lgkmcnt(0)
	v_dot4_i32_i8 v243, v103, v239, v243
	v_dot4_i32_i8 v243, v104, v240, v243
	;; [unrolled: 1-line block ×50, first 2 shown]
	v_or_b32_e32 v227, s1, v168
	v_dot4_i32_i8 v117, v105, v233, v117
	v_dot4_i32_i8 v118, v115, v241, v118
	;; [unrolled: 1-line block ×4, first 2 shown]
	v_lshlrev_b32_e32 v239, 2, v227
	v_dot4_i32_i8 v117, v106, v234, v117
	v_dot4_i32_i8 v118, v116, v242, v118
	;; [unrolled: 1-line block ×4, first 2 shown]
	v_lshrrev_b32_e32 v245, 1, v227
	ds_read_b128 v[227:230], v239 offset:33280
	ds_read_b128 v[231:234], v239 offset:33296
	;; [unrolled: 1-line block ×4, first 2 shown]
	v_mul_lo_u32 v118, v118, v226
	s_waitcnt lgkmcnt(3)
	v_dot4_i32_i8 v243, v93, v227, 0
	v_dot4_i32_i8 v243, v94, v228, v243
	v_dot4_i32_i8 v243, v97, v229, v243
	v_dot4_i32_i8 v243, v98, v230, v243
	s_waitcnt lgkmcnt(2)
	v_dot4_i32_i8 v243, v101, v231, v243
	v_dot4_i32_i8 v243, v102, v232, v243
	v_dot4_i32_i8 v243, v105, v233, v243
	v_dot4_i32_i8 v252, v106, v234, v243
	;; [unrolled: 5-line block ×4, first 2 shown]
	ds_read_b64 v[243:244], v0 offset:43584
	ds_read_b64 v[245:246], v245 offset:43584
	v_mul_lo_u32 v0, v117, v223
	v_mul_lo_u32 v117, v252, v223
	;; [unrolled: 1-line block ×3, first 2 shown]
	v_cvt_f32_i32_e32 v118, v118
	v_cvt_f32_i32_e32 v0, v0
	;; [unrolled: 1-line block ×4, first 2 shown]
	s_waitcnt lgkmcnt(1)
	v_fma_mix_f32 v254, v221, v243, 0 op_sel:[0,1,0] op_sel_hi:[0,1,0]
	v_fma_mix_f32 v0, v0, v243, 0 op_sel_hi:[0,1,0]
	s_waitcnt lgkmcnt(0)
	v_fma_mix_f32 v252, v221, v245, 0 op_sel:[0,1,0] op_sel_hi:[0,1,0]
	v_fma_mix_f32 v0, v118, v244, v0 op_sel_hi:[0,1,0]
	v_fma_mix_f32 v118, v225, v244, v254 op_sel:[0,1,0] op_sel_hi:[0,1,0]
	v_fma_mix_f32 v117, v117, v245, 0 op_sel_hi:[0,1,0]
	v_fma_mix_f32 v252, v225, v246, v252 op_sel:[0,1,0] op_sel_hi:[0,1,0]
	v_mul_f32_e32 v118, v118, v196
	v_fma_mix_f32 v117, v253, v246, v117 op_sel_hi:[0,1,0]
	v_mul_f32_e32 v252, v252, v204
	v_fma_f32 v0, v0, v195, -v118
	v_fma_f32 v117, v117, v203, -v252
	v_add_f32_e32 v29, v29, v0
	v_dot4_i32_i8 v0, v77, v227, 0
	v_add_f32_e32 v30, v30, v117
	v_dot4_i32_i8 v0, v78, v228, v0
	v_dot4_i32_i8 v117, v95, v235, 0
	v_dot4_i32_i8 v0, v79, v229, v0
	v_dot4_i32_i8 v117, v96, v236, v117
	v_dot4_i32_i8 v0, v80, v230, v0
	v_dot4_i32_i8 v117, v99, v237, v117
	v_dot4_i32_i8 v0, v81, v231, v0
	v_dot4_i32_i8 v117, v100, v238, v117
	v_dot4_i32_i8 v0, v82, v232, v0
	v_dot4_i32_i8 v117, v103, v239, v117
	v_dot4_i32_i8 v0, v85, v233, v0
	v_dot4_i32_i8 v117, v104, v240, v117
	v_dot4_i32_i8 v0, v86, v234, v0
	v_dot4_i32_i8 v117, v107, v241, v117
	v_dot4_i32_i8 v117, v108, v242, v117
	v_mul_lo_u32 v118, v124, v219
	v_mul_lo_u32 v0, v0, v219
	v_mul_lo_u32 v117, v117, v224
	v_mul_lo_u32 v247, v247, v224
	v_cvt_f32_i32_e32 v118, v118
	v_cvt_f32_i32_e32 v0, v0
	v_cvt_f32_i32_e32 v117, v117
	v_cvt_f32_i32_e32 v247, v247
	v_fma_mix_f32 v124, v217, v245, 0 op_sel:[0,1,0] op_sel_hi:[0,1,0]
	v_fma_mix_f32 v118, v118, v243, 0 op_sel_hi:[0,1,0]
	v_fma_mix_f32 v0, v0, v245, 0 op_sel_hi:[0,1,0]
	v_fma_mix_f32 v252, v217, v243, 0 op_sel:[0,1,0] op_sel_hi:[0,1,0]
	v_fma_mix_f32 v124, v222, v246, v124 op_sel:[0,1,0] op_sel_hi:[0,1,0]
	v_fma_mix_f32 v0, v117, v246, v0 op_sel_hi:[0,1,0]
	v_fma_mix_f32 v117, v247, v244, v118 op_sel_hi:[0,1,0]
	v_fma_mix_f32 v118, v222, v244, v252 op_sel:[0,1,0] op_sel_hi:[0,1,0]
	v_mul_f32_e32 v124, v124, v206
	v_mul_f32_e32 v118, v118, v198
	v_fma_f32 v0, v0, v205, -v124
	v_fma_f32 v117, v117, v197, -v118
	v_add_f32_e32 v32, v32, v0
	v_dot4_i32_i8 v0, v61, v227, 0
	v_add_f32_e32 v31, v31, v117
	v_dot4_i32_i8 v0, v62, v228, v0
	v_dot4_i32_i8 v117, v83, v235, 0
	v_dot4_i32_i8 v0, v63, v229, v0
	v_dot4_i32_i8 v117, v84, v236, v117
	v_dot4_i32_i8 v0, v64, v230, v0
	v_dot4_i32_i8 v117, v87, v237, v117
	v_dot4_i32_i8 v0, v65, v231, v0
	v_dot4_i32_i8 v117, v88, v238, v117
	v_dot4_i32_i8 v0, v66, v232, v0
	v_dot4_i32_i8 v117, v89, v239, v117
	v_dot4_i32_i8 v0, v69, v233, v0
	v_dot4_i32_i8 v117, v90, v240, v117
	v_dot4_i32_i8 v0, v70, v234, v0
	v_dot4_i32_i8 v117, v91, v241, v117
	v_dot4_i32_i8 v117, v92, v242, v117
	v_mul_lo_u32 v118, v248, v215
	v_mul_lo_u32 v0, v0, v215
	v_mul_lo_u32 v117, v117, v220
	v_mul_lo_u32 v248, v249, v220
	v_cvt_f32_i32_e32 v118, v118
	v_cvt_f32_i32_e32 v0, v0
	v_cvt_f32_i32_e32 v117, v117
	v_cvt_f32_i32_e32 v248, v248
	v_fma_mix_f32 v124, v213, v245, 0 op_sel:[0,1,0] op_sel_hi:[0,1,0]
	v_fma_mix_f32 v118, v118, v243, 0 op_sel_hi:[0,1,0]
	v_fma_mix_f32 v0, v0, v245, 0 op_sel_hi:[0,1,0]
	v_fma_mix_f32 v247, v213, v243, 0 op_sel:[0,1,0] op_sel_hi:[0,1,0]
	v_fma_mix_f32 v124, v218, v246, v124 op_sel:[0,1,0] op_sel_hi:[0,1,0]
	v_fma_mix_f32 v0, v117, v246, v0 op_sel_hi:[0,1,0]
	v_fma_mix_f32 v117, v248, v244, v118 op_sel_hi:[0,1,0]
	v_fma_mix_f32 v118, v218, v244, v247 op_sel:[0,1,0] op_sel_hi:[0,1,0]
	v_mul_f32_e32 v124, v124, v208
	v_mul_f32_e32 v118, v118, v200
	v_fma_f32 v0, v0, v207, -v124
	v_fma_f32 v117, v117, v199, -v118
	v_add_f32_e32 v34, v34, v0
	v_dot4_i32_i8 v0, v53, v227, 0
	v_add_f32_e32 v33, v33, v117
	v_dot4_i32_i8 v0, v54, v228, v0
	v_dot4_i32_i8 v117, v67, v235, 0
	v_dot4_i32_i8 v0, v55, v229, v0
	v_dot4_i32_i8 v117, v68, v236, v117
	v_dot4_i32_i8 v0, v56, v230, v0
	v_dot4_i32_i8 v117, v71, v237, v117
	v_dot4_i32_i8 v0, v57, v231, v0
	v_dot4_i32_i8 v117, v72, v238, v117
	v_dot4_i32_i8 v0, v58, v232, v0
	v_dot4_i32_i8 v117, v73, v239, v117
	v_dot4_i32_i8 v0, v59, v233, v0
	v_dot4_i32_i8 v117, v74, v240, v117
	v_dot4_i32_i8 v0, v60, v234, v0
	v_dot4_i32_i8 v117, v75, v241, v117
	v_dot4_i32_i8 v117, v76, v242, v117
	v_mul_lo_u32 v118, v250, v212
	v_mul_lo_u32 v0, v0, v212
	v_mul_lo_u32 v117, v117, v216
	v_mul_lo_u32 v228, v251, v216
	v_cvt_f32_i32_e32 v118, v118
	v_cvt_f32_i32_e32 v0, v0
	v_cvt_f32_i32_e32 v117, v117
	v_cvt_f32_i32_e32 v228, v228
	v_fma_mix_f32 v124, v211, v245, 0 op_sel:[0,1,0] op_sel_hi:[0,1,0]
	v_fma_mix_f32 v118, v118, v243, 0 op_sel_hi:[0,1,0]
	v_fma_mix_f32 v0, v0, v245, 0 op_sel_hi:[0,1,0]
	v_fma_mix_f32 v227, v211, v243, 0 op_sel:[0,1,0] op_sel_hi:[0,1,0]
	v_fma_mix_f32 v124, v214, v246, v124 op_sel:[0,1,0] op_sel_hi:[0,1,0]
	v_fma_mix_f32 v0, v117, v246, v0 op_sel_hi:[0,1,0]
	v_fma_mix_f32 v117, v228, v244, v118 op_sel_hi:[0,1,0]
	v_fma_mix_f32 v118, v214, v244, v227 op_sel:[0,1,0] op_sel_hi:[0,1,0]
	v_mul_f32_e32 v124, v124, v210
	v_mul_f32_e32 v118, v118, v202
	v_fma_f32 v0, v0, v209, -v124
	v_fma_f32 v117, v117, v201, -v118
	v_add_f32_e32 v36, v36, v0
	v_or_b32_e32 v0, s1, v169
	v_add_f32_e32 v35, v35, v117
	v_lshlrev_b32_e32 v117, 2, v0
	ds_read_b128 v[227:230], v117 offset:33280
	ds_read_b128 v[231:234], v117 offset:33296
	;; [unrolled: 1-line block ×4, first 2 shown]
	v_lshrrev_b32_e32 v0, 1, v0
	s_waitcnt lgkmcnt(3)
	v_dot4_i32_i8 v117, v93, v227, 0
	v_dot4_i32_i8 v124, v77, v227, 0
	;; [unrolled: 1-line block ×7, first 2 shown]
	s_waitcnt lgkmcnt(2)
	v_dot4_i32_i8 v227, v57, v231, v227
	v_dot4_i32_i8 v227, v58, v232, v227
	;; [unrolled: 1-line block ×4, first 2 shown]
	s_waitcnt lgkmcnt(1)
	v_dot4_i32_i8 v227, v67, v235, 0
	v_dot4_i32_i8 v227, v68, v236, v227
	;; [unrolled: 1-line block ×19, first 2 shown]
	s_waitcnt lgkmcnt(0)
	v_dot4_i32_i8 v227, v73, v239, v227
	v_dot4_i32_i8 v117, v98, v230, v117
	;; [unrolled: 1-line block ×22, first 2 shown]
	v_or_b32_e32 v227, s1, v170
	v_dot4_i32_i8 v117, v105, v233, v117
	v_dot4_i32_i8 v118, v115, v241, v118
	;; [unrolled: 1-line block ×6, first 2 shown]
	v_lshlrev_b32_e32 v239, 2, v227
	v_dot4_i32_i8 v117, v106, v234, v117
	v_dot4_i32_i8 v118, v116, v242, v118
	;; [unrolled: 1-line block ×6, first 2 shown]
	v_lshrrev_b32_e32 v248, 1, v227
	ds_read_b128 v[227:230], v239 offset:33280
	ds_read_b128 v[231:234], v239 offset:33296
	;; [unrolled: 1-line block ×4, first 2 shown]
	s_add_i32 s1, s0, 8
	s_waitcnt lgkmcnt(3)
	v_dot4_i32_i8 v93, v93, v227, 0
	v_dot4_i32_i8 v93, v94, v228, v93
	v_dot4_i32_i8 v93, v97, v229, v93
	v_dot4_i32_i8 v93, v98, v230, v93
	s_waitcnt lgkmcnt(2)
	v_dot4_i32_i8 v93, v101, v231, v93
	v_dot4_i32_i8 v93, v102, v232, v93
	v_dot4_i32_i8 v93, v105, v233, v93
	v_dot4_i32_i8 v101, v106, v234, v93
	;; [unrolled: 5-line block ×4, first 2 shown]
	v_mul_lo_u32 v101, v101, v223
	ds_read_b64 v[93:94], v0 offset:43584
	ds_read_b64 v[97:98], v248 offset:43584
	v_mul_lo_u32 v0, v117, v223
	v_mul_lo_u32 v102, v102, v226
	;; [unrolled: 1-line block ×3, first 2 shown]
	v_cvt_f32_i32_e32 v101, v101
	v_cvt_f32_i32_e32 v0, v0
	;; [unrolled: 1-line block ×4, first 2 shown]
	s_waitcnt lgkmcnt(0)
	v_fma_mix_f32 v101, v101, v97, 0 op_sel_hi:[0,1,0]
	v_fma_mix_f32 v106, v221, v93, 0 op_sel:[0,1,0] op_sel_hi:[0,1,0]
	v_fma_mix_f32 v0, v0, v93, 0 op_sel_hi:[0,1,0]
	v_fma_mix_f32 v101, v102, v98, v101 op_sel_hi:[0,1,0]
	v_fma_mix_f32 v102, v225, v94, v106 op_sel:[0,1,0] op_sel_hi:[0,1,0]
	v_fma_mix_f32 v0, v109, v94, v0 op_sel_hi:[0,1,0]
	v_mul_f32_e32 v102, v102, v196
	v_fma_f32 v0, v0, v195, -v102
	v_add_f32_e32 v21, v21, v0
	v_dot4_i32_i8 v0, v77, v227, 0
	v_dot4_i32_i8 v0, v78, v228, v0
	;; [unrolled: 1-line block ×16, first 2 shown]
	v_mul_lo_u32 v0, v0, v219
	v_mul_lo_u32 v77, v77, v224
	v_fma_mix_f32 v79, v217, v97, 0 op_sel:[0,1,0] op_sel_hi:[0,1,0]
	v_fma_mix_f32 v79, v222, v98, v79 op_sel:[0,1,0] op_sel_hi:[0,1,0]
	v_cvt_f32_i32_e32 v0, v0
	v_cvt_f32_i32_e32 v77, v77
	v_mul_f32_e32 v79, v79, v206
	v_mul_lo_u32 v78, v124, v219
	v_fma_mix_f32 v0, v0, v97, 0 op_sel_hi:[0,1,0]
	v_fma_mix_f32 v0, v77, v98, v0 op_sel_hi:[0,1,0]
	v_fma_f32 v0, v0, v205, -v79
	v_add_f32_e32 v24, v24, v0
	v_dot4_i32_i8 v0, v61, v227, 0
	v_dot4_i32_i8 v0, v62, v228, v0
	;; [unrolled: 1-line block ×16, first 2 shown]
	v_mul_lo_u32 v0, v0, v215
	v_mul_lo_u32 v61, v61, v220
	v_fma_mix_f32 v63, v213, v97, 0 op_sel:[0,1,0] op_sel_hi:[0,1,0]
	v_fma_mix_f32 v63, v218, v98, v63 op_sel:[0,1,0] op_sel_hi:[0,1,0]
	v_cvt_f32_i32_e32 v0, v0
	v_cvt_f32_i32_e32 v61, v61
	v_mul_f32_e32 v63, v63, v208
	v_mul_lo_u32 v62, v244, v215
	v_fma_mix_f32 v0, v0, v97, 0 op_sel_hi:[0,1,0]
	v_fma_mix_f32 v0, v61, v98, v0 op_sel_hi:[0,1,0]
	v_fma_f32 v0, v0, v207, -v63
	v_add_f32_e32 v26, v26, v0
	v_dot4_i32_i8 v0, v53, v227, 0
	v_dot4_i32_i8 v0, v54, v228, v0
	;; [unrolled: 1-line block ×16, first 2 shown]
	v_mul_lo_u32 v54, v246, v212
	v_mul_lo_u32 v0, v0, v212
	;; [unrolled: 1-line block ×6, first 2 shown]
	v_cvt_f32_i32_e32 v78, v78
	v_cvt_f32_i32_e32 v62, v62
	;; [unrolled: 1-line block ×8, first 2 shown]
	v_fma_mix_f32 v105, v221, v97, 0 op_sel:[0,1,0] op_sel_hi:[0,1,0]
	v_fma_mix_f32 v78, v78, v93, 0 op_sel_hi:[0,1,0]
	v_fma_mix_f32 v80, v217, v93, 0 op_sel:[0,1,0] op_sel_hi:[0,1,0]
	v_fma_mix_f32 v62, v62, v93, 0 op_sel_hi:[0,1,0]
	;; [unrolled: 2-line block ×3, first 2 shown]
	v_fma_mix_f32 v0, v0, v97, 0 op_sel_hi:[0,1,0]
	v_fma_mix_f32 v55, v211, v97, 0 op_sel:[0,1,0] op_sel_hi:[0,1,0]
	v_fma_mix_f32 v56, v211, v93, 0 op_sel:[0,1,0] op_sel_hi:[0,1,0]
	;; [unrolled: 1-line block ×3, first 2 shown]
	v_fma_mix_f32 v77, v81, v94, v78 op_sel_hi:[0,1,0]
	v_fma_mix_f32 v78, v222, v94, v80 op_sel:[0,1,0] op_sel_hi:[0,1,0]
	v_fma_mix_f32 v61, v65, v94, v62 op_sel_hi:[0,1,0]
	v_fma_mix_f32 v62, v218, v94, v64 op_sel:[0,1,0] op_sel_hi:[0,1,0]
	v_fma_mix_f32 v0, v53, v98, v0 op_sel_hi:[0,1,0]
	v_fma_mix_f32 v53, v57, v94, v54 op_sel_hi:[0,1,0]
	v_fma_mix_f32 v54, v214, v94, v56 op_sel:[0,1,0] op_sel_hi:[0,1,0]
	v_fma_mix_f32 v55, v214, v98, v55 op_sel:[0,1,0] op_sel_hi:[0,1,0]
	v_mul_f32_e32 v105, v105, v204
	v_mul_f32_e32 v78, v78, v198
	;; [unrolled: 1-line block ×5, first 2 shown]
	v_fma_f32 v101, v101, v203, -v105
	v_fma_f32 v77, v77, v197, -v78
	v_fma_f32 v61, v61, v199, -v62
	v_fma_f32 v53, v53, v201, -v54
	v_fma_f32 v0, v0, v209, -v55
	v_add_f32_e32 v22, v22, v101
	v_add_f32_e32 v23, v23, v77
	;; [unrolled: 1-line block ×5, first 2 shown]
	s_cmp_lt_u32 s0, 24
	s_mov_b32 s0, s1
	s_cbranch_scc1 .LBB154_8
; %bb.9:                                ;   in Loop: Header=BB154_5 Depth=1
	s_add_i32 s7, s7, 1
	s_cmp_eq_u32 s7, s4
	s_barrier
	s_cbranch_scc0 .LBB154_5
; %bb.10:
	v_cvt_f16_f32_e32 v4, v48
	v_cvt_f16_f32_e32 v5, v47
	;; [unrolled: 1-line block ×5, first 2 shown]
	v_pack_b32_f16 v19, v5, v4
	v_cvt_f16_f32_e32 v4, v42
	v_pack_b32_f16 v18, v7, v6
	v_cvt_f16_f32_e32 v5, v41
	v_cvt_f16_f32_e32 v6, v44
	;; [unrolled: 1-line block ×4, first 2 shown]
	v_pack_b32_f16 v15, v5, v4
	v_cvt_f16_f32_e32 v4, v32
	v_pack_b32_f16 v14, v7, v6
	v_cvt_f16_f32_e32 v5, v31
	v_cvt_f16_f32_e32 v6, v34
	;; [unrolled: 1-line block ×4, first 2 shown]
	v_pack_b32_f16 v11, v5, v4
	v_cvt_f16_f32_e32 v4, v24
	v_pack_b32_f16 v10, v7, v6
	v_cvt_f16_f32_e32 v6, v23
	v_cvt_f16_f32_e32 v9, v51
	v_pack_b32_f16 v20, v2, v3
	v_cvt_f16_f32_e32 v2, v40
	v_pack_b32_f16 v4, v6, v4
	buffer_load_dword v6, off, s[24:27], 0 offset:12 ; 4-byte Folded Reload
	buffer_load_dword v33, off, s[24:27], 0 offset:4 ; 4-byte Folded Reload
	;; [unrolled: 1-line block ×3, first 2 shown]
	v_pack_b32_f16 v17, v9, v8
	v_cvt_f16_f32_e32 v3, v39
	v_cvt_f16_f32_e32 v8, v46
	;; [unrolled: 1-line block ×4, first 2 shown]
	v_pack_b32_f16 v16, v3, v2
	v_cvt_f16_f32_e32 v2, v30
	v_pack_b32_f16 v13, v9, v8
	v_cvt_f16_f32_e32 v3, v29
	v_cvt_f16_f32_e32 v8, v36
	;; [unrolled: 1-line block ×3, first 2 shown]
	v_pack_b32_f16 v12, v3, v2
	v_cvt_f16_f32_e32 v2, v22
	v_pack_b32_f16 v9, v9, v8
	v_cvt_f16_f32_e32 v3, v21
	v_cvt_f16_f32_e32 v8, v25
	;; [unrolled: 1-line block ×4, first 2 shown]
	v_pack_b32_f16 v5, v3, v2
	v_pack_b32_f16 v3, v8, v7
	;; [unrolled: 1-line block ×3, first 2 shown]
.LBB154_11:
	s_waitcnt vmcnt(2)
	v_cmp_gt_u32_e32 vcc, s10, v6
	s_and_saveexec_b64 s[0:1], vcc
	s_cbranch_execz .LBB154_62
; %bb.12:
	v_mul_lo_u32 v21, v6, s14
	s_waitcnt vmcnt(0)
	v_add_u32_e32 v0, s6, v0
	v_cmp_gt_u32_e32 vcc, s14, v0
	s_and_saveexec_b64 s[2:3], vcc
	s_cbranch_execz .LBB154_14
; %bb.13:
	v_add_u32_e32 v6, v0, v21
	v_mov_b32_e32 v7, 0
	v_lshlrev_b64 v[6:7], 1, v[6:7]
	s_waitcnt lgkmcnt(0)
	v_mov_b32_e32 v1, s13
	v_add_co_u32_e64 v6, s[0:1], s12, v6
	v_addc_co_u32_e64 v7, s[0:1], v1, v7, s[0:1]
	global_store_short v[6:7], v20, off
.LBB154_14:
	s_or_b64 exec, exec, s[2:3]
	v_add_u32_e32 v6, 32, v0
	v_cmp_gt_u32_e64 s[0:1], s14, v6
	s_and_saveexec_b64 s[4:5], s[0:1]
	s_cbranch_execz .LBB154_16
; %bb.15:
	v_add_u32_e32 v7, v6, v21
	v_mov_b32_e32 v8, 0
	v_lshlrev_b64 v[7:8], 1, v[7:8]
	s_waitcnt lgkmcnt(0)
	v_mov_b32_e32 v1, s13
	v_add_co_u32_e64 v7, s[2:3], s12, v7
	v_addc_co_u32_e64 v8, s[2:3], v1, v8, s[2:3]
	global_store_short v[7:8], v19, off
.LBB154_16:
	s_or_b64 exec, exec, s[4:5]
	v_add_u32_e32 v7, 64, v0
	v_cmp_gt_u32_e64 s[2:3], s14, v7
	s_and_saveexec_b64 s[6:7], s[2:3]
	;; [unrolled: 15-line block ×3, first 2 shown]
	s_cbranch_execz .LBB154_20
; %bb.19:
	v_add_u32_e32 v21, v8, v21
	v_mov_b32_e32 v22, 0
	v_lshlrev_b64 v[21:22], 1, v[21:22]
	s_waitcnt lgkmcnt(0)
	v_mov_b32_e32 v1, s13
	v_add_co_u32_e64 v21, s[6:7], s12, v21
	v_addc_co_u32_e64 v22, s[6:7], v1, v22, s[6:7]
	global_store_short v[21:22], v17, off
.LBB154_20:
	s_or_b64 exec, exec, s[8:9]
	v_add3_u32 v21, v33, s15, 8
	v_cmp_gt_u32_e64 s[6:7], s10, v21
	s_and_b64 exec, exec, s[6:7]
	s_cbranch_execz .LBB154_62
; %bb.21:
	v_mul_lo_u32 v21, v21, s14
	s_and_saveexec_b64 s[8:9], vcc
	s_cbranch_execnz .LBB154_63
; %bb.22:
	s_or_b64 exec, exec, s[8:9]
	s_and_saveexec_b64 s[8:9], s[0:1]
	s_cbranch_execnz .LBB154_64
.LBB154_23:
	s_or_b64 exec, exec, s[8:9]
	s_and_saveexec_b64 s[8:9], s[2:3]
	s_cbranch_execnz .LBB154_65
.LBB154_24:
	s_or_b64 exec, exec, s[8:9]
	s_and_saveexec_b64 s[8:9], s[4:5]
	s_cbranch_execz .LBB154_26
.LBB154_25:
	v_add_u32_e32 v18, v21, v8
	v_mov_b32_e32 v19, 0
	v_lshlrev_b64 v[18:19], 1, v[18:19]
	s_waitcnt lgkmcnt(0)
	v_mov_b32_e32 v1, s13
	v_add_co_u32_e64 v18, s[6:7], s12, v18
	v_addc_co_u32_e64 v19, s[6:7], v1, v19, s[6:7]
	global_store_short_d16_hi v[18:19], v17, off
.LBB154_26:
	s_or_b64 exec, exec, s[8:9]
	v_add3_u32 v17, v33, s15, 16
	v_cmp_gt_u32_e64 s[6:7], s10, v17
	s_and_b64 exec, exec, s[6:7]
	s_cbranch_execz .LBB154_62
; %bb.27:
	v_mul_lo_u32 v17, v17, s14
	s_and_saveexec_b64 s[8:9], vcc
	s_cbranch_execnz .LBB154_66
; %bb.28:
	s_or_b64 exec, exec, s[8:9]
	s_and_saveexec_b64 s[8:9], s[0:1]
	s_cbranch_execnz .LBB154_67
.LBB154_29:
	s_or_b64 exec, exec, s[8:9]
	s_and_saveexec_b64 s[8:9], s[2:3]
	s_cbranch_execnz .LBB154_68
.LBB154_30:
	s_or_b64 exec, exec, s[8:9]
	s_and_saveexec_b64 s[8:9], s[4:5]
	s_cbranch_execz .LBB154_32
.LBB154_31:
	v_add_u32_e32 v17, v17, v8
	v_mov_b32_e32 v18, 0
	v_lshlrev_b64 v[17:18], 1, v[17:18]
	s_waitcnt lgkmcnt(0)
	v_mov_b32_e32 v1, s13
	v_add_co_u32_e64 v17, s[6:7], s12, v17
	v_addc_co_u32_e64 v18, s[6:7], v1, v18, s[6:7]
	global_store_short v[17:18], v13, off
.LBB154_32:
	s_or_b64 exec, exec, s[8:9]
	v_add3_u32 v17, v33, s15, 24
	v_cmp_gt_u32_e64 s[6:7], s10, v17
	s_and_b64 exec, exec, s[6:7]
	s_cbranch_execz .LBB154_62
; %bb.33:
	v_mul_lo_u32 v17, v17, s14
	s_and_saveexec_b64 s[8:9], vcc
	s_cbranch_execnz .LBB154_69
; %bb.34:
	s_or_b64 exec, exec, s[8:9]
	s_and_saveexec_b64 s[8:9], s[0:1]
	s_cbranch_execnz .LBB154_70
.LBB154_35:
	s_or_b64 exec, exec, s[8:9]
	s_and_saveexec_b64 s[8:9], s[2:3]
	s_cbranch_execnz .LBB154_71
.LBB154_36:
	s_or_b64 exec, exec, s[8:9]
	s_and_saveexec_b64 s[8:9], s[4:5]
	s_cbranch_execz .LBB154_38
.LBB154_37:
	v_add_u32_e32 v14, v17, v8
	v_mov_b32_e32 v15, 0
	v_lshlrev_b64 v[14:15], 1, v[14:15]
	s_waitcnt lgkmcnt(0)
	v_mov_b32_e32 v1, s13
	v_add_co_u32_e64 v14, s[6:7], s12, v14
	v_addc_co_u32_e64 v15, s[6:7], v1, v15, s[6:7]
	global_store_short_d16_hi v[14:15], v13, off
.LBB154_38:
	s_or_b64 exec, exec, s[8:9]
	v_add3_u32 v13, v33, s15, 32
	v_cmp_gt_u32_e64 s[6:7], s10, v13
	s_and_b64 exec, exec, s[6:7]
	s_cbranch_execz .LBB154_62
; %bb.39:
	v_mul_lo_u32 v13, v13, s14
	s_and_saveexec_b64 s[8:9], vcc
	s_cbranch_execnz .LBB154_72
; %bb.40:
	s_or_b64 exec, exec, s[8:9]
	s_and_saveexec_b64 s[8:9], s[0:1]
	s_cbranch_execnz .LBB154_73
.LBB154_41:
	s_or_b64 exec, exec, s[8:9]
	s_and_saveexec_b64 s[8:9], s[2:3]
	s_cbranch_execnz .LBB154_74
.LBB154_42:
	s_or_b64 exec, exec, s[8:9]
	s_and_saveexec_b64 s[8:9], s[4:5]
	s_cbranch_execz .LBB154_44
.LBB154_43:
	v_add_u32_e32 v13, v13, v8
	v_mov_b32_e32 v14, 0
	v_lshlrev_b64 v[13:14], 1, v[13:14]
	s_waitcnt lgkmcnt(0)
	v_mov_b32_e32 v1, s13
	v_add_co_u32_e64 v13, s[6:7], s12, v13
	v_addc_co_u32_e64 v14, s[6:7], v1, v14, s[6:7]
	global_store_short v[13:14], v9, off
.LBB154_44:
	s_or_b64 exec, exec, s[8:9]
	v_add3_u32 v13, v33, s15, 40
	v_cmp_gt_u32_e64 s[6:7], s10, v13
	s_and_b64 exec, exec, s[6:7]
	s_cbranch_execz .LBB154_62
; %bb.45:
	v_mul_lo_u32 v13, v13, s14
	s_and_saveexec_b64 s[8:9], vcc
	s_cbranch_execnz .LBB154_75
; %bb.46:
	s_or_b64 exec, exec, s[8:9]
	s_and_saveexec_b64 s[8:9], s[0:1]
	s_cbranch_execnz .LBB154_76
.LBB154_47:
	s_or_b64 exec, exec, s[8:9]
	s_and_saveexec_b64 s[8:9], s[2:3]
	s_cbranch_execnz .LBB154_77
.LBB154_48:
	s_or_b64 exec, exec, s[8:9]
	s_and_saveexec_b64 s[8:9], s[4:5]
	s_cbranch_execz .LBB154_50
.LBB154_49:
	v_add_u32_e32 v10, v13, v8
	v_mov_b32_e32 v11, 0
	v_lshlrev_b64 v[10:11], 1, v[10:11]
	s_waitcnt lgkmcnt(0)
	v_mov_b32_e32 v1, s13
	v_add_co_u32_e64 v10, s[6:7], s12, v10
	v_addc_co_u32_e64 v11, s[6:7], v1, v11, s[6:7]
	global_store_short_d16_hi v[10:11], v9, off
.LBB154_50:
	s_or_b64 exec, exec, s[8:9]
	v_add3_u32 v9, v33, s15, 48
	v_cmp_gt_u32_e64 s[6:7], s10, v9
	s_and_b64 exec, exec, s[6:7]
	s_cbranch_execz .LBB154_62
; %bb.51:
	v_mul_lo_u32 v9, v9, s14
	s_and_saveexec_b64 s[8:9], vcc
	s_cbranch_execnz .LBB154_78
; %bb.52:
	s_or_b64 exec, exec, s[8:9]
	s_and_saveexec_b64 s[8:9], s[0:1]
	s_cbranch_execnz .LBB154_79
.LBB154_53:
	s_or_b64 exec, exec, s[8:9]
	s_and_saveexec_b64 s[8:9], s[2:3]
	s_cbranch_execnz .LBB154_80
.LBB154_54:
	s_or_b64 exec, exec, s[8:9]
	s_and_saveexec_b64 s[8:9], s[4:5]
	s_cbranch_execz .LBB154_56
.LBB154_55:
	v_add_u32_e32 v9, v9, v8
	v_mov_b32_e32 v10, 0
	v_lshlrev_b64 v[9:10], 1, v[9:10]
	s_waitcnt lgkmcnt(0)
	v_mov_b32_e32 v1, s13
	v_add_co_u32_e64 v9, s[6:7], s12, v9
	v_addc_co_u32_e64 v10, s[6:7], v1, v10, s[6:7]
	global_store_short v[9:10], v2, off
.LBB154_56:
	s_or_b64 exec, exec, s[8:9]
	v_add3_u32 v1, v33, s15, 56
	v_cmp_gt_u32_e64 s[6:7], s10, v1
	s_and_b64 exec, exec, s[6:7]
	s_cbranch_execz .LBB154_62
; %bb.57:
	v_mul_lo_u32 v1, v1, s14
	s_and_saveexec_b64 s[6:7], vcc
	s_cbranch_execnz .LBB154_81
; %bb.58:
	s_or_b64 exec, exec, s[6:7]
	s_and_saveexec_b64 s[6:7], s[0:1]
	s_cbranch_execnz .LBB154_82
.LBB154_59:
	s_or_b64 exec, exec, s[6:7]
	s_and_saveexec_b64 s[0:1], s[2:3]
	s_cbranch_execnz .LBB154_83
.LBB154_60:
	s_or_b64 exec, exec, s[0:1]
	s_and_b64 exec, exec, s[4:5]
	s_cbranch_execz .LBB154_62
.LBB154_61:
	v_add_u32_e32 v0, v1, v8
	v_mov_b32_e32 v1, 0
	v_lshlrev_b64 v[0:1], 1, v[0:1]
	s_waitcnt lgkmcnt(0)
	v_mov_b32_e32 v3, s13
	v_add_co_u32_e32 v0, vcc, s12, v0
	v_addc_co_u32_e32 v1, vcc, v3, v1, vcc
	global_store_short_d16_hi v[0:1], v2, off
.LBB154_62:
	s_endpgm
.LBB154_63:
	v_add_u32_e32 v22, v21, v0
	v_mov_b32_e32 v23, 0
	v_lshlrev_b64 v[22:23], 1, v[22:23]
	s_waitcnt lgkmcnt(0)
	v_mov_b32_e32 v1, s13
	v_add_co_u32_e64 v22, s[6:7], s12, v22
	v_addc_co_u32_e64 v23, s[6:7], v1, v23, s[6:7]
	global_store_short_d16_hi v[22:23], v20, off
	s_or_b64 exec, exec, s[8:9]
	s_and_saveexec_b64 s[8:9], s[0:1]
	s_cbranch_execz .LBB154_23
.LBB154_64:
	v_add_u32_e32 v22, v21, v6
	v_mov_b32_e32 v23, 0
	v_lshlrev_b64 v[22:23], 1, v[22:23]
	s_waitcnt lgkmcnt(0)
	v_mov_b32_e32 v1, s13
	v_add_co_u32_e64 v22, s[6:7], s12, v22
	v_addc_co_u32_e64 v23, s[6:7], v1, v23, s[6:7]
	global_store_short_d16_hi v[22:23], v19, off
	s_or_b64 exec, exec, s[8:9]
	s_and_saveexec_b64 s[8:9], s[2:3]
	s_cbranch_execz .LBB154_24
.LBB154_65:
	v_add_u32_e32 v19, v21, v7
	v_mov_b32_e32 v20, 0
	v_lshlrev_b64 v[19:20], 1, v[19:20]
	s_waitcnt lgkmcnt(0)
	v_mov_b32_e32 v1, s13
	v_add_co_u32_e64 v19, s[6:7], s12, v19
	v_addc_co_u32_e64 v20, s[6:7], v1, v20, s[6:7]
	global_store_short_d16_hi v[19:20], v18, off
	s_or_b64 exec, exec, s[8:9]
	s_and_saveexec_b64 s[8:9], s[4:5]
	s_cbranch_execnz .LBB154_25
	s_branch .LBB154_26
.LBB154_66:
	v_add_u32_e32 v18, v17, v0
	v_mov_b32_e32 v19, 0
	v_lshlrev_b64 v[18:19], 1, v[18:19]
	s_waitcnt lgkmcnt(0)
	v_mov_b32_e32 v1, s13
	v_add_co_u32_e64 v18, s[6:7], s12, v18
	v_addc_co_u32_e64 v19, s[6:7], v1, v19, s[6:7]
	global_store_short v[18:19], v16, off
	s_or_b64 exec, exec, s[8:9]
	s_and_saveexec_b64 s[8:9], s[0:1]
	s_cbranch_execz .LBB154_29
.LBB154_67:
	v_add_u32_e32 v18, v17, v6
	v_mov_b32_e32 v19, 0
	v_lshlrev_b64 v[18:19], 1, v[18:19]
	s_waitcnt lgkmcnt(0)
	v_mov_b32_e32 v1, s13
	v_add_co_u32_e64 v18, s[6:7], s12, v18
	v_addc_co_u32_e64 v19, s[6:7], v1, v19, s[6:7]
	global_store_short v[18:19], v15, off
	s_or_b64 exec, exec, s[8:9]
	s_and_saveexec_b64 s[8:9], s[2:3]
	s_cbranch_execz .LBB154_30
.LBB154_68:
	v_add_u32_e32 v18, v17, v7
	v_mov_b32_e32 v19, 0
	v_lshlrev_b64 v[18:19], 1, v[18:19]
	s_waitcnt lgkmcnt(0)
	v_mov_b32_e32 v1, s13
	v_add_co_u32_e64 v18, s[6:7], s12, v18
	v_addc_co_u32_e64 v19, s[6:7], v1, v19, s[6:7]
	global_store_short v[18:19], v14, off
	s_or_b64 exec, exec, s[8:9]
	s_and_saveexec_b64 s[8:9], s[4:5]
	s_cbranch_execnz .LBB154_31
	s_branch .LBB154_32
.LBB154_69:
	v_add_u32_e32 v18, v17, v0
	v_mov_b32_e32 v19, 0
	v_lshlrev_b64 v[18:19], 1, v[18:19]
	s_waitcnt lgkmcnt(0)
	v_mov_b32_e32 v1, s13
	v_add_co_u32_e64 v18, s[6:7], s12, v18
	v_addc_co_u32_e64 v19, s[6:7], v1, v19, s[6:7]
	global_store_short_d16_hi v[18:19], v16, off
	s_or_b64 exec, exec, s[8:9]
	s_and_saveexec_b64 s[8:9], s[0:1]
	s_cbranch_execz .LBB154_35
.LBB154_70:
	v_add_u32_e32 v18, v17, v6
	v_mov_b32_e32 v19, 0
	v_lshlrev_b64 v[18:19], 1, v[18:19]
	s_waitcnt lgkmcnt(0)
	v_mov_b32_e32 v1, s13
	v_add_co_u32_e64 v18, s[6:7], s12, v18
	v_addc_co_u32_e64 v19, s[6:7], v1, v19, s[6:7]
	global_store_short_d16_hi v[18:19], v15, off
	s_or_b64 exec, exec, s[8:9]
	s_and_saveexec_b64 s[8:9], s[2:3]
	s_cbranch_execz .LBB154_36
.LBB154_71:
	v_add_u32_e32 v15, v17, v7
	v_mov_b32_e32 v16, 0
	v_lshlrev_b64 v[15:16], 1, v[15:16]
	s_waitcnt lgkmcnt(0)
	v_mov_b32_e32 v1, s13
	v_add_co_u32_e64 v15, s[6:7], s12, v15
	v_addc_co_u32_e64 v16, s[6:7], v1, v16, s[6:7]
	global_store_short_d16_hi v[15:16], v14, off
	s_or_b64 exec, exec, s[8:9]
	s_and_saveexec_b64 s[8:9], s[4:5]
	s_cbranch_execnz .LBB154_37
	s_branch .LBB154_38
.LBB154_72:
	v_add_u32_e32 v14, v13, v0
	v_mov_b32_e32 v15, 0
	v_lshlrev_b64 v[14:15], 1, v[14:15]
	s_waitcnt lgkmcnt(0)
	v_mov_b32_e32 v1, s13
	v_add_co_u32_e64 v14, s[6:7], s12, v14
	v_addc_co_u32_e64 v15, s[6:7], v1, v15, s[6:7]
	global_store_short v[14:15], v12, off
	s_or_b64 exec, exec, s[8:9]
	s_and_saveexec_b64 s[8:9], s[0:1]
	s_cbranch_execz .LBB154_41
.LBB154_73:
	v_add_u32_e32 v14, v13, v6
	v_mov_b32_e32 v15, 0
	v_lshlrev_b64 v[14:15], 1, v[14:15]
	s_waitcnt lgkmcnt(0)
	v_mov_b32_e32 v1, s13
	v_add_co_u32_e64 v14, s[6:7], s12, v14
	v_addc_co_u32_e64 v15, s[6:7], v1, v15, s[6:7]
	global_store_short v[14:15], v11, off
	s_or_b64 exec, exec, s[8:9]
	s_and_saveexec_b64 s[8:9], s[2:3]
	s_cbranch_execz .LBB154_42
.LBB154_74:
	v_add_u32_e32 v14, v13, v7
	v_mov_b32_e32 v15, 0
	v_lshlrev_b64 v[14:15], 1, v[14:15]
	s_waitcnt lgkmcnt(0)
	v_mov_b32_e32 v1, s13
	v_add_co_u32_e64 v14, s[6:7], s12, v14
	v_addc_co_u32_e64 v15, s[6:7], v1, v15, s[6:7]
	global_store_short v[14:15], v10, off
	s_or_b64 exec, exec, s[8:9]
	s_and_saveexec_b64 s[8:9], s[4:5]
	s_cbranch_execnz .LBB154_43
	s_branch .LBB154_44
.LBB154_75:
	v_add_u32_e32 v14, v13, v0
	v_mov_b32_e32 v15, 0
	v_lshlrev_b64 v[14:15], 1, v[14:15]
	s_waitcnt lgkmcnt(0)
	v_mov_b32_e32 v1, s13
	v_add_co_u32_e64 v14, s[6:7], s12, v14
	v_addc_co_u32_e64 v15, s[6:7], v1, v15, s[6:7]
	global_store_short_d16_hi v[14:15], v12, off
	s_or_b64 exec, exec, s[8:9]
	s_and_saveexec_b64 s[8:9], s[0:1]
	s_cbranch_execz .LBB154_47
.LBB154_76:
	v_add_u32_e32 v14, v13, v6
	v_mov_b32_e32 v15, 0
	v_lshlrev_b64 v[14:15], 1, v[14:15]
	s_waitcnt lgkmcnt(0)
	v_mov_b32_e32 v1, s13
	v_add_co_u32_e64 v14, s[6:7], s12, v14
	v_addc_co_u32_e64 v15, s[6:7], v1, v15, s[6:7]
	global_store_short_d16_hi v[14:15], v11, off
	s_or_b64 exec, exec, s[8:9]
	s_and_saveexec_b64 s[8:9], s[2:3]
	s_cbranch_execz .LBB154_48
.LBB154_77:
	v_add_u32_e32 v11, v13, v7
	v_mov_b32_e32 v12, 0
	v_lshlrev_b64 v[11:12], 1, v[11:12]
	s_waitcnt lgkmcnt(0)
	v_mov_b32_e32 v1, s13
	v_add_co_u32_e64 v11, s[6:7], s12, v11
	v_addc_co_u32_e64 v12, s[6:7], v1, v12, s[6:7]
	global_store_short_d16_hi v[11:12], v10, off
	s_or_b64 exec, exec, s[8:9]
	s_and_saveexec_b64 s[8:9], s[4:5]
	s_cbranch_execnz .LBB154_49
	s_branch .LBB154_50
.LBB154_78:
	v_add_u32_e32 v10, v9, v0
	v_mov_b32_e32 v11, 0
	v_lshlrev_b64 v[10:11], 1, v[10:11]
	s_waitcnt lgkmcnt(0)
	v_mov_b32_e32 v1, s13
	v_add_co_u32_e64 v10, s[6:7], s12, v10
	v_addc_co_u32_e64 v11, s[6:7], v1, v11, s[6:7]
	global_store_short v[10:11], v5, off
	s_or_b64 exec, exec, s[8:9]
	s_and_saveexec_b64 s[8:9], s[0:1]
	s_cbranch_execz .LBB154_53
.LBB154_79:
	v_add_u32_e32 v10, v9, v6
	v_mov_b32_e32 v11, 0
	v_lshlrev_b64 v[10:11], 1, v[10:11]
	s_waitcnt lgkmcnt(0)
	v_mov_b32_e32 v1, s13
	v_add_co_u32_e64 v10, s[6:7], s12, v10
	v_addc_co_u32_e64 v11, s[6:7], v1, v11, s[6:7]
	global_store_short v[10:11], v4, off
	s_or_b64 exec, exec, s[8:9]
	s_and_saveexec_b64 s[8:9], s[2:3]
	s_cbranch_execz .LBB154_54
.LBB154_80:
	v_add_u32_e32 v10, v9, v7
	v_mov_b32_e32 v11, 0
	v_lshlrev_b64 v[10:11], 1, v[10:11]
	s_waitcnt lgkmcnt(0)
	v_mov_b32_e32 v1, s13
	v_add_co_u32_e64 v10, s[6:7], s12, v10
	v_addc_co_u32_e64 v11, s[6:7], v1, v11, s[6:7]
	global_store_short v[10:11], v3, off
	s_or_b64 exec, exec, s[8:9]
	s_and_saveexec_b64 s[8:9], s[4:5]
	s_cbranch_execnz .LBB154_55
	s_branch .LBB154_56
.LBB154_81:
	v_add_u32_e32 v9, v1, v0
	v_mov_b32_e32 v10, 0
	v_lshlrev_b64 v[9:10], 1, v[9:10]
	s_waitcnt lgkmcnt(0)
	v_mov_b32_e32 v0, s13
	v_add_co_u32_e32 v9, vcc, s12, v9
	v_addc_co_u32_e32 v10, vcc, v0, v10, vcc
	global_store_short_d16_hi v[9:10], v5, off
	s_or_b64 exec, exec, s[6:7]
	s_and_saveexec_b64 s[6:7], s[0:1]
	s_cbranch_execz .LBB154_59
.LBB154_82:
	v_add_u32_e32 v5, v1, v6
	v_mov_b32_e32 v6, 0
	v_lshlrev_b64 v[5:6], 1, v[5:6]
	s_waitcnt lgkmcnt(0)
	v_mov_b32_e32 v0, s13
	v_add_co_u32_e32 v5, vcc, s12, v5
	v_addc_co_u32_e32 v6, vcc, v0, v6, vcc
	global_store_short_d16_hi v[5:6], v4, off
	s_or_b64 exec, exec, s[6:7]
	s_and_saveexec_b64 s[0:1], s[2:3]
	s_cbranch_execz .LBB154_60
.LBB154_83:
	v_add_u32_e32 v4, v1, v7
	v_mov_b32_e32 v5, 0
	v_lshlrev_b64 v[4:5], 1, v[4:5]
	s_waitcnt lgkmcnt(0)
	v_mov_b32_e32 v0, s13
	v_add_co_u32_e32 v4, vcc, s12, v4
	v_addc_co_u32_e32 v5, vcc, v0, v5, vcc
	global_store_short_d16_hi v[4:5], v3, off
	s_or_b64 exec, exec, s[0:1]
	s_and_b64 exec, exec, s[4:5]
	s_cbranch_execnz .LBB154_61
	s_branch .LBB154_62
	.section	.rodata,"a",@progbits
	.p2align	6, 0x0
	.amdhsa_kernel _ZL12mul_mat_q5_KIN3c104HalfELb1EEvPKvS3_PT_iiiii
		.amdhsa_group_segment_fixed_size 45136
		.amdhsa_private_segment_fixed_size 20
		.amdhsa_kernarg_size 44
		.amdhsa_user_sgpr_count 6
		.amdhsa_user_sgpr_private_segment_buffer 1
		.amdhsa_user_sgpr_dispatch_ptr 0
		.amdhsa_user_sgpr_queue_ptr 0
		.amdhsa_user_sgpr_kernarg_segment_ptr 1
		.amdhsa_user_sgpr_dispatch_id 0
		.amdhsa_user_sgpr_flat_scratch_init 0
		.amdhsa_user_sgpr_private_segment_size 0
		.amdhsa_uses_dynamic_stack 0
		.amdhsa_system_sgpr_private_segment_wavefront_offset 1
		.amdhsa_system_sgpr_workgroup_id_x 1
		.amdhsa_system_sgpr_workgroup_id_y 1
		.amdhsa_system_sgpr_workgroup_id_z 0
		.amdhsa_system_sgpr_workgroup_info 0
		.amdhsa_system_vgpr_workitem_id 1
		.amdhsa_next_free_vgpr 256
		.amdhsa_next_free_sgpr 98
		.amdhsa_reserve_vcc 1
		.amdhsa_reserve_flat_scratch 0
		.amdhsa_float_round_mode_32 0
		.amdhsa_float_round_mode_16_64 0
		.amdhsa_float_denorm_mode_32 3
		.amdhsa_float_denorm_mode_16_64 3
		.amdhsa_dx10_clamp 1
		.amdhsa_ieee_mode 1
		.amdhsa_fp16_overflow 0
		.amdhsa_exception_fp_ieee_invalid_op 0
		.amdhsa_exception_fp_denorm_src 0
		.amdhsa_exception_fp_ieee_div_zero 0
		.amdhsa_exception_fp_ieee_overflow 0
		.amdhsa_exception_fp_ieee_underflow 0
		.amdhsa_exception_fp_ieee_inexact 0
		.amdhsa_exception_int_div_zero 0
	.end_amdhsa_kernel
	.section	.text._ZL12mul_mat_q5_KIN3c104HalfELb1EEvPKvS3_PT_iiiii,"axG",@progbits,_ZL12mul_mat_q5_KIN3c104HalfELb1EEvPKvS3_PT_iiiii,comdat
.Lfunc_end154:
	.size	_ZL12mul_mat_q5_KIN3c104HalfELb1EEvPKvS3_PT_iiiii, .Lfunc_end154-_ZL12mul_mat_q5_KIN3c104HalfELb1EEvPKvS3_PT_iiiii
                                        ; -- End function
	.set _ZL12mul_mat_q5_KIN3c104HalfELb1EEvPKvS3_PT_iiiii.num_vgpr, 256
	.set _ZL12mul_mat_q5_KIN3c104HalfELb1EEvPKvS3_PT_iiiii.num_agpr, 0
	.set _ZL12mul_mat_q5_KIN3c104HalfELb1EEvPKvS3_PT_iiiii.numbered_sgpr, 28
	.set _ZL12mul_mat_q5_KIN3c104HalfELb1EEvPKvS3_PT_iiiii.num_named_barrier, 0
	.set _ZL12mul_mat_q5_KIN3c104HalfELb1EEvPKvS3_PT_iiiii.private_seg_size, 20
	.set _ZL12mul_mat_q5_KIN3c104HalfELb1EEvPKvS3_PT_iiiii.uses_vcc, 1
	.set _ZL12mul_mat_q5_KIN3c104HalfELb1EEvPKvS3_PT_iiiii.uses_flat_scratch, 0
	.set _ZL12mul_mat_q5_KIN3c104HalfELb1EEvPKvS3_PT_iiiii.has_dyn_sized_stack, 0
	.set _ZL12mul_mat_q5_KIN3c104HalfELb1EEvPKvS3_PT_iiiii.has_recursion, 0
	.set _ZL12mul_mat_q5_KIN3c104HalfELb1EEvPKvS3_PT_iiiii.has_indirect_call, 0
	.section	.AMDGPU.csdata,"",@progbits
; Kernel info:
; codeLenInByte = 22508
; TotalNumSgprs: 32
; NumVgprs: 256
; ScratchSize: 20
; MemoryBound: 0
; FloatMode: 240
; IeeeMode: 1
; LDSByteSize: 45136 bytes/workgroup (compile time only)
; SGPRBlocks: 12
; VGPRBlocks: 63
; NumSGPRsForWavesPerEU: 102
; NumVGPRsForWavesPerEU: 256
; Occupancy: 1
; WaveLimiterHint : 0
; COMPUTE_PGM_RSRC2:SCRATCH_EN: 1
; COMPUTE_PGM_RSRC2:USER_SGPR: 6
; COMPUTE_PGM_RSRC2:TRAP_HANDLER: 0
; COMPUTE_PGM_RSRC2:TGID_X_EN: 1
; COMPUTE_PGM_RSRC2:TGID_Y_EN: 1
; COMPUTE_PGM_RSRC2:TGID_Z_EN: 0
; COMPUTE_PGM_RSRC2:TIDIG_COMP_CNT: 1
	.section	.text._ZL12mul_mat_q6_KIN3c104HalfELb0EEvPKvS3_PT_iiiii,"axG",@progbits,_ZL12mul_mat_q6_KIN3c104HalfELb0EEvPKvS3_PT_iiiii,comdat
	.globl	_ZL12mul_mat_q6_KIN3c104HalfELb0EEvPKvS3_PT_iiiii ; -- Begin function _ZL12mul_mat_q6_KIN3c104HalfELb0EEvPKvS3_PT_iiiii
	.p2align	8
	.type	_ZL12mul_mat_q6_KIN3c104HalfELb0EEvPKvS3_PT_iiiii,@function
_ZL12mul_mat_q6_KIN3c104HalfELb0EEvPKvS3_PT_iiiii: ; @_ZL12mul_mat_q6_KIN3c104HalfELb0EEvPKvS3_PT_iiiii
; %bb.0:
	s_load_dword s14, s[4:5], 0x18
	s_load_dwordx4 s[8:11], s[4:5], 0x20
	s_waitcnt lgkmcnt(0)
	s_lshl_b32 s11, s7, 6
	v_add_u32_e32 v117, s11, v1
	s_cmpk_gt_i32 s14, 0xff
	s_cbranch_scc1 .LBB155_2
; %bb.1:
	v_add_u32_e32 v6, s11, v1
	s_mov_b64 s[0:1], 0
	s_branch .LBB155_3
.LBB155_2:
	s_mov_b64 s[0:1], -1
                                        ; implicit-def: $vgpr6
.LBB155_3:
	s_load_dwordx2 s[12:13], s[4:5], 0x10
	s_lshl_b32 s6, s6, 7
	s_mov_b32 s7, 0
	v_mov_b32_e32 v2, 0
	s_andn2_b64 vcc, exec, s[0:1]
	v_mov_b32_e32 v9, 0
	v_mov_b32_e32 v13, 0
	;; [unrolled: 1-line block ×15, first 2 shown]
	s_cbranch_vccnz .LBB155_11
; %bb.4:
	s_load_dwordx4 s[0:3], s[4:5], 0x0
	s_ashr_i32 s4, s14, 31
	s_lshr_b32 s4, s4, 24
	s_add_i32 s14, s14, s4
	s_ashr_i32 s5, s9, 31
	s_ashr_i32 s4, s14, 8
	s_lshr_b32 s5, s5, 27
	v_lshrrev_b32_e32 v4, 1, v0
	v_and_b32_e32 v5, 7, v0
	s_add_i32 s5, s9, s5
	s_mul_i32 s9, s4, s6
	v_and_b32_e32 v2, 31, v0
	v_and_or_b32 v4, v4, 8, v5
	s_ashr_i32 s15, s5, 5
	s_mul_hi_i32 s14, s9, 0xd2
	s_mulk_i32 s9, 0xd2
	v_lshlrev_b32_e32 v120, 2, v4
	v_add_u16_e32 v4, -16, v2
	v_cmp_gt_u32_e32 vcc, 16, v2
	s_waitcnt lgkmcnt(0)
	s_add_u32 s9, s0, s9
	v_lshlrev_b32_e32 v3, 1, v2
	v_lshlrev_b32_e32 v119, 2, v2
	v_cndmask_b32_e32 v2, v4, v2, vcc
	s_addc_u32 s14, s1, s14
	v_cmp_lt_u16_e64 s[0:1], 7, v2
	v_add_u32_e32 v2, 0xe0, v3
	v_cndmask_b32_e32 v2, v2, v3, vcc
	v_and_b32_e32 v2, 0xfe, v2
	v_sub_u32_e32 v2, v3, v2
	v_and_b32_e32 v3, 15, v0
	v_mul_u32_u24_e32 v4, 0x41, v1
	v_cndmask_b32_e64 v121, 0, 2, s[0:1]
	v_lshlrev_b32_e32 v2, 2, v2
	v_lshlrev_b32_e32 v3, 2, v3
	;; [unrolled: 1-line block ×3, first 2 shown]
	s_lshl_b32 s0, s4, 3
	v_add3_u32 v122, v2, v3, v4
	v_mov_b32_e32 v2, s0
	v_mad_i32_i24 v123, s4, v1, v2
	v_add_u32_e32 v124, s0, v123
	v_add_u32_e32 v125, s0, v124
	;; [unrolled: 1-line block ×7, first 2 shown]
	v_lshlrev_b32_e32 v143, 5, v1
	v_add_u32_e32 v132, s0, v131
	v_add_u32_e32 v2, v143, v0
	;; [unrolled: 1-line block ×3, first 2 shown]
	v_and_b32_e32 v3, 0x7f, v2
	v_lshrrev_b32_e32 v2, 3, v2
	v_add_u32_e32 v134, s0, v133
	v_mul_i32_i24_e32 v144, s4, v3
	v_and_b32_e32 v2, 12, v2
	v_lshlrev_b32_e32 v3, 2, v3
	s_mov_b32 s16, 0xae40
	v_add_u32_e32 v135, s0, v134
	v_add3_u32 v145, v3, v2, s16
	v_lshlrev_b32_e32 v3, 3, v1
	v_lshrrev_b32_e32 v4, 2, v0
	v_add_u32_e32 v137, s0, v135
	v_add_u32_e32 v7, v4, v3
	v_and_b32_e32 v2, 3, v0
	v_add_u16_e32 v3, v4, v3
	v_add_u32_e32 v139, s0, v137
	v_lshlrev_b32_e32 v146, 2, v2
	v_and_b32_e32 v5, 0x7f, v7
	v_lshrrev_b16_e32 v3, 1, v3
	v_add_u32_e32 v141, s0, v139
	v_lshl_or_b32 v6, v5, 4, v146
	v_and_b32_e32 v3, 60, v3
	s_mov_b32 s0, 0xa200
	v_add3_u32 v148, v6, v3, s0
	v_xor_b32_e32 v3, 64, v5
	v_mul_i32_i24_e32 v149, s4, v3
	v_lshl_or_b32 v4, v3, 4, v146
	v_lshrrev_b32_e32 v3, 1, v3
	v_and_b32_e32 v3, 60, v3
	v_add3_u32 v150, v4, v3, s0
	s_add_i32 s0, s8, -1
	v_mul_i32_i24_e32 v147, s4, v5
	v_cvt_f64_i32_e32 v[3:4], s0
	v_cvt_f64_u32_e32 v[5:6], v117
	v_and_b32_e32 v11, 63, v7
	v_add_u32_e32 v7, 8, v117
	v_cvt_f64_u32_e32 v[7:8], v7
	v_add_u32_e32 v9, 16, v117
	v_min_f64 v[5:6], v[5:6], v[3:4]
	v_cvt_f64_u32_e32 v[9:10], v9
	v_min_f64 v[7:8], v[7:8], v[3:4]
	v_or_b32_e32 v12, s11, v11
	v_min_i32_e32 v12, s0, v12
	v_min_f64 v[9:10], v[9:10], v[3:4]
	v_mad_u64_u32 v[20:21], s[0:1], v12, s15, v[2:3]
	v_cvt_i32_f64_e32 v5, v[5:6]
	v_lshl_or_b32 v2, v11, 4, v146
	v_add_u32_e32 v152, 0xaa40, v2
	v_cvt_i32_f64_e32 v2, v[7:8]
	v_mul_lo_u32 v154, s15, v5
	v_cvt_i32_f64_e32 v5, v[9:10]
	v_lshrrev_b32_e32 v118, 5, v0
	v_mul_lo_u32 v155, s15, v2
	v_add_u32_e32 v2, 24, v117
	v_mul_lo_u32 v156, s15, v5
	v_cvt_f64_u32_e32 v[5:6], v2
	v_add_u32_e32 v2, 32, v117
	v_cvt_f64_u32_e32 v[7:8], v2
	v_add_u32_e32 v2, 40, v117
	v_min_f64 v[5:6], v[5:6], v[3:4]
	v_cvt_f64_u32_e32 v[9:10], v2
	v_add_u32_e32 v2, 48, v117
	v_cvt_f64_u32_e32 v[11:12], v2
	v_min_f64 v[7:8], v[7:8], v[3:4]
	v_min_f64 v[9:10], v[9:10], v[3:4]
	v_add_u32_e32 v2, 56, v117
	v_cvt_f64_u32_e32 v[13:14], v2
	v_cvt_i32_f64_e32 v29, v[5:6]
	v_min_f64 v[5:6], v[11:12], v[3:4]
	v_lshlrev_b32_e32 v151, 2, v0
	v_min_f64 v[2:3], v[13:14], v[3:4]
	v_cvt_i32_f64_e32 v7, v[7:8]
	v_cvt_i32_f64_e32 v8, v[9:10]
	s_movk_i32 s0, 0x104
	v_mov_b32_e32 v18, 0
	v_add_u32_e32 v15, 8, v1
	v_cvt_i32_f64_e32 v5, v[5:6]
	v_lshlrev_b32_e32 v6, 2, v118
	v_add3_u32 v162, v151, v6, s16
	v_add_u32_e32 v6, 32, v0
	v_lshrrev_b32_e32 v163, 3, v6
	v_mul_lo_u32 v159, s15, v8
	v_lshlrev_b32_e32 v8, 2, v6
	v_and_b32_e32 v6, 60, v163
	v_add3_u32 v164, v151, v6, s16
	v_add_u32_e32 v6, 64, v0
	v_lshrrev_b32_e32 v165, 3, v6
	v_lshlrev_b32_e32 v9, 2, v6
	v_and_b32_e32 v6, 60, v165
	v_cvt_i32_f64_e32 v2, v[2:3]
	v_add3_u32 v166, v151, v6, s16
	v_add_u32_e32 v6, 0x60, v0
	v_lshrrev_b32_e32 v167, 3, v6
	v_lshlrev_b32_e32 v10, 2, v6
	v_and_b32_e32 v6, 60, v167
	v_add3_u32 v168, v151, v6, s16
	v_mov_b32_e32 v6, 0x2080
	v_add_u32_e32 v16, 16, v1
	v_add_u32_e32 v17, 24, v1
	v_add_u32_e32 v19, 32, v1
	v_add_u32_e32 v22, 40, v1
	v_add_u32_e32 v23, 48, v1
	v_add_u32_e32 v24, 56, v1
	v_mul_lo_u32 v157, s15, v29
	v_mul_lo_u32 v158, s15, v7
	;; [unrolled: 1-line block ×4, first 2 shown]
	v_mad_u32_u24 v177, v0, s0, v6
	v_mov_b32_e32 v6, 0x4100
	v_and_b32_e32 v25, 28, v151
	v_or_b32_e32 v26, 0x8200, v119
	v_lshlrev_b32_e32 v21, 7, v1
	v_lshlrev_b32_e32 v27, 7, v15
	v_lshlrev_b32_e32 v28, 7, v16
	v_lshlrev_b32_e32 v4, 7, v17
	v_lshlrev_b32_e32 v7, 7, v19
	v_lshlrev_b32_e32 v3, 7, v22
	v_lshlrev_b32_e32 v5, 7, v23
	v_lshlrev_b32_e32 v2, 7, v24
	v_lshlrev_b32_e32 v172, 5, v19
	v_mad_u32_u24 v178, v0, s0, v6
	v_mov_b32_e32 v6, 0x6180
	v_mov_b32_e32 v19, v18
	v_add_u32_e32 v129, 0x30c0, v122
	v_lshlrev_b32_e32 v173, 5, v22
	v_lshlrev_b32_e32 v174, 5, v23
	;; [unrolled: 1-line block ×3, first 2 shown]
	v_mad_u32_u24 v179, v0, s0, v6
	v_mov_b32_e32 v6, s3
	v_add_co_u32_e32 v29, vcc, s2, v25
	v_add_u32_e32 v180, v26, v21
	v_add_u32_e32 v181, v26, v27
	;; [unrolled: 1-line block ×8, first 2 shown]
	v_mov_b32_e32 v40, v19
	v_mov_b32_e32 v32, v19
	;; [unrolled: 1-line block ×15, first 2 shown]
	s_movk_i32 s5, 0xd2
	v_add_u32_e32 v136, 0x6180, v122
	v_add_u32_e32 v138, 0x69a0, v122
	;; [unrolled: 1-line block ×4, first 2 shown]
	v_lshrrev_b32_e32 v153, 3, v0
	v_lshlrev_b32_e32 v169, 5, v15
	v_lshlrev_b32_e32 v170, 5, v16
	;; [unrolled: 1-line block ×3, first 2 shown]
	v_mul_u32_u24_e32 v176, 0x104, v0
	v_addc_co_u32_e32 v30, vcc, 0, v6, vcc
	s_mov_b32 s15, 0x30303030
	s_movk_i32 s16, 0x3f00
	s_movk_i32 s17, 0xe000
	v_mov_b32_e32 v188, 8
	v_add_u32_e32 v189, 0x800, v122
	v_add_u32_e32 v190, 0x1000, v122
	;; [unrolled: 1-line block ×8, first 2 shown]
	v_lshlrev_b32_e32 v197, 2, v8
	v_lshlrev_b32_e32 v198, 2, v9
	v_lshlrev_b32_e32 v199, 2, v10
	v_mov_b32_e32 v39, v18
	v_mov_b32_e32 v31, v18
	;; [unrolled: 1-line block ×15, first 2 shown]
.LBB155_5:                              ; =>This Loop Header: Depth=1
                                        ;     Child Loop BB155_6 Depth 2
                                        ;     Child Loop BB155_8 Depth 2
	s_mul_i32 s0, s7, 0xd2
	s_mul_hi_u32 s1, s7, 0xd2
	s_add_u32 s0, s9, s0
	s_addc_u32 s1, s14, s1
	v_mov_b32_e32 v3, s1
	v_mov_b32_e32 v2, s0
	v_mad_u64_u32 v[4:5], s[0:1], v118, s5, v[2:3]
	v_mul_i32_i24_e32 v6, s4, v1
	s_lshl_b32 s18, s7, 3
	v_mad_u64_u32 v[6:7], s[0:1], v6, s5, v[4:5]
	v_mad_u64_u32 v[10:11], s[0:1], v123, s5, v[4:5]
	v_add_co_u32_e32 v8, vcc, v6, v119
	v_addc_co_u32_e32 v9, vcc, 0, v7, vcc
	v_add_co_u32_e32 v6, vcc, v6, v120
	v_addc_co_u32_e32 v7, vcc, 0, v7, vcc
	;; [unrolled: 2-line block ×3, first 2 shown]
	global_load_dword v14, v[8:9], off
	global_load_dword v15, v[6:7], off offset:128
	s_nop 0
	global_load_dword v12, v[12:13], off
	v_add_co_u32_e32 v6, vcc, v10, v120
	v_addc_co_u32_e32 v7, vcc, 0, v11, vcc
	global_load_dword v10, v[6:7], off offset:128
	v_mad_u64_u32 v[6:7], s[0:1], v124, s5, v[4:5]
	v_add_u32_e32 v113, s18, v20
	s_mov_b32 s20, 0
	v_add_co_u32_e32 v8, vcc, v6, v119
	v_addc_co_u32_e32 v9, vcc, 0, v7, vcc
	v_add_co_u32_e32 v6, vcc, v6, v120
	v_addc_co_u32_e32 v7, vcc, 0, v7, vcc
	global_load_dword v11, v[8:9], off
	global_load_dword v13, v[6:7], off offset:128
	v_mad_u64_u32 v[6:7], s[0:1], v125, s5, v[4:5]
	v_add_co_u32_e32 v8, vcc, v6, v119
	v_addc_co_u32_e32 v9, vcc, 0, v7, vcc
	v_add_co_u32_e32 v6, vcc, v6, v120
	v_addc_co_u32_e32 v7, vcc, 0, v7, vcc
	global_load_dword v16, v[8:9], off
	global_load_dword v17, v[6:7], off offset:128
	s_waitcnt vmcnt(7)
	v_lshrrev_b32_e32 v7, 4, v14
	s_waitcnt vmcnt(6)
	v_ashrrev_i32_e32 v8, v121, v15
	v_and_b32_e32 v6, 0xf0f0f0f, v14
	v_and_b32_e32 v7, 0xf0f0f0f, v7
	v_lshlrev_b32_e32 v14, 4, v8
	s_waitcnt vmcnt(5)
	v_and_b32_e32 v9, 0xf0f0f0f, v12
	v_and_or_b32 v6, v14, s15, v6
	s_waitcnt vmcnt(4)
	v_ashrrev_i32_e32 v10, v121, v10
	v_lshlrev_b32_e32 v15, 4, v10
	v_and_or_b32 v7, v8, s15, v7
	v_and_or_b32 v8, v15, s15, v9
	v_and_b32_e32 v9, 0x3f00, v6
	v_lshlrev_b16_e32 v14, 8, v6
	v_and_b32_sdwa v15, v6, s16 dst_sel:DWORD dst_unused:UNUSED_PAD src0_sel:WORD_1 src1_sel:DWORD
	v_lshlrev_b16_sdwa v6, v188, v6 dst_sel:DWORD dst_unused:UNUSED_PAD src0_sel:DWORD src1_sel:WORD_1
	v_and_b32_e32 v53, 0x3f00, v7
	v_lshlrev_b16_e32 v54, 8, v7
	v_and_b32_sdwa v55, v7, s16 dst_sel:DWORD dst_unused:UNUSED_PAD src0_sel:WORD_1 src1_sel:DWORD
	v_lshlrev_b16_sdwa v7, v188, v7 dst_sel:DWORD dst_unused:UNUSED_PAD src0_sel:DWORD src1_sel:WORD_1
	v_add_u16_e32 v14, 0xe000, v14
	v_add_u16_e32 v6, 0xe000, v6
	;; [unrolled: 1-line block ×4, first 2 shown]
	v_or_b32_sdwa v9, v9, v14 dst_sel:DWORD dst_unused:UNUSED_PAD src0_sel:DWORD src1_sel:BYTE_1
	v_or_b32_sdwa v6, v15, v6 dst_sel:DWORD dst_unused:UNUSED_PAD src0_sel:DWORD src1_sel:BYTE_1
	;; [unrolled: 1-line block ×4, first 2 shown]
	v_lshrrev_b32_e32 v12, 4, v12
	v_add_u16_e32 v9, 0xe000, v9
	v_add_u16_sdwa v6, v6, s17 dst_sel:WORD_1 dst_unused:UNUSED_PAD src0_sel:DWORD src1_sel:DWORD
	v_add_u16_e32 v14, 0xe000, v14
	v_add_u16_sdwa v7, v7, s17 dst_sel:WORD_1 dst_unused:UNUSED_PAD src0_sel:DWORD src1_sel:DWORD
	v_and_b32_e32 v12, 0xf0f0f0f, v12
	v_or_b32_e32 v6, v9, v6
	v_or_b32_e32 v7, v14, v7
	ds_write2_b32 v122, v6, v7 offset1:16
	v_and_or_b32 v6, v10, s15, v12
	v_lshlrev_b16_e32 v9, 8, v6
	v_and_b32_e32 v7, 0x3f00, v6
	v_add_u16_e32 v9, 0xe000, v9
	v_and_b32_e32 v56, 0x3f00, v8
	v_lshlrev_b16_e32 v57, 8, v8
	v_and_b32_sdwa v58, v8, s16 dst_sel:DWORD dst_unused:UNUSED_PAD src0_sel:WORD_1 src1_sel:DWORD
	v_lshlrev_b16_sdwa v8, v188, v8 dst_sel:DWORD dst_unused:UNUSED_PAD src0_sel:DWORD src1_sel:WORD_1
	v_or_b32_sdwa v7, v7, v9 dst_sel:DWORD dst_unused:UNUSED_PAD src0_sel:DWORD src1_sel:BYTE_1
	v_and_b32_sdwa v9, v6, s16 dst_sel:DWORD dst_unused:UNUSED_PAD src0_sel:WORD_1 src1_sel:DWORD
	v_lshlrev_b16_sdwa v6, v188, v6 dst_sel:DWORD dst_unused:UNUSED_PAD src0_sel:DWORD src1_sel:WORD_1
	v_add_u16_e32 v57, 0xe000, v57
	v_add_u16_e32 v8, 0xe000, v8
	;; [unrolled: 1-line block ×3, first 2 shown]
	v_or_b32_sdwa v15, v56, v57 dst_sel:DWORD dst_unused:UNUSED_PAD src0_sel:DWORD src1_sel:BYTE_1
	v_or_b32_sdwa v8, v58, v8 dst_sel:DWORD dst_unused:UNUSED_PAD src0_sel:DWORD src1_sel:BYTE_1
	;; [unrolled: 1-line block ×3, first 2 shown]
	v_add_u16_e32 v15, 0xe000, v15
	v_add_u16_sdwa v8, v8, s17 dst_sel:WORD_1 dst_unused:UNUSED_PAD src0_sel:DWORD src1_sel:DWORD
	v_add_u16_e32 v7, 0xe000, v7
	v_add_u16_sdwa v6, v6, s17 dst_sel:WORD_1 dst_unused:UNUSED_PAD src0_sel:DWORD src1_sel:DWORD
	v_or_b32_e32 v8, v15, v8
	v_or_b32_e32 v6, v7, v6
	ds_write2_b32 v189, v8, v6 offset0:8 offset1:24
	s_waitcnt vmcnt(2)
	v_ashrrev_i32_e32 v8, v121, v13
	v_and_b32_e32 v6, 0xf0f0f0f, v11
	v_lshlrev_b32_e32 v9, 4, v8
	v_and_or_b32 v6, v9, s15, v6
	v_lshlrev_b16_e32 v10, 8, v6
	v_and_b32_e32 v9, 0x3f00, v6
	v_add_u16_e32 v10, 0xe000, v10
	v_or_b32_sdwa v9, v9, v10 dst_sel:DWORD dst_unused:UNUSED_PAD src0_sel:DWORD src1_sel:BYTE_1
	v_and_b32_sdwa v10, v6, s16 dst_sel:DWORD dst_unused:UNUSED_PAD src0_sel:WORD_1 src1_sel:DWORD
	v_lshlrev_b16_sdwa v6, v188, v6 dst_sel:DWORD dst_unused:UNUSED_PAD src0_sel:DWORD src1_sel:WORD_1
	v_add_u16_e32 v6, 0xe000, v6
	v_lshrrev_b32_e32 v7, 4, v11
	v_or_b32_sdwa v6, v10, v6 dst_sel:DWORD dst_unused:UNUSED_PAD src0_sel:DWORD src1_sel:BYTE_1
	v_and_b32_e32 v7, 0xf0f0f0f, v7
	v_add_u16_e32 v9, 0xe000, v9
	v_add_u16_sdwa v6, v6, s17 dst_sel:WORD_1 dst_unused:UNUSED_PAD src0_sel:DWORD src1_sel:DWORD
	v_or_b32_e32 v10, v9, v6
	v_and_or_b32 v11, v8, s15, v7
	v_mad_u64_u32 v[6:7], s[0:1], v126, s5, v[4:5]
	v_lshlrev_b16_e32 v13, 8, v11
	v_and_b32_e32 v12, 0x3f00, v11
	v_add_co_u32_e32 v8, vcc, v6, v119
	v_addc_co_u32_e32 v9, vcc, 0, v7, vcc
	v_add_co_u32_e32 v6, vcc, v6, v120
	v_addc_co_u32_e32 v7, vcc, 0, v7, vcc
	global_load_dword v14, v[8:9], off
	global_load_dword v15, v[6:7], off offset:128
	v_lshlrev_b16_sdwa v8, v188, v11 dst_sel:DWORD dst_unused:UNUSED_PAD src0_sel:DWORD src1_sel:WORD_1
	v_add_u16_e32 v6, 0xe000, v13
	v_and_b32_sdwa v7, v11, s16 dst_sel:DWORD dst_unused:UNUSED_PAD src0_sel:WORD_1 src1_sel:DWORD
	v_add_u16_e32 v8, 0xe000, v8
	v_or_b32_sdwa v6, v12, v6 dst_sel:DWORD dst_unused:UNUSED_PAD src0_sel:DWORD src1_sel:BYTE_1
	v_or_b32_sdwa v7, v7, v8 dst_sel:DWORD dst_unused:UNUSED_PAD src0_sel:DWORD src1_sel:BYTE_1
	v_add_u16_e32 v6, 0xe000, v6
	v_add_u16_sdwa v7, v7, s17 dst_sel:WORD_1 dst_unused:UNUSED_PAD src0_sel:DWORD src1_sel:DWORD
	v_or_b32_e32 v6, v6, v7
	s_waitcnt vmcnt(3)
	v_lshrrev_b32_e32 v7, 4, v16
	s_waitcnt vmcnt(2)
	v_ashrrev_i32_e32 v11, v121, v17
	ds_write2_b32 v190, v10, v6 offset0:16 offset1:32
	v_and_b32_e32 v6, 0xf0f0f0f, v16
	v_and_b32_e32 v10, 0xf0f0f0f, v7
	v_lshlrev_b32_e32 v7, 4, v11
	v_and_or_b32 v12, v7, s15, v6
	v_mad_u64_u32 v[6:7], s[0:1], v127, s5, v[4:5]
	v_lshlrev_b16_e32 v16, 8, v12
	v_and_b32_e32 v13, 0x3f00, v12
	v_add_co_u32_e32 v8, vcc, v6, v119
	v_addc_co_u32_e32 v9, vcc, 0, v7, vcc
	v_add_co_u32_e32 v6, vcc, v6, v120
	v_addc_co_u32_e32 v7, vcc, 0, v7, vcc
	global_load_dword v17, v[8:9], off
	global_load_dword v53, v[6:7], off offset:128
	v_lshlrev_b16_sdwa v8, v188, v12 dst_sel:DWORD dst_unused:UNUSED_PAD src0_sel:DWORD src1_sel:WORD_1
	v_add_u16_e32 v6, 0xe000, v16
	v_and_b32_sdwa v7, v12, s16 dst_sel:DWORD dst_unused:UNUSED_PAD src0_sel:WORD_1 src1_sel:DWORD
	v_add_u16_e32 v8, 0xe000, v8
	v_or_b32_sdwa v6, v13, v6 dst_sel:DWORD dst_unused:UNUSED_PAD src0_sel:DWORD src1_sel:BYTE_1
	v_or_b32_sdwa v7, v7, v8 dst_sel:DWORD dst_unused:UNUSED_PAD src0_sel:DWORD src1_sel:BYTE_1
	v_add_u16_e32 v6, 0xe000, v6
	v_add_u16_sdwa v7, v7, s17 dst_sel:WORD_1 dst_unused:UNUSED_PAD src0_sel:DWORD src1_sel:DWORD
	v_and_or_b32 v8, v11, s15, v10
	v_or_b32_e32 v12, v6, v7
	v_lshlrev_b16_e32 v7, 8, v8
	v_and_b32_e32 v6, 0x3f00, v8
	v_add_u16_e32 v7, 0xe000, v7
	v_or_b32_sdwa v6, v6, v7 dst_sel:DWORD dst_unused:UNUSED_PAD src0_sel:DWORD src1_sel:BYTE_1
	v_add_u16_e32 v10, 0xe000, v6
	v_mad_u64_u32 v[6:7], s[0:1], v128, s5, v[4:5]
	v_and_b32_sdwa v11, v8, s16 dst_sel:DWORD dst_unused:UNUSED_PAD src0_sel:WORD_1 src1_sel:DWORD
	v_lshlrev_b16_sdwa v8, v188, v8 dst_sel:DWORD dst_unused:UNUSED_PAD src0_sel:DWORD src1_sel:WORD_1
	v_add_u16_e32 v13, 0xe000, v8
	v_add_co_u32_e32 v8, vcc, v6, v119
	v_addc_co_u32_e32 v9, vcc, 0, v7, vcc
	v_add_co_u32_e32 v6, vcc, v6, v120
	v_addc_co_u32_e32 v7, vcc, 0, v7, vcc
	global_load_dword v16, v[8:9], off
	global_load_dword v54, v[6:7], off offset:128
	v_or_b32_sdwa v6, v11, v13 dst_sel:DWORD dst_unused:UNUSED_PAD src0_sel:DWORD src1_sel:BYTE_1
	v_add_u16_sdwa v8, v6, s17 dst_sel:WORD_1 dst_unused:UNUSED_PAD src0_sel:DWORD src1_sel:DWORD
	v_mad_u64_u32 v[6:7], s[0:1], v130, s5, v[4:5]
	v_or_b32_e32 v8, v10, v8
	ds_write2_b32 v191, v12, v8 offset0:24 offset1:40
	v_add_co_u32_e32 v8, vcc, v6, v119
	v_addc_co_u32_e32 v9, vcc, 0, v7, vcc
	v_add_co_u32_e32 v6, vcc, v6, v120
	v_addc_co_u32_e32 v7, vcc, 0, v7, vcc
	global_load_dword v10, v[8:9], off
	global_load_dword v11, v[6:7], off offset:128
	v_add_u32_e32 v57, s18, v153
	s_waitcnt vmcnt(7)
	v_and_b32_e32 v6, 0xf0f0f0f, v14
	s_waitcnt vmcnt(6)
	v_ashrrev_i32_e32 v8, v121, v15
	v_lshlrev_b32_e32 v9, 4, v8
	v_and_or_b32 v6, v9, s15, v6
	v_lshlrev_b16_e32 v12, 8, v6
	v_and_b32_e32 v9, 0x3f00, v6
	v_add_u16_e32 v12, 0xe000, v12
	v_or_b32_sdwa v9, v9, v12 dst_sel:DWORD dst_unused:UNUSED_PAD src0_sel:DWORD src1_sel:BYTE_1
	v_and_b32_sdwa v12, v6, s16 dst_sel:DWORD dst_unused:UNUSED_PAD src0_sel:WORD_1 src1_sel:DWORD
	v_lshlrev_b16_sdwa v6, v188, v6 dst_sel:DWORD dst_unused:UNUSED_PAD src0_sel:DWORD src1_sel:WORD_1
	v_lshrrev_b32_e32 v7, 4, v14
	v_add_u16_e32 v6, 0xe000, v6
	v_and_b32_e32 v7, 0xf0f0f0f, v7
	v_or_b32_sdwa v6, v12, v6 dst_sel:DWORD dst_unused:UNUSED_PAD src0_sel:DWORD src1_sel:BYTE_1
	v_add_u16_e32 v9, 0xe000, v9
	v_add_u16_sdwa v6, v6, s17 dst_sel:WORD_1 dst_unused:UNUSED_PAD src0_sel:DWORD src1_sel:DWORD
	v_and_or_b32 v7, v8, s15, v7
	v_or_b32_e32 v6, v9, v6
	v_lshlrev_b16_e32 v9, 8, v7
	v_and_b32_e32 v8, 0x3f00, v7
	v_add_u16_e32 v9, 0xe000, v9
	v_or_b32_sdwa v8, v8, v9 dst_sel:DWORD dst_unused:UNUSED_PAD src0_sel:DWORD src1_sel:BYTE_1
	v_and_b32_sdwa v9, v7, s16 dst_sel:DWORD dst_unused:UNUSED_PAD src0_sel:WORD_1 src1_sel:DWORD
	v_lshlrev_b16_sdwa v7, v188, v7 dst_sel:DWORD dst_unused:UNUSED_PAD src0_sel:DWORD src1_sel:WORD_1
	v_add_u16_e32 v7, 0xe000, v7
	v_or_b32_sdwa v7, v9, v7 dst_sel:DWORD dst_unused:UNUSED_PAD src0_sel:DWORD src1_sel:BYTE_1
	v_add_u16_e32 v8, 0xe000, v8
	v_add_u16_sdwa v7, v7, s17 dst_sel:WORD_1 dst_unused:UNUSED_PAD src0_sel:DWORD src1_sel:DWORD
	v_or_b32_e32 v7, v8, v7
	ds_write2_b32 v192, v6, v7 offset0:32 offset1:48
	s_waitcnt vmcnt(5)
	v_and_b32_e32 v6, 0xf0f0f0f, v17
	s_waitcnt vmcnt(4)
	v_ashrrev_i32_e32 v8, v121, v53
	v_lshlrev_b32_e32 v9, 4, v8
	v_and_or_b32 v6, v9, s15, v6
	v_lshlrev_b16_e32 v12, 8, v6
	v_and_b32_e32 v9, 0x3f00, v6
	v_add_u16_e32 v12, 0xe000, v12
	v_or_b32_sdwa v9, v9, v12 dst_sel:DWORD dst_unused:UNUSED_PAD src0_sel:DWORD src1_sel:BYTE_1
	v_and_b32_sdwa v12, v6, s16 dst_sel:DWORD dst_unused:UNUSED_PAD src0_sel:WORD_1 src1_sel:DWORD
	v_lshlrev_b16_sdwa v6, v188, v6 dst_sel:DWORD dst_unused:UNUSED_PAD src0_sel:DWORD src1_sel:WORD_1
	v_lshrrev_b32_e32 v7, 4, v17
	v_add_u16_e32 v6, 0xe000, v6
	v_and_b32_e32 v7, 0xf0f0f0f, v7
	v_or_b32_sdwa v6, v12, v6 dst_sel:DWORD dst_unused:UNUSED_PAD src0_sel:DWORD src1_sel:BYTE_1
	v_add_u16_e32 v9, 0xe000, v9
	v_add_u16_sdwa v6, v6, s17 dst_sel:WORD_1 dst_unused:UNUSED_PAD src0_sel:DWORD src1_sel:DWORD
	v_and_or_b32 v7, v8, s15, v7
	v_or_b32_e32 v6, v9, v6
	v_lshlrev_b16_e32 v9, 8, v7
	v_and_b32_e32 v8, 0x3f00, v7
	v_add_u16_e32 v9, 0xe000, v9
	v_or_b32_sdwa v8, v8, v9 dst_sel:DWORD dst_unused:UNUSED_PAD src0_sel:DWORD src1_sel:BYTE_1
	v_and_b32_sdwa v9, v7, s16 dst_sel:DWORD dst_unused:UNUSED_PAD src0_sel:WORD_1 src1_sel:DWORD
	v_lshlrev_b16_sdwa v7, v188, v7 dst_sel:DWORD dst_unused:UNUSED_PAD src0_sel:DWORD src1_sel:WORD_1
	v_add_u16_e32 v7, 0xe000, v7
	v_or_b32_sdwa v7, v9, v7 dst_sel:DWORD dst_unused:UNUSED_PAD src0_sel:DWORD src1_sel:BYTE_1
	v_add_u16_e32 v8, 0xe000, v8
	v_add_u16_sdwa v7, v7, s17 dst_sel:WORD_1 dst_unused:UNUSED_PAD src0_sel:DWORD src1_sel:DWORD
	v_or_b32_e32 v7, v8, v7
	ds_write2_b32 v193, v6, v7 offset0:40 offset1:56
	s_waitcnt vmcnt(3)
	v_and_b32_e32 v6, 0xf0f0f0f, v16
	s_waitcnt vmcnt(2)
	v_ashrrev_i32_e32 v8, v121, v54
	v_lshlrev_b32_e32 v9, 4, v8
	v_and_or_b32 v6, v9, s15, v6
	v_lshlrev_b16_e32 v12, 8, v6
	v_and_b32_e32 v9, 0x3f00, v6
	v_add_u16_e32 v12, 0xe000, v12
	v_or_b32_sdwa v9, v9, v12 dst_sel:DWORD dst_unused:UNUSED_PAD src0_sel:DWORD src1_sel:BYTE_1
	v_and_b32_sdwa v12, v6, s16 dst_sel:DWORD dst_unused:UNUSED_PAD src0_sel:WORD_1 src1_sel:DWORD
	v_lshlrev_b16_sdwa v6, v188, v6 dst_sel:DWORD dst_unused:UNUSED_PAD src0_sel:DWORD src1_sel:WORD_1
	v_add_u16_e32 v6, 0xe000, v6
	v_lshrrev_b32_e32 v7, 4, v16
	v_or_b32_sdwa v6, v12, v6 dst_sel:DWORD dst_unused:UNUSED_PAD src0_sel:DWORD src1_sel:BYTE_1
	v_and_b32_e32 v7, 0xf0f0f0f, v7
	v_add_u16_e32 v9, 0xe000, v9
	v_add_u16_sdwa v6, v6, s17 dst_sel:WORD_1 dst_unused:UNUSED_PAD src0_sel:DWORD src1_sel:DWORD
	v_or_b32_e32 v12, v9, v6
	v_and_or_b32 v13, v8, s15, v7
	v_mad_u64_u32 v[6:7], s[0:1], v131, s5, v[4:5]
	v_lshlrev_b16_e32 v15, 8, v13
	v_and_b32_e32 v14, 0x3f00, v13
	v_add_co_u32_e32 v8, vcc, v6, v119
	v_addc_co_u32_e32 v9, vcc, 0, v7, vcc
	v_add_co_u32_e32 v6, vcc, v6, v120
	v_addc_co_u32_e32 v7, vcc, 0, v7, vcc
	global_load_dword v16, v[8:9], off
	global_load_dword v17, v[6:7], off offset:128
	v_lshlrev_b16_sdwa v8, v188, v13 dst_sel:DWORD dst_unused:UNUSED_PAD src0_sel:DWORD src1_sel:WORD_1
	v_add_u16_e32 v6, 0xe000, v15
	v_and_b32_sdwa v7, v13, s16 dst_sel:DWORD dst_unused:UNUSED_PAD src0_sel:WORD_1 src1_sel:DWORD
	v_add_u16_e32 v8, 0xe000, v8
	v_or_b32_sdwa v6, v14, v6 dst_sel:DWORD dst_unused:UNUSED_PAD src0_sel:DWORD src1_sel:BYTE_1
	v_or_b32_sdwa v7, v7, v8 dst_sel:DWORD dst_unused:UNUSED_PAD src0_sel:DWORD src1_sel:BYTE_1
	v_add_u16_e32 v6, 0xe000, v6
	v_add_u16_sdwa v7, v7, s17 dst_sel:WORD_1 dst_unused:UNUSED_PAD src0_sel:DWORD src1_sel:DWORD
	v_or_b32_e32 v6, v6, v7
	s_waitcnt vmcnt(3)
	v_lshrrev_b32_e32 v7, 4, v10
	s_waitcnt vmcnt(2)
	v_ashrrev_i32_e32 v11, v121, v11
	ds_write2_b32 v129, v12, v6 offset1:16
	v_and_b32_e32 v6, 0xf0f0f0f, v10
	v_and_b32_e32 v10, 0xf0f0f0f, v7
	v_lshlrev_b32_e32 v7, 4, v11
	v_and_or_b32 v12, v7, s15, v6
	v_mad_u64_u32 v[6:7], s[0:1], v132, s5, v[4:5]
	v_lshlrev_b16_e32 v14, 8, v12
	v_and_b32_e32 v13, 0x3f00, v12
	v_add_co_u32_e32 v8, vcc, v6, v119
	v_addc_co_u32_e32 v9, vcc, 0, v7, vcc
	v_add_co_u32_e32 v6, vcc, v6, v120
	v_addc_co_u32_e32 v7, vcc, 0, v7, vcc
	global_load_dword v15, v[8:9], off
	global_load_dword v53, v[6:7], off offset:128
	v_lshlrev_b16_sdwa v8, v188, v12 dst_sel:DWORD dst_unused:UNUSED_PAD src0_sel:DWORD src1_sel:WORD_1
	v_add_u16_e32 v6, 0xe000, v14
	v_and_b32_sdwa v7, v12, s16 dst_sel:DWORD dst_unused:UNUSED_PAD src0_sel:WORD_1 src1_sel:DWORD
	v_add_u16_e32 v8, 0xe000, v8
	v_or_b32_sdwa v6, v13, v6 dst_sel:DWORD dst_unused:UNUSED_PAD src0_sel:DWORD src1_sel:BYTE_1
	v_or_b32_sdwa v7, v7, v8 dst_sel:DWORD dst_unused:UNUSED_PAD src0_sel:DWORD src1_sel:BYTE_1
	v_add_u16_e32 v6, 0xe000, v6
	v_add_u16_sdwa v7, v7, s17 dst_sel:WORD_1 dst_unused:UNUSED_PAD src0_sel:DWORD src1_sel:DWORD
	v_and_or_b32 v8, v11, s15, v10
	v_or_b32_e32 v12, v6, v7
	v_lshlrev_b16_e32 v7, 8, v8
	v_and_b32_e32 v6, 0x3f00, v8
	v_add_u16_e32 v7, 0xe000, v7
	v_or_b32_sdwa v6, v6, v7 dst_sel:DWORD dst_unused:UNUSED_PAD src0_sel:DWORD src1_sel:BYTE_1
	v_add_u16_e32 v10, 0xe000, v6
	v_mad_u64_u32 v[6:7], s[0:1], v133, s5, v[4:5]
	v_and_b32_sdwa v11, v8, s16 dst_sel:DWORD dst_unused:UNUSED_PAD src0_sel:WORD_1 src1_sel:DWORD
	v_lshlrev_b16_sdwa v8, v188, v8 dst_sel:DWORD dst_unused:UNUSED_PAD src0_sel:DWORD src1_sel:WORD_1
	v_add_u16_e32 v13, 0xe000, v8
	v_add_co_u32_e32 v8, vcc, v6, v119
	v_addc_co_u32_e32 v9, vcc, 0, v7, vcc
	v_add_co_u32_e32 v6, vcc, v6, v120
	v_addc_co_u32_e32 v7, vcc, 0, v7, vcc
	global_load_dword v14, v[8:9], off
	global_load_dword v54, v[6:7], off offset:128
	v_or_b32_sdwa v6, v11, v13 dst_sel:DWORD dst_unused:UNUSED_PAD src0_sel:DWORD src1_sel:BYTE_1
	v_add_u16_sdwa v8, v6, s17 dst_sel:WORD_1 dst_unused:UNUSED_PAD src0_sel:DWORD src1_sel:DWORD
	v_mad_u64_u32 v[6:7], s[0:1], v134, s5, v[4:5]
	v_or_b32_e32 v8, v10, v8
	ds_write2_b32 v194, v12, v8 offset0:8 offset1:24
	v_add_co_u32_e32 v8, vcc, v6, v119
	v_addc_co_u32_e32 v9, vcc, 0, v7, vcc
	v_add_co_u32_e32 v6, vcc, v6, v120
	v_addc_co_u32_e32 v7, vcc, 0, v7, vcc
	global_load_dword v10, v[8:9], off
	global_load_dword v11, v[6:7], off offset:128
	s_waitcnt vmcnt(7)
	v_and_b32_e32 v6, 0xf0f0f0f, v16
	s_waitcnt vmcnt(6)
	v_ashrrev_i32_e32 v8, v121, v17
	v_lshlrev_b32_e32 v9, 4, v8
	v_and_or_b32 v6, v9, s15, v6
	v_lshlrev_b16_e32 v12, 8, v6
	v_and_b32_e32 v9, 0x3f00, v6
	v_add_u16_e32 v12, 0xe000, v12
	v_or_b32_sdwa v9, v9, v12 dst_sel:DWORD dst_unused:UNUSED_PAD src0_sel:DWORD src1_sel:BYTE_1
	v_and_b32_sdwa v12, v6, s16 dst_sel:DWORD dst_unused:UNUSED_PAD src0_sel:WORD_1 src1_sel:DWORD
	v_lshlrev_b16_sdwa v6, v188, v6 dst_sel:DWORD dst_unused:UNUSED_PAD src0_sel:DWORD src1_sel:WORD_1
	v_lshrrev_b32_e32 v7, 4, v16
	v_add_u16_e32 v6, 0xe000, v6
	v_and_b32_e32 v7, 0xf0f0f0f, v7
	v_or_b32_sdwa v6, v12, v6 dst_sel:DWORD dst_unused:UNUSED_PAD src0_sel:DWORD src1_sel:BYTE_1
	v_add_u16_e32 v9, 0xe000, v9
	v_add_u16_sdwa v6, v6, s17 dst_sel:WORD_1 dst_unused:UNUSED_PAD src0_sel:DWORD src1_sel:DWORD
	v_and_or_b32 v7, v8, s15, v7
	v_or_b32_e32 v6, v9, v6
	v_lshlrev_b16_e32 v9, 8, v7
	v_and_b32_e32 v8, 0x3f00, v7
	v_add_u16_e32 v9, 0xe000, v9
	v_or_b32_sdwa v8, v8, v9 dst_sel:DWORD dst_unused:UNUSED_PAD src0_sel:DWORD src1_sel:BYTE_1
	v_and_b32_sdwa v9, v7, s16 dst_sel:DWORD dst_unused:UNUSED_PAD src0_sel:WORD_1 src1_sel:DWORD
	v_lshlrev_b16_sdwa v7, v188, v7 dst_sel:DWORD dst_unused:UNUSED_PAD src0_sel:DWORD src1_sel:WORD_1
	v_add_u16_e32 v7, 0xe000, v7
	v_or_b32_sdwa v7, v9, v7 dst_sel:DWORD dst_unused:UNUSED_PAD src0_sel:DWORD src1_sel:BYTE_1
	v_add_u16_e32 v8, 0xe000, v8
	v_add_u16_sdwa v7, v7, s17 dst_sel:WORD_1 dst_unused:UNUSED_PAD src0_sel:DWORD src1_sel:DWORD
	v_or_b32_e32 v7, v8, v7
	ds_write2_b32 v195, v6, v7 offset0:16 offset1:32
	s_waitcnt vmcnt(5)
	v_and_b32_e32 v6, 0xf0f0f0f, v15
	s_waitcnt vmcnt(4)
	v_ashrrev_i32_e32 v8, v121, v53
	v_lshlrev_b32_e32 v9, 4, v8
	v_and_or_b32 v6, v9, s15, v6
	v_lshlrev_b16_e32 v12, 8, v6
	v_and_b32_e32 v9, 0x3f00, v6
	v_add_u16_e32 v12, 0xe000, v12
	v_or_b32_sdwa v9, v9, v12 dst_sel:DWORD dst_unused:UNUSED_PAD src0_sel:DWORD src1_sel:BYTE_1
	v_and_b32_sdwa v12, v6, s16 dst_sel:DWORD dst_unused:UNUSED_PAD src0_sel:WORD_1 src1_sel:DWORD
	v_lshlrev_b16_sdwa v6, v188, v6 dst_sel:DWORD dst_unused:UNUSED_PAD src0_sel:DWORD src1_sel:WORD_1
	v_lshrrev_b32_e32 v7, 4, v15
	v_add_u16_e32 v6, 0xe000, v6
	v_and_b32_e32 v7, 0xf0f0f0f, v7
	v_or_b32_sdwa v6, v12, v6 dst_sel:DWORD dst_unused:UNUSED_PAD src0_sel:DWORD src1_sel:BYTE_1
	v_add_u16_e32 v9, 0xe000, v9
	v_add_u16_sdwa v6, v6, s17 dst_sel:WORD_1 dst_unused:UNUSED_PAD src0_sel:DWORD src1_sel:DWORD
	v_and_or_b32 v7, v8, s15, v7
	v_or_b32_e32 v6, v9, v6
	v_lshlrev_b16_e32 v9, 8, v7
	v_and_b32_e32 v8, 0x3f00, v7
	v_add_u16_e32 v9, 0xe000, v9
	v_or_b32_sdwa v8, v8, v9 dst_sel:DWORD dst_unused:UNUSED_PAD src0_sel:DWORD src1_sel:BYTE_1
	v_and_b32_sdwa v9, v7, s16 dst_sel:DWORD dst_unused:UNUSED_PAD src0_sel:WORD_1 src1_sel:DWORD
	v_lshlrev_b16_sdwa v7, v188, v7 dst_sel:DWORD dst_unused:UNUSED_PAD src0_sel:DWORD src1_sel:WORD_1
	v_add_u16_e32 v7, 0xe000, v7
	v_or_b32_sdwa v7, v9, v7 dst_sel:DWORD dst_unused:UNUSED_PAD src0_sel:DWORD src1_sel:BYTE_1
	v_add_u16_e32 v8, 0xe000, v8
	v_add_u16_sdwa v7, v7, s17 dst_sel:WORD_1 dst_unused:UNUSED_PAD src0_sel:DWORD src1_sel:DWORD
	v_or_b32_e32 v7, v8, v7
	ds_write2_b32 v196, v6, v7 offset0:24 offset1:40
	s_waitcnt vmcnt(3)
	v_and_b32_e32 v6, 0xf0f0f0f, v14
	s_waitcnt vmcnt(2)
	v_ashrrev_i32_e32 v8, v121, v54
	v_lshlrev_b32_e32 v9, 4, v8
	v_and_or_b32 v6, v9, s15, v6
	v_lshlrev_b16_e32 v12, 8, v6
	v_and_b32_e32 v9, 0x3f00, v6
	v_add_u16_e32 v12, 0xe000, v12
	v_or_b32_sdwa v9, v9, v12 dst_sel:DWORD dst_unused:UNUSED_PAD src0_sel:DWORD src1_sel:BYTE_1
	v_and_b32_sdwa v12, v6, s16 dst_sel:DWORD dst_unused:UNUSED_PAD src0_sel:WORD_1 src1_sel:DWORD
	v_lshlrev_b16_sdwa v6, v188, v6 dst_sel:DWORD dst_unused:UNUSED_PAD src0_sel:DWORD src1_sel:WORD_1
	v_add_u16_e32 v6, 0xe000, v6
	v_lshrrev_b32_e32 v7, 4, v14
	v_or_b32_sdwa v6, v12, v6 dst_sel:DWORD dst_unused:UNUSED_PAD src0_sel:DWORD src1_sel:BYTE_1
	v_and_b32_e32 v7, 0xf0f0f0f, v7
	v_add_u16_e32 v9, 0xe000, v9
	v_add_u16_sdwa v6, v6, s17 dst_sel:WORD_1 dst_unused:UNUSED_PAD src0_sel:DWORD src1_sel:DWORD
	v_or_b32_e32 v12, v9, v6
	v_and_or_b32 v13, v8, s15, v7
	v_mad_u64_u32 v[6:7], s[0:1], v135, s5, v[4:5]
	v_lshlrev_b16_e32 v15, 8, v13
	v_and_b32_e32 v14, 0x3f00, v13
	v_add_co_u32_e32 v8, vcc, v6, v119
	v_addc_co_u32_e32 v9, vcc, 0, v7, vcc
	v_add_co_u32_e32 v6, vcc, v6, v120
	v_addc_co_u32_e32 v7, vcc, 0, v7, vcc
	global_load_dword v16, v[8:9], off
	global_load_dword v17, v[6:7], off offset:128
	v_lshlrev_b16_sdwa v8, v188, v13 dst_sel:DWORD dst_unused:UNUSED_PAD src0_sel:DWORD src1_sel:WORD_1
	v_add_u16_e32 v6, 0xe000, v15
	v_and_b32_sdwa v7, v13, s16 dst_sel:DWORD dst_unused:UNUSED_PAD src0_sel:WORD_1 src1_sel:DWORD
	v_add_u16_e32 v8, 0xe000, v8
	v_or_b32_sdwa v6, v14, v6 dst_sel:DWORD dst_unused:UNUSED_PAD src0_sel:DWORD src1_sel:BYTE_1
	v_or_b32_sdwa v7, v7, v8 dst_sel:DWORD dst_unused:UNUSED_PAD src0_sel:DWORD src1_sel:BYTE_1
	v_add_u16_e32 v6, 0xe000, v6
	v_add_u16_sdwa v7, v7, s17 dst_sel:WORD_1 dst_unused:UNUSED_PAD src0_sel:DWORD src1_sel:DWORD
	v_or_b32_e32 v6, v6, v7
	v_add_u32_e32 v7, 0x5140, v122
	ds_write2_b32 v7, v12, v6 offset1:16
	s_waitcnt vmcnt(3)
	v_lshrrev_b32_e32 v7, 4, v10
	s_waitcnt vmcnt(2)
	v_ashrrev_i32_e32 v11, v121, v11
	v_and_b32_e32 v6, 0xf0f0f0f, v10
	v_and_b32_e32 v10, 0xf0f0f0f, v7
	v_lshlrev_b32_e32 v7, 4, v11
	v_and_or_b32 v12, v7, s15, v6
	v_mad_u64_u32 v[6:7], s[0:1], v137, s5, v[4:5]
	v_lshlrev_b16_e32 v14, 8, v12
	v_and_b32_e32 v13, 0x3f00, v12
	v_add_co_u32_e32 v8, vcc, v6, v119
	v_addc_co_u32_e32 v9, vcc, 0, v7, vcc
	v_add_co_u32_e32 v6, vcc, v6, v120
	v_addc_co_u32_e32 v7, vcc, 0, v7, vcc
	global_load_dword v15, v[8:9], off
	global_load_dword v53, v[6:7], off offset:128
	v_lshlrev_b16_sdwa v8, v188, v12 dst_sel:DWORD dst_unused:UNUSED_PAD src0_sel:DWORD src1_sel:WORD_1
	v_add_u16_e32 v6, 0xe000, v14
	v_and_b32_sdwa v7, v12, s16 dst_sel:DWORD dst_unused:UNUSED_PAD src0_sel:WORD_1 src1_sel:DWORD
	v_add_u16_e32 v8, 0xe000, v8
	v_or_b32_sdwa v6, v13, v6 dst_sel:DWORD dst_unused:UNUSED_PAD src0_sel:DWORD src1_sel:BYTE_1
	v_or_b32_sdwa v7, v7, v8 dst_sel:DWORD dst_unused:UNUSED_PAD src0_sel:DWORD src1_sel:BYTE_1
	v_add_u16_e32 v6, 0xe000, v6
	v_add_u16_sdwa v7, v7, s17 dst_sel:WORD_1 dst_unused:UNUSED_PAD src0_sel:DWORD src1_sel:DWORD
	v_or_b32_e32 v8, v6, v7
	v_and_or_b32 v6, v11, s15, v10
	v_lshlrev_b16_e32 v9, 8, v6
	v_and_b32_e32 v7, 0x3f00, v6
	v_add_u16_e32 v9, 0xe000, v9
	v_or_b32_sdwa v7, v7, v9 dst_sel:DWORD dst_unused:UNUSED_PAD src0_sel:DWORD src1_sel:BYTE_1
	v_add_u16_e32 v9, 0xe000, v7
	v_and_b32_sdwa v7, v6, s16 dst_sel:DWORD dst_unused:UNUSED_PAD src0_sel:WORD_1 src1_sel:DWORD
	v_lshlrev_b16_sdwa v6, v188, v6 dst_sel:DWORD dst_unused:UNUSED_PAD src0_sel:DWORD src1_sel:WORD_1
	v_add_u16_e32 v6, 0xe000, v6
	v_or_b32_sdwa v6, v7, v6 dst_sel:DWORD dst_unused:UNUSED_PAD src0_sel:DWORD src1_sel:BYTE_1
	v_add_u16_sdwa v10, v6, s17 dst_sel:WORD_1 dst_unused:UNUSED_PAD src0_sel:DWORD src1_sel:DWORD
	v_mad_u64_u32 v[6:7], s[0:1], v139, s5, v[4:5]
	v_or_b32_e32 v9, v9, v10
	v_add_u32_e32 v10, 0x5960, v122
	ds_write2_b32 v10, v8, v9 offset1:16
	v_add_co_u32_e32 v8, vcc, v6, v119
	v_mad_u64_u32 v[4:5], s[0:1], v141, s5, v[4:5]
	v_addc_co_u32_e32 v9, vcc, 0, v7, vcc
	v_add_co_u32_e32 v6, vcc, v6, v120
	v_addc_co_u32_e32 v7, vcc, 0, v7, vcc
	v_add_co_u32_e32 v10, vcc, v4, v119
	;; [unrolled: 2-line block ×3, first 2 shown]
	v_addc_co_u32_e32 v5, vcc, 0, v5, vcc
	global_load_dword v12, v[8:9], off
	global_load_dword v13, v[6:7], off offset:128
	global_load_dword v14, v[10:11], off
	global_load_dword v54, v[4:5], off offset:128
	v_add_u32_e32 v10, v57, v158
	v_mad_i64_i32 v[10:11], s[0:1], v10, 36, v[29:30]
	s_waitcnt vmcnt(7)
	v_and_b32_e32 v4, 0xf0f0f0f, v16
	s_waitcnt vmcnt(6)
	v_ashrrev_i32_e32 v6, v121, v17
	v_lshlrev_b32_e32 v7, 4, v6
	v_and_or_b32 v4, v7, s15, v4
	v_lshlrev_b16_e32 v8, 8, v4
	v_and_b32_e32 v7, 0x3f00, v4
	v_add_u16_e32 v8, 0xe000, v8
	v_or_b32_sdwa v7, v7, v8 dst_sel:DWORD dst_unused:UNUSED_PAD src0_sel:DWORD src1_sel:BYTE_1
	v_and_b32_sdwa v8, v4, s16 dst_sel:DWORD dst_unused:UNUSED_PAD src0_sel:WORD_1 src1_sel:DWORD
	v_lshlrev_b16_sdwa v4, v188, v4 dst_sel:DWORD dst_unused:UNUSED_PAD src0_sel:DWORD src1_sel:WORD_1
	v_lshrrev_b32_e32 v5, 4, v16
	v_add_u16_e32 v4, 0xe000, v4
	v_and_b32_e32 v5, 0xf0f0f0f, v5
	v_or_b32_sdwa v4, v8, v4 dst_sel:DWORD dst_unused:UNUSED_PAD src0_sel:DWORD src1_sel:BYTE_1
	v_add_u16_e32 v7, 0xe000, v7
	v_add_u16_sdwa v4, v4, s17 dst_sel:WORD_1 dst_unused:UNUSED_PAD src0_sel:DWORD src1_sel:DWORD
	v_and_or_b32 v5, v6, s15, v5
	v_or_b32_e32 v4, v7, v4
	v_lshlrev_b16_e32 v7, 8, v5
	v_and_b32_e32 v6, 0x3f00, v5
	v_add_u16_e32 v7, 0xe000, v7
	v_or_b32_sdwa v6, v6, v7 dst_sel:DWORD dst_unused:UNUSED_PAD src0_sel:DWORD src1_sel:BYTE_1
	v_and_b32_sdwa v7, v5, s16 dst_sel:DWORD dst_unused:UNUSED_PAD src0_sel:WORD_1 src1_sel:DWORD
	v_lshlrev_b16_sdwa v5, v188, v5 dst_sel:DWORD dst_unused:UNUSED_PAD src0_sel:DWORD src1_sel:WORD_1
	v_add_u16_e32 v5, 0xe000, v5
	v_or_b32_sdwa v5, v7, v5 dst_sel:DWORD dst_unused:UNUSED_PAD src0_sel:DWORD src1_sel:BYTE_1
	v_add_u16_e32 v6, 0xe000, v6
	v_add_u16_sdwa v5, v5, s17 dst_sel:WORD_1 dst_unused:UNUSED_PAD src0_sel:DWORD src1_sel:DWORD
	v_or_b32_e32 v5, v6, v5
	ds_write2_b32 v136, v4, v5 offset1:16
	s_waitcnt vmcnt(5)
	v_and_b32_e32 v4, 0xf0f0f0f, v15
	s_waitcnt vmcnt(4)
	v_ashrrev_i32_e32 v6, v121, v53
	v_lshlrev_b32_e32 v7, 4, v6
	v_and_or_b32 v4, v7, s15, v4
	v_lshlrev_b16_e32 v8, 8, v4
	v_and_b32_e32 v7, 0x3f00, v4
	v_add_u16_e32 v8, 0xe000, v8
	v_lshrrev_b32_e32 v5, 4, v15
	v_or_b32_sdwa v7, v7, v8 dst_sel:DWORD dst_unused:UNUSED_PAD src0_sel:DWORD src1_sel:BYTE_1
	v_and_b32_sdwa v8, v4, s16 dst_sel:DWORD dst_unused:UNUSED_PAD src0_sel:WORD_1 src1_sel:DWORD
	v_lshlrev_b16_sdwa v4, v188, v4 dst_sel:DWORD dst_unused:UNUSED_PAD src0_sel:DWORD src1_sel:WORD_1
	v_and_b32_e32 v5, 0xf0f0f0f, v5
	v_add_u16_e32 v4, 0xe000, v4
	v_or_b32_sdwa v4, v8, v4 dst_sel:DWORD dst_unused:UNUSED_PAD src0_sel:DWORD src1_sel:BYTE_1
	v_and_or_b32 v16, v6, s15, v5
	v_add_u16_e32 v7, 0xe000, v7
	v_add_u16_sdwa v4, v4, s17 dst_sel:WORD_1 dst_unused:UNUSED_PAD src0_sel:DWORD src1_sel:DWORD
	v_lshlrev_b16_e32 v5, 8, v16
	v_or_b32_e32 v15, v7, v4
	v_and_b32_e32 v4, 0x3f00, v16
	v_add_u16_e32 v5, 0xe000, v5
	v_mad_u64_u32 v[6:7], s[0:1], v147, s5, v[2:3]
	v_or_b32_sdwa v4, v4, v5 dst_sel:DWORD dst_unused:UNUSED_PAD src0_sel:DWORD src1_sel:BYTE_1
	v_add_u16_e32 v17, 0xe000, v4
	v_mad_u64_u32 v[4:5], s[0:1], v144, s5, v[2:3]
	v_mad_u64_u32 v[2:3], s[0:1], v149, s5, v[2:3]
	v_add_co_u32_e32 v6, vcc, v6, v146
	v_addc_co_u32_e32 v7, vcc, 0, v7, vcc
	v_add_co_u32_e32 v2, vcc, v2, v146
	v_addc_co_u32_e32 v3, vcc, 0, v3, vcc
	global_load_ushort v53, v[4:5], off offset:208
	global_load_dword v55, v[6:7], off offset:192
	global_load_dword v56, v[2:3], off offset:192
	v_add_u32_e32 v2, v57, v154
	v_mad_i64_i32 v[2:3], s[0:1], v2, 36, v[29:30]
	v_add_u32_e32 v4, v57, v155
	v_mad_i64_i32 v[4:5], s[0:1], v4, 36, v[29:30]
	;; [unrolled: 2-line block ×4, first 2 shown]
	global_load_dword v58, v[2:3], off offset:4
	global_load_dword v59, v[4:5], off offset:4
	;; [unrolled: 1-line block ×4, first 2 shown]
	s_nop 0
	global_load_dword v10, v[10:11], off offset:4
	v_add_u32_e32 v2, v57, v159
	v_mad_u64_u32 v[6:7], s[0:1], v113, 36, s[2:3]
	v_mad_i64_i32 v[2:3], s[0:1], v2, 36, v[29:30]
	v_add_u32_e32 v4, v57, v160
	v_mad_i64_i32 v[4:5], s[0:1], v4, 36, v[29:30]
	v_add_u32_e32 v8, v57, v161
	v_mad_i64_i32 v[8:9], s[0:1], v8, 36, v[29:30]
	global_load_dword v6, v[6:7], off
	s_nop 0
	global_load_dword v2, v[2:3], off offset:4
	s_nop 0
	global_load_dword v3, v[4:5], off offset:4
	;; [unrolled: 2-line block ×3, first 2 shown]
	v_lshlrev_b16_sdwa v7, v188, v16 dst_sel:DWORD dst_unused:UNUSED_PAD src0_sel:DWORD src1_sel:WORD_1
	v_and_b32_sdwa v5, v16, s16 dst_sel:DWORD dst_unused:UNUSED_PAD src0_sel:WORD_1 src1_sel:DWORD
	v_add_u16_e32 v7, 0xe000, v7
	v_or_b32_sdwa v5, v5, v7 dst_sel:DWORD dst_unused:UNUSED_PAD src0_sel:DWORD src1_sel:BYTE_1
	v_add_u16_sdwa v5, v5, s17 dst_sel:WORD_1 dst_unused:UNUSED_PAD src0_sel:DWORD src1_sel:DWORD
	v_or_b32_e32 v5, v17, v5
	s_waitcnt vmcnt(14)
	v_ashrrev_i32_e32 v8, v121, v13
	ds_write2_b32 v138, v15, v5 offset1:16
	v_and_b32_e32 v5, 0xf0f0f0f, v12
	v_lshlrev_b32_e32 v9, 4, v8
	v_and_or_b32 v5, v9, s15, v5
	v_lshlrev_b16_e32 v11, 8, v5
	v_and_b32_e32 v9, 0x3f00, v5
	v_add_u16_e32 v11, 0xe000, v11
	v_or_b32_sdwa v9, v9, v11 dst_sel:DWORD dst_unused:UNUSED_PAD src0_sel:DWORD src1_sel:BYTE_1
	v_and_b32_sdwa v11, v5, s16 dst_sel:DWORD dst_unused:UNUSED_PAD src0_sel:WORD_1 src1_sel:DWORD
	v_lshlrev_b16_sdwa v5, v188, v5 dst_sel:DWORD dst_unused:UNUSED_PAD src0_sel:DWORD src1_sel:WORD_1
	v_lshrrev_b32_e32 v7, 4, v12
	v_add_u16_e32 v5, 0xe000, v5
	v_and_b32_e32 v7, 0xf0f0f0f, v7
	v_or_b32_sdwa v5, v11, v5 dst_sel:DWORD dst_unused:UNUSED_PAD src0_sel:DWORD src1_sel:BYTE_1
	v_add_u16_e32 v9, 0xe000, v9
	v_add_u16_sdwa v5, v5, s17 dst_sel:WORD_1 dst_unused:UNUSED_PAD src0_sel:DWORD src1_sel:DWORD
	v_and_or_b32 v7, v8, s15, v7
	v_or_b32_e32 v5, v9, v5
	v_lshlrev_b16_e32 v9, 8, v7
	v_and_b32_e32 v8, 0x3f00, v7
	v_add_u16_e32 v9, 0xe000, v9
	v_or_b32_sdwa v8, v8, v9 dst_sel:DWORD dst_unused:UNUSED_PAD src0_sel:DWORD src1_sel:BYTE_1
	v_and_b32_sdwa v9, v7, s16 dst_sel:DWORD dst_unused:UNUSED_PAD src0_sel:WORD_1 src1_sel:DWORD
	v_lshlrev_b16_sdwa v7, v188, v7 dst_sel:DWORD dst_unused:UNUSED_PAD src0_sel:DWORD src1_sel:WORD_1
	v_add_u16_e32 v7, 0xe000, v7
	v_or_b32_sdwa v7, v9, v7 dst_sel:DWORD dst_unused:UNUSED_PAD src0_sel:DWORD src1_sel:BYTE_1
	v_add_u16_e32 v8, 0xe000, v8
	v_add_u16_sdwa v7, v7, s17 dst_sel:WORD_1 dst_unused:UNUSED_PAD src0_sel:DWORD src1_sel:DWORD
	v_or_b32_e32 v7, v8, v7
	s_waitcnt vmcnt(12)
	v_ashrrev_i32_e32 v8, v121, v54
	ds_write2_b32 v140, v5, v7 offset1:16
	v_and_b32_e32 v5, 0xf0f0f0f, v14
	v_lshlrev_b32_e32 v9, 4, v8
	v_and_or_b32 v5, v9, s15, v5
	v_lshlrev_b16_e32 v11, 8, v5
	v_and_b32_e32 v9, 0x3f00, v5
	v_add_u16_e32 v11, 0xe000, v11
	v_or_b32_sdwa v9, v9, v11 dst_sel:DWORD dst_unused:UNUSED_PAD src0_sel:DWORD src1_sel:BYTE_1
	v_and_b32_sdwa v11, v5, s16 dst_sel:DWORD dst_unused:UNUSED_PAD src0_sel:WORD_1 src1_sel:DWORD
	v_lshlrev_b16_sdwa v5, v188, v5 dst_sel:DWORD dst_unused:UNUSED_PAD src0_sel:DWORD src1_sel:WORD_1
	v_lshrrev_b32_e32 v7, 4, v14
	v_add_u16_e32 v5, 0xe000, v5
	v_and_b32_e32 v7, 0xf0f0f0f, v7
	v_or_b32_sdwa v5, v11, v5 dst_sel:DWORD dst_unused:UNUSED_PAD src0_sel:DWORD src1_sel:BYTE_1
	v_add_u16_e32 v9, 0xe000, v9
	v_add_u16_sdwa v5, v5, s17 dst_sel:WORD_1 dst_unused:UNUSED_PAD src0_sel:DWORD src1_sel:DWORD
	v_and_or_b32 v7, v8, s15, v7
	v_or_b32_e32 v5, v9, v5
	v_lshlrev_b16_e32 v9, 8, v7
	v_and_b32_e32 v8, 0x3f00, v7
	v_add_u16_e32 v9, 0xe000, v9
	v_or_b32_sdwa v8, v8, v9 dst_sel:DWORD dst_unused:UNUSED_PAD src0_sel:DWORD src1_sel:BYTE_1
	v_and_b32_sdwa v9, v7, s16 dst_sel:DWORD dst_unused:UNUSED_PAD src0_sel:WORD_1 src1_sel:DWORD
	v_lshlrev_b16_sdwa v7, v188, v7 dst_sel:DWORD dst_unused:UNUSED_PAD src0_sel:DWORD src1_sel:WORD_1
	v_add_u16_e32 v7, 0xe000, v7
	v_or_b32_sdwa v7, v9, v7 dst_sel:DWORD dst_unused:UNUSED_PAD src0_sel:DWORD src1_sel:BYTE_1
	s_waitcnt vmcnt(11)
	v_cvt_f32_f16_e32 v9, v53
	v_add_u16_e32 v8, 0xe000, v8
	v_add_u16_sdwa v7, v7, s17 dst_sel:WORD_1 dst_unused:UNUSED_PAD src0_sel:DWORD src1_sel:DWORD
	v_or_b32_e32 v7, v8, v7
	ds_write2_b32 v142, v5, v7 offset1:16
	ds_write_b32 v145, v9
	s_waitcnt vmcnt(10)
	ds_write_b32 v148, v55
	s_waitcnt vmcnt(9)
	;; [unrolled: 2-line block ×7, first 2 shown]
	ds_write_b32 v184, v10
	s_mov_b64 s[0:1], -1
	s_waitcnt vmcnt(3)
	v_cvt_f32_f16_e32 v5, v6
	s_waitcnt vmcnt(2)
	ds_write_b32 v185, v2
	s_waitcnt vmcnt(1)
	ds_write_b32 v186, v3
	;; [unrolled: 2-line block ×3, first 2 shown]
	ds_write_b32 v152, v5
	s_waitcnt lgkmcnt(0)
	s_barrier
	ds_read_b32 v114, v162
	ds_read_b32 v115, v164 offset:128
	ds_read_b32 v116, v166 offset:256
	;; [unrolled: 1-line block ×3, first 2 shown]
	s_waitcnt lgkmcnt(3)
	v_mov_b32_e32 v206, v114
	s_waitcnt lgkmcnt(2)
	v_mov_b32_e32 v207, v115
	;; [unrolled: 2-line block ×4, first 2 shown]
.LBB155_6:                              ;   Parent Loop BB155_5 Depth=1
                                        ; =>  This Inner Loop Header: Depth=2
	s_lshl_b32 s19, s20, 1
	v_or_b32_e32 v2, s19, v143
	s_lshr_b32 s21, s20, 1
	s_lshl_b32 s20, s20, 3
	v_lshlrev_b32_e32 v11, 2, v2
	s_add_i32 s21, s21, 0xa200
	v_lshlrev_b32_e32 v200, 2, v153
	v_lshlrev_b32_e32 v201, 2, v151
	v_add_u32_e32 v12, s20, v176
	ds_read_b128 v[3:6], v11 offset:33280
	ds_read_b128 v[7:10], v11 offset:33296
	;; [unrolled: 1-line block ×4, first 2 shown]
	v_add3_u32 v11, s21, v200, v201
	ds_read2_b32 v[99:100], v12 offset0:6 offset1:7
	ds_read2_b32 v[103:104], v12 offset0:4 offset1:5
	;; [unrolled: 1-line block ×3, first 2 shown]
	ds_read2_b32 v[101:102], v12 offset1:1
	ds_read_b32 v13, v11
	ds_read2_b32 v[105:106], v12 offset0:14 offset1:15
	ds_read2_b32 v[109:110], v12 offset0:12 offset1:13
	;; [unrolled: 1-line block ×4, first 2 shown]
	v_lshlrev_b32_e32 v202, 2, v163
	v_add_u32_e32 v12, s20, v177
	v_lshlrev_b32_e32 v203, 2, v165
	s_waitcnt lgkmcnt(2)
	v_dot4_i32_i8 v11, v109, v89, 0
	v_dot4_i32_i8 v11, v110, v90, v11
	v_dot4_i32_i8 v11, v105, v91, v11
	v_dot4_i32_i8 v222, v106, v92, v11
	s_waitcnt lgkmcnt(0)
	v_dot4_i32_i8 v11, v111, v218, 0
	v_dot4_i32_i8 v11, v112, v219, v11
	v_dot4_i32_i8 v11, v107, v220, v11
	v_dot4_i32_i8 v223, v108, v221, v11
	v_dot4_i32_i8 v11, v103, v7, 0
	v_dot4_i32_i8 v11, v104, v8, v11
	v_dot4_i32_i8 v11, v99, v9, v11
	v_dot4_i32_i8 v236, v100, v10, v11
	v_dot4_i32_i8 v11, v101, v3, 0
	v_dot4_i32_i8 v11, v102, v4, v11
	v_dot4_i32_i8 v11, v97, v5, v11
	v_dot4_i32_i8 v237, v98, v6, v11
	v_add3_u32 v11, s21, v202, v197
	ds_read2_b32 v[61:62], v12 offset0:6 offset1:7
	ds_read2_b32 v[63:64], v12 offset0:4 offset1:5
	ds_read2_b32 v[57:58], v12 offset0:2 offset1:3
	ds_read2_b32 v[59:60], v12 offset1:1
	ds_read_b32 v238, v11
	ds_read2_b32 v[73:74], v12 offset0:14 offset1:15
	ds_read2_b32 v[77:78], v12 offset0:12 offset1:13
	;; [unrolled: 1-line block ×4, first 2 shown]
	v_add_u32_e32 v12, s20, v178
	v_lshlrev_b32_e32 v204, 2, v167
	v_bfe_i32 v217, v13, 0, 8
	s_waitcnt lgkmcnt(2)
	v_dot4_i32_i8 v11, v77, v89, 0
	v_dot4_i32_i8 v11, v78, v90, v11
	;; [unrolled: 1-line block ×4, first 2 shown]
	s_waitcnt lgkmcnt(0)
	v_dot4_i32_i8 v11, v79, v218, 0
	v_dot4_i32_i8 v11, v80, v219, v11
	;; [unrolled: 1-line block ×12, first 2 shown]
	v_add3_u32 v11, s21, v203, v198
	ds_read2_b32 v[53:54], v12 offset0:6 offset1:7
	ds_read2_b32 v[55:56], v12 offset0:4 offset1:5
	;; [unrolled: 1-line block ×3, first 2 shown]
	ds_read2_b32 v[16:17], v12 offset1:1
	ds_read_b32 v243, v11
	ds_read2_b32 v[65:66], v12 offset0:14 offset1:15
	ds_read2_b32 v[69:70], v12 offset0:12 offset1:13
	;; [unrolled: 1-line block ×4, first 2 shown]
	v_add_u32_e32 v12, s20, v179
	v_lshrrev_b32_e32 v2, 1, v2
	v_bfe_i32 v216, v13, 8, 8
	s_waitcnt lgkmcnt(2)
	v_dot4_i32_i8 v11, v69, v89, 0
	v_dot4_i32_i8 v11, v70, v90, v11
	;; [unrolled: 1-line block ×4, first 2 shown]
	s_waitcnt lgkmcnt(0)
	v_dot4_i32_i8 v11, v71, v218, 0
	v_dot4_i32_i8 v11, v72, v219, v11
	;; [unrolled: 1-line block ×12, first 2 shown]
	v_add3_u32 v11, s21, v204, v199
	ds_read2_b32 v[85:86], v12 offset0:6 offset1:7
	ds_read2_b32 v[87:88], v12 offset0:4 offset1:5
	;; [unrolled: 1-line block ×3, first 2 shown]
	ds_read2_b32 v[83:84], v12 offset1:1
	ds_read_b32 v248, v11
	ds_read2_b32 v[93:94], v12 offset0:14 offset1:15
	ds_read2_b32 v[95:96], v12 offset0:12 offset1:13
	s_waitcnt lgkmcnt(5)
	v_dot4_i32_i8 v7, v87, v7, 0
	s_waitcnt lgkmcnt(3)
	v_dot4_i32_i8 v3, v83, v3, 0
	v_dot4_i32_i8 v3, v84, v4, v3
	;; [unrolled: 1-line block ×3, first 2 shown]
	s_waitcnt lgkmcnt(0)
	v_dot4_i32_i8 v11, v95, v89, 0
	v_dot4_i32_i8 v11, v96, v90, v11
	;; [unrolled: 1-line block ×4, first 2 shown]
	ds_read2_b32 v[89:90], v12 offset0:10 offset1:11
	ds_read2_b32 v[91:92], v12 offset0:8 offset1:9
	v_dot4_i32_i8 v7, v88, v8, v7
	v_dot4_i32_i8 v252, v82, v6, v3
	v_or_b32_e32 v3, s19, v169
	v_dot4_i32_i8 v7, v85, v9, v7
	s_waitcnt lgkmcnt(0)
	v_dot4_i32_i8 v11, v91, v218, 0
	v_dot4_i32_i8 v11, v92, v219, v11
	;; [unrolled: 1-line block ×4, first 2 shown]
	v_lshlrev_b32_e32 v11, 2, v3
	v_dot4_i32_i8 v251, v86, v10, v7
	v_lshrrev_b32_e32 v218, 1, v3
	ds_read_b128 v[3:6], v11 offset:33280
	ds_read_b128 v[7:10], v11 offset:33296
	;; [unrolled: 1-line block ×4, first 2 shown]
	v_ashrrev_i32_e32 v224, 24, v13
	v_bfe_i32 v225, v13, 16, 8
	v_mul_lo_u32 v13, v237, v217
	ds_read_b64 v[234:235], v218 offset:43584
	s_waitcnt lgkmcnt(1)
	v_dot4_i32_i8 v11, v109, v230, 0
	v_dot4_i32_i8 v11, v110, v231, v11
	;; [unrolled: 1-line block ×16, first 2 shown]
	ds_read_b64 v[11:12], v2 offset:43584
	v_mul_lo_u32 v2, v219, v216
	v_mad_u64_u32 v[218:219], s[20:21], v236, v216, v[13:14]
	v_bfe_i32 v213, v238, 0, 8
	v_mad_u64_u32 v[219:220], s[20:21], v220, v217, v[2:3]
	v_cvt_f32_i32_e32 v13, v218
	v_bfe_i32 v212, v238, 8, 8
	v_cvt_f32_i32_e32 v2, v219
	v_bfe_i32 v210, v243, 8, 8
	s_waitcnt lgkmcnt(0)
	v_fma_f32 v236, v11, v13, 0
	v_mul_lo_u32 v13, v221, v224
	v_fma_f32 v237, v234, v2, 0
	v_mul_lo_u32 v2, v223, v225
	v_bfe_i32 v223, v238, 16, 8
	v_mad_u64_u32 v[218:219], s[20:21], v253, v225, v[13:14]
	v_mad_u64_u32 v[219:220], s[20:21], v222, v224, v[2:3]
	v_cvt_f32_i32_e32 v13, v218
	v_ashrrev_i32_e32 v222, 24, v238
	v_cvt_f32_i32_e32 v2, v219
	v_bfe_i32 v211, v243, 0, 8
	v_fmac_f32_e32 v237, v235, v13
	v_dot4_i32_i8 v13, v59, v3, 0
	v_fmac_f32_e32 v236, v12, v2
	v_dot4_i32_i8 v2, v77, v230, 0
	v_dot4_i32_i8 v2, v78, v231, v2
	;; [unrolled: 1-line block ×7, first 2 shown]
	v_fma_f32 v19, v206, v236, v19
	v_dot4_i32_i8 v236, v76, v229, v2
	v_dot4_i32_i8 v2, v63, v7, 0
	;; [unrolled: 1-line block ×8, first 2 shown]
	v_mul_lo_u32 v13, v242, v213
	v_mul_lo_u32 v2, v2, v212
	v_fmac_f32_e32 v18, v114, v237
	v_bfe_i32 v215, v248, 0, 8
	v_mad_u64_u32 v[218:219], s[20:21], v241, v212, v[13:14]
	v_mad_u64_u32 v[219:220], s[20:21], v220, v213, v[2:3]
	v_cvt_f32_i32_e32 v13, v218
	v_bfe_i32 v214, v248, 8, 8
	v_cvt_f32_i32_e32 v2, v219
	s_and_b64 vcc, exec, s[0:1]
	v_fma_f32 v237, v11, v13, 0
	v_mul_lo_u32 v13, v221, v222
	v_fma_f32 v238, v234, v2, 0
	v_mul_lo_u32 v2, v240, v223
	v_bfe_i32 v221, v243, 16, 8
	v_mad_u64_u32 v[218:219], s[20:21], v236, v223, v[13:14]
	v_mad_u64_u32 v[219:220], s[20:21], v239, v222, v[2:3]
	v_cvt_f32_i32_e32 v13, v218
	v_ashrrev_i32_e32 v220, 24, v243
	v_cvt_f32_i32_e32 v2, v219
	s_mov_b64 s[0:1], 0
	v_fmac_f32_e32 v238, v235, v13
	v_fmac_f32_e32 v47, v115, v238
	;; [unrolled: 1-line block ×3, first 2 shown]
	v_dot4_i32_i8 v2, v69, v230, 0
	v_dot4_i32_i8 v2, v70, v231, v2
	;; [unrolled: 1-line block ×13, first 2 shown]
	v_mul_lo_u32 v2, v2, v210
	v_dot4_i32_i8 v13, v17, v4, v13
	v_dot4_i32_i8 v13, v14, v5, v13
	;; [unrolled: 1-line block ×3, first 2 shown]
	v_mul_lo_u32 v13, v247, v211
	v_fma_f32 v48, v207, v237, v48
	v_mad_u64_u32 v[236:237], s[20:21], v236, v211, v[2:3]
	v_mad_u64_u32 v[218:219], s[20:21], v246, v210, v[13:14]
	v_cvt_f32_i32_e32 v2, v236
	v_cvt_f32_i32_e32 v13, v218
	v_fma_f32 v241, v234, v2, 0
	v_mul_lo_u32 v2, v245, v221
	v_fma_f32 v240, v11, v13, 0
	v_mul_lo_u32 v13, v238, v220
	v_mad_u64_u32 v[236:237], s[20:21], v244, v220, v[2:3]
	v_mad_u64_u32 v[218:219], s[20:21], v239, v221, v[13:14]
	v_cvt_f32_i32_e32 v2, v236
	v_dot4_i32_i8 v3, v83, v3, 0
	v_cvt_f32_i32_e32 v13, v218
	v_dot4_i32_i8 v3, v84, v4, v3
	v_fmac_f32_e32 v240, v12, v2
	v_dot4_i32_i8 v2, v95, v230, 0
	v_dot4_i32_i8 v2, v96, v231, v2
	;; [unrolled: 1-line block ×3, first 2 shown]
	v_fmac_f32_e32 v241, v235, v13
	v_dot4_i32_i8 v13, v94, v233, v2
	v_dot4_i32_i8 v2, v91, v226, 0
	;; [unrolled: 1-line block ×8, first 2 shown]
	v_mul_lo_u32 v3, v252, v215
	v_dot4_i32_i8 v2, v88, v8, v2
	v_dot4_i32_i8 v2, v85, v9, v2
	;; [unrolled: 1-line block ×3, first 2 shown]
	v_mul_lo_u32 v2, v2, v214
	v_mad_u64_u32 v[3:4], s[20:21], v251, v214, v[3:4]
	v_ashrrev_i32_e32 v218, 24, v248
	v_bfe_i32 v219, v248, 16, 8
	v_mad_u64_u32 v[4:5], s[20:21], v5, v215, v[2:3]
	v_cvt_f32_i32_e32 v3, v3
	v_fma_f32 v50, v208, v240, v50
	v_cvt_f32_i32_e32 v2, v4
	v_fmac_f32_e32 v49, v116, v241
	v_fma_f32 v6, v11, v3, 0
	v_mul_lo_u32 v3, v13, v218
	v_fma_f32 v7, v234, v2, 0
	v_mul_lo_u32 v2, v250, v219
	v_mad_u64_u32 v[3:4], s[20:21], v226, v219, v[3:4]
	v_mad_u64_u32 v[4:5], s[20:21], v249, v218, v[2:3]
	v_cvt_f32_i32_e32 v3, v3
	v_cvt_f32_i32_e32 v2, v4
	v_fmac_f32_e32 v7, v235, v3
	v_fmac_f32_e32 v51, v205, v7
	;; [unrolled: 1-line block ×3, first 2 shown]
	v_or_b32_e32 v2, s19, v170
	v_lshlrev_b32_e32 v226, 2, v2
	v_fma_f32 v52, v209, v6, v52
	v_lshrrev_b32_e32 v230, 1, v2
	ds_read_b128 v[2:5], v226 offset:33280
	ds_read_b128 v[6:9], v226 offset:33296
	;; [unrolled: 1-line block ×4, first 2 shown]
	s_waitcnt lgkmcnt(0)
	v_dot4_i32_i8 v231, v109, v226, 0
	v_dot4_i32_i8 v231, v110, v227, v231
	;; [unrolled: 1-line block ×57, first 2 shown]
	v_or_b32_e32 v2, s19, v171
	v_dot4_i32_i8 v231, v14, v4, v231
	v_dot4_i32_i8 v248, v94, v229, v226
	;; [unrolled: 1-line block ×4, first 2 shown]
	v_lshlrev_b32_e32 v226, 2, v2
	v_dot4_i32_i8 v247, v15, v5, v231
	v_dot4_i32_i8 v249, v90, v13, v10
	;; [unrolled: 1-line block ×3, first 2 shown]
	v_lshrrev_b32_e32 v232, 1, v2
	ds_read_b128 v[2:5], v226 offset:33280
	ds_read_b128 v[6:9], v226 offset:33296
	ds_read_b128 v[10:13], v226 offset:33312
	ds_read_b128 v[226:229], v226 offset:33328
	v_mul_lo_u32 v235, v235, v217
	s_waitcnt lgkmcnt(0)
	v_dot4_i32_i8 v231, v109, v226, 0
	v_dot4_i32_i8 v231, v110, v227, v231
	;; [unrolled: 1-line block ×13, first 2 shown]
	v_mul_lo_u32 v234, v234, v216
	v_mad_u64_u32 v[235:236], s[20:21], v236, v216, v[235:236]
	v_dot4_i32_i8 v231, v102, v3, v231
	v_dot4_i32_i8 v231, v97, v4, v231
	;; [unrolled: 1-line block ×3, first 2 shown]
	ds_read_b64 v[230:231], v230 offset:43584
	ds_read_b64 v[232:233], v232 offset:43584
	v_mad_u64_u32 v[236:237], s[20:21], v237, v217, v[234:235]
	v_cvt_f32_i32_e32 v235, v235
	v_cvt_f32_i32_e32 v234, v236
	s_waitcnt lgkmcnt(1)
	v_fma_f32 v254, v230, v235, 0
	v_mul_lo_u32 v235, v252, v224
	s_waitcnt lgkmcnt(0)
	v_fma_f32 v255, v232, v234, 0
	v_mul_lo_u32 v234, v239, v225
	v_mad_u64_u32 v[235:236], s[20:21], v253, v225, v[235:236]
	v_mad_u64_u32 v[236:237], s[20:21], v238, v224, v[234:235]
	v_cvt_f32_i32_e32 v235, v235
	v_cvt_f32_i32_e32 v234, v236
	v_fmac_f32_e32 v255, v233, v235
	v_dot4_i32_i8 v235, v59, v2, 0
	v_fmac_f32_e32 v254, v231, v234
	v_dot4_i32_i8 v234, v77, v226, 0
	v_dot4_i32_i8 v234, v78, v227, v234
	;; [unrolled: 1-line block ×12, first 2 shown]
	v_mul_lo_u32 v235, v243, v213
	v_dot4_i32_i8 v234, v64, v7, v234
	v_dot4_i32_i8 v234, v61, v8, v234
	v_dot4_i32_i8 v234, v62, v9, v234
	v_mul_lo_u32 v234, v234, v212
	v_mad_u64_u32 v[235:236], s[20:21], v242, v212, v[235:236]
	v_fma_f32 v40, v206, v254, v40
	v_fmac_f32_e32 v39, v114, v255
	v_mad_u64_u32 v[236:237], s[20:21], v237, v213, v[234:235]
	v_cvt_f32_i32_e32 v235, v235
	v_cvt_f32_i32_e32 v234, v236
	v_fma_f32 v242, v230, v235, 0
	v_mul_lo_u32 v235, v238, v222
	v_fma_f32 v243, v232, v234, 0
	v_mul_lo_u32 v234, v241, v223
	v_mad_u64_u32 v[235:236], s[20:21], v239, v223, v[235:236]
	v_mad_u64_u32 v[236:237], s[20:21], v240, v222, v[234:235]
	v_cvt_f32_i32_e32 v235, v235
	v_cvt_f32_i32_e32 v234, v236
	v_fmac_f32_e32 v243, v233, v235
	v_dot4_i32_i8 v235, v16, v2, 0
	v_fmac_f32_e32 v242, v231, v234
	v_dot4_i32_i8 v234, v69, v226, 0
	v_dot4_i32_i8 v234, v70, v227, v234
	;; [unrolled: 1-line block ×13, first 2 shown]
	v_mul_lo_u32 v3, v251, v215
	v_dot4_i32_i8 v6, v88, v7, v6
	v_dot4_i32_i8 v6, v85, v8, v6
	;; [unrolled: 1-line block ×7, first 2 shown]
	v_mul_lo_u32 v2, v6, v214
	v_mad_u64_u32 v[3:4], s[20:21], v250, v214, v[3:4]
	v_mul_lo_u32 v235, v247, v211
	v_dot4_i32_i8 v234, v56, v7, v234
	v_dot4_i32_i8 v226, v95, v226, 0
	v_mad_u64_u32 v[4:5], s[20:21], v5, v215, v[2:3]
	v_cvt_f32_i32_e32 v3, v3
	v_dot4_i32_i8 v234, v53, v8, v234
	v_dot4_i32_i8 v226, v96, v227, v226
	;; [unrolled: 1-line block ×4, first 2 shown]
	v_mul_lo_u32 v234, v234, v210
	v_mad_u64_u32 v[235:236], s[20:21], v246, v210, v[235:236]
	v_dot4_i32_i8 v226, v94, v229, v226
	v_dot4_i32_i8 v10, v91, v10, 0
	v_cvt_f32_i32_e32 v2, v4
	v_fma_f32 v6, v230, v3, 0
	v_mul_lo_u32 v3, v226, v218
	v_dot4_i32_i8 v10, v92, v11, v10
	v_dot4_i32_i8 v10, v89, v12, v10
	v_mad_u64_u32 v[236:237], s[20:21], v237, v211, v[234:235]
	v_cvt_f32_i32_e32 v235, v235
	v_dot4_i32_i8 v10, v90, v13, v10
	v_fma_f32 v7, v232, v2, 0
	v_mul_lo_u32 v2, v249, v219
	v_mad_u64_u32 v[3:4], s[20:21], v10, v219, v[3:4]
	v_cvt_f32_i32_e32 v234, v236
	v_fma_f32 v240, v230, v235, 0
	v_mul_lo_u32 v235, v238, v220
	v_mad_u64_u32 v[4:5], s[20:21], v248, v218, v[2:3]
	v_fma_f32 v241, v232, v234, 0
	v_mul_lo_u32 v234, v245, v221
	v_mad_u64_u32 v[235:236], s[20:21], v239, v221, v[235:236]
	v_cvt_f32_i32_e32 v2, v4
	v_cvt_f32_i32_e32 v3, v3
	v_mad_u64_u32 v[236:237], s[20:21], v244, v220, v[234:235]
	v_fmac_f32_e32 v6, v231, v2
	v_or_b32_e32 v2, s19, v172
	v_fmac_f32_e32 v7, v233, v3
	v_lshlrev_b32_e32 v226, 2, v2
	v_fma_f32 v46, v209, v6, v46
	v_fmac_f32_e32 v45, v205, v7
	v_lshrrev_b32_e32 v230, 1, v2
	ds_read_b128 v[2:5], v226 offset:33280
	ds_read_b128 v[6:9], v226 offset:33296
	;; [unrolled: 1-line block ×4, first 2 shown]
	v_cvt_f32_i32_e32 v234, v236
	v_cvt_f32_i32_e32 v235, v235
	v_fma_f32 v42, v207, v242, v42
	v_fmac_f32_e32 v41, v115, v243
	v_fmac_f32_e32 v240, v231, v234
	s_waitcnt lgkmcnt(0)
	v_dot4_i32_i8 v231, v109, v226, 0
	v_dot4_i32_i8 v231, v110, v227, v231
	;; [unrolled: 1-line block ×15, first 2 shown]
	v_fmac_f32_e32 v241, v233, v235
	v_dot4_i32_i8 v235, v98, v5, v231
	v_dot4_i32_i8 v231, v77, v226, 0
	;; [unrolled: 1-line block ×4, first 2 shown]
	v_fma_f32 v44, v208, v240, v44
	v_dot4_i32_i8 v240, v74, v229, v231
	v_dot4_i32_i8 v231, v79, v10, 0
	;; [unrolled: 1-line block ×4, first 2 shown]
	v_fmac_f32_e32 v43, v116, v241
	v_dot4_i32_i8 v241, v76, v13, v231
	v_dot4_i32_i8 v231, v63, v6, 0
	;; [unrolled: 1-line block ×34, first 2 shown]
	v_or_b32_e32 v2, s19, v173
	v_dot4_i32_i8 v231, v14, v4, v231
	v_dot4_i32_i8 v248, v94, v229, v226
	v_dot4_i32_i8 v10, v89, v12, v10
	v_dot4_i32_i8 v6, v85, v8, v6
	v_lshlrev_b32_e32 v226, 2, v2
	v_dot4_i32_i8 v247, v15, v5, v231
	v_dot4_i32_i8 v249, v90, v13, v10
	;; [unrolled: 1-line block ×3, first 2 shown]
	v_lshrrev_b32_e32 v232, 1, v2
	ds_read_b128 v[2:5], v226 offset:33280
	ds_read_b128 v[6:9], v226 offset:33296
	;; [unrolled: 1-line block ×4, first 2 shown]
	v_mul_lo_u32 v235, v235, v217
	s_waitcnt lgkmcnt(0)
	v_dot4_i32_i8 v231, v109, v226, 0
	v_dot4_i32_i8 v231, v110, v227, v231
	;; [unrolled: 1-line block ×13, first 2 shown]
	v_mul_lo_u32 v234, v234, v216
	v_mad_u64_u32 v[235:236], s[20:21], v236, v216, v[235:236]
	v_dot4_i32_i8 v231, v102, v3, v231
	v_dot4_i32_i8 v231, v97, v4, v231
	;; [unrolled: 1-line block ×3, first 2 shown]
	ds_read_b64 v[230:231], v230 offset:43584
	ds_read_b64 v[232:233], v232 offset:43584
	v_mad_u64_u32 v[236:237], s[20:21], v237, v217, v[234:235]
	v_cvt_f32_i32_e32 v235, v235
	v_cvt_f32_i32_e32 v234, v236
	s_waitcnt lgkmcnt(1)
	v_fma_f32 v254, v230, v235, 0
	v_mul_lo_u32 v235, v252, v224
	s_waitcnt lgkmcnt(0)
	v_fma_f32 v255, v232, v234, 0
	v_mul_lo_u32 v234, v239, v225
	v_mad_u64_u32 v[235:236], s[20:21], v253, v225, v[235:236]
	v_mad_u64_u32 v[236:237], s[20:21], v238, v224, v[234:235]
	v_cvt_f32_i32_e32 v235, v235
	v_cvt_f32_i32_e32 v234, v236
	v_fmac_f32_e32 v255, v233, v235
	v_dot4_i32_i8 v235, v59, v2, 0
	v_fmac_f32_e32 v254, v231, v234
	v_dot4_i32_i8 v234, v77, v226, 0
	v_dot4_i32_i8 v234, v78, v227, v234
	;; [unrolled: 1-line block ×12, first 2 shown]
	v_mul_lo_u32 v235, v243, v213
	v_dot4_i32_i8 v234, v64, v7, v234
	v_dot4_i32_i8 v234, v61, v8, v234
	;; [unrolled: 1-line block ×3, first 2 shown]
	v_mul_lo_u32 v234, v234, v212
	v_mad_u64_u32 v[235:236], s[20:21], v242, v212, v[235:236]
	v_fma_f32 v32, v206, v254, v32
	v_fmac_f32_e32 v31, v114, v255
	v_mad_u64_u32 v[236:237], s[20:21], v237, v213, v[234:235]
	v_cvt_f32_i32_e32 v235, v235
	v_cvt_f32_i32_e32 v234, v236
	v_fma_f32 v242, v230, v235, 0
	v_mul_lo_u32 v235, v238, v222
	v_fma_f32 v243, v232, v234, 0
	v_mul_lo_u32 v234, v241, v223
	v_mad_u64_u32 v[235:236], s[20:21], v239, v223, v[235:236]
	v_mad_u64_u32 v[236:237], s[20:21], v240, v222, v[234:235]
	v_cvt_f32_i32_e32 v235, v235
	v_cvt_f32_i32_e32 v234, v236
	v_fmac_f32_e32 v243, v233, v235
	v_dot4_i32_i8 v235, v16, v2, 0
	v_fmac_f32_e32 v242, v231, v234
	v_dot4_i32_i8 v234, v69, v226, 0
	v_dot4_i32_i8 v234, v70, v227, v234
	;; [unrolled: 1-line block ×14, first 2 shown]
	v_mul_lo_u32 v3, v251, v215
	v_dot4_i32_i8 v237, v15, v5, v235
	v_mul_lo_u32 v235, v247, v211
	v_dot4_i32_i8 v6, v88, v7, v6
	v_dot4_i32_i8 v234, v56, v7, v234
	;; [unrolled: 1-line block ×8, first 2 shown]
	v_mul_lo_u32 v2, v6, v214
	v_mad_u64_u32 v[3:4], s[20:21], v250, v214, v[3:4]
	v_mul_lo_u32 v234, v234, v210
	v_mad_u64_u32 v[235:236], s[20:21], v246, v210, v[235:236]
	v_dot4_i32_i8 v226, v95, v226, 0
	v_mad_u64_u32 v[4:5], s[20:21], v5, v215, v[2:3]
	v_cvt_f32_i32_e32 v3, v3
	v_mad_u64_u32 v[236:237], s[20:21], v237, v211, v[234:235]
	v_cvt_f32_i32_e32 v235, v235
	v_dot4_i32_i8 v226, v96, v227, v226
	v_dot4_i32_i8 v226, v93, v228, v226
	;; [unrolled: 1-line block ×4, first 2 shown]
	v_cvt_f32_i32_e32 v2, v4
	v_fma_f32 v6, v230, v3, 0
	v_mul_lo_u32 v3, v226, v218
	v_cvt_f32_i32_e32 v234, v236
	v_fma_f32 v240, v230, v235, 0
	v_mul_lo_u32 v235, v238, v220
	v_dot4_i32_i8 v10, v92, v11, v10
	v_dot4_i32_i8 v10, v89, v12, v10
	;; [unrolled: 1-line block ×3, first 2 shown]
	v_fma_f32 v7, v232, v2, 0
	v_mul_lo_u32 v2, v249, v219
	v_mad_u64_u32 v[3:4], s[20:21], v10, v219, v[3:4]
	v_fma_f32 v241, v232, v234, 0
	v_mul_lo_u32 v234, v245, v221
	v_mad_u64_u32 v[235:236], s[20:21], v239, v221, v[235:236]
	v_mad_u64_u32 v[4:5], s[20:21], v248, v218, v[2:3]
	v_mad_u64_u32 v[236:237], s[20:21], v244, v220, v[234:235]
	v_cvt_f32_i32_e32 v2, v4
	v_cvt_f32_i32_e32 v235, v235
	;; [unrolled: 1-line block ×4, first 2 shown]
	v_fmac_f32_e32 v6, v231, v2
	v_or_b32_e32 v2, s19, v174
	v_fmac_f32_e32 v241, v233, v235
	v_fmac_f32_e32 v240, v231, v234
	;; [unrolled: 1-line block ×3, first 2 shown]
	v_lshlrev_b32_e32 v227, 2, v2
	v_fma_f32 v34, v207, v242, v34
	v_fmac_f32_e32 v33, v115, v243
	v_fma_f32 v36, v208, v240, v36
	v_fmac_f32_e32 v35, v116, v241
	;; [unrolled: 2-line block ×3, first 2 shown]
	v_lshrrev_b32_e32 v226, 1, v2
	ds_read_b128 v[2:5], v227 offset:33280
	ds_read_b128 v[6:9], v227 offset:33296
	;; [unrolled: 1-line block ×4, first 2 shown]
	s_waitcnt lgkmcnt(0)
	v_dot4_i32_i8 v227, v109, v240, 0
	v_dot4_i32_i8 v227, v110, v241, v227
	;; [unrolled: 1-line block ×52, first 2 shown]
	v_or_b32_e32 v3, s19, v175
	v_dot4_i32_i8 v227, v93, v242, v227
	v_dot4_i32_i8 v2, v81, v4, v2
	v_lshlrev_b32_e32 v4, 2, v3
	v_dot4_i32_i8 v227, v94, v243, v227
	ds_read_b128 v[240:243], v4 offset:33280
	ds_read_b128 v[244:247], v4 offset:33296
	;; [unrolled: 1-line block ×4, first 2 shown]
	v_dot4_i32_i8 v2, v82, v5, v2
	v_lshrrev_b32_e32 v5, 1, v3
	v_dot4_i32_i8 v6, v87, v6, 0
	v_dot4_i32_i8 v6, v88, v7, v6
	s_waitcnt lgkmcnt(0)
	v_dot4_i32_i8 v3, v109, v252, 0
	v_dot4_i32_i8 v3, v110, v253, v3
	v_dot4_i32_i8 v3, v105, v254, v3
	v_dot4_i32_i8 v105, v106, v255, v3
	v_dot4_i32_i8 v3, v111, v248, 0
	v_dot4_i32_i8 v3, v112, v249, v3
	v_dot4_i32_i8 v3, v107, v250, v3
	v_dot4_i32_i8 v106, v108, v251, v3
	v_dot4_i32_i8 v3, v103, v244, 0
	v_dot4_i32_i8 v3, v104, v245, v3
	v_dot4_i32_i8 v6, v85, v8, v6
	v_dot4_i32_i8 v3, v99, v246, v3
	v_dot4_i32_i8 v10, v91, v10, 0
	v_dot4_i32_i8 v6, v86, v9, v6
	v_dot4_i32_i8 v9, v100, v247, v3
	v_dot4_i32_i8 v3, v101, v240, 0
	v_dot4_i32_i8 v10, v92, v11, v10
	v_dot4_i32_i8 v3, v102, v241, v3
	v_dot4_i32_i8 v10, v89, v12, v10
	v_dot4_i32_i8 v3, v97, v242, v3
	v_dot4_i32_i8 v10, v90, v13, v10
	v_dot4_i32_i8 v13, v98, v243, v3
	ds_read_b64 v[3:4], v226 offset:43584
	ds_read_b64 v[7:8], v5 offset:43584
	v_mul_lo_u32 v5, v9, v216
	v_mul_lo_u32 v9, v239, v217
	v_mul_lo_u32 v2, v2, v215
	v_mad_u64_u32 v[11:12], s[20:21], v238, v216, v[9:10]
	v_mad_u64_u32 v[12:13], s[20:21], v13, v217, v[5:6]
	v_cvt_f32_i32_e32 v9, v11
	v_cvt_f32_i32_e32 v5, v12
	s_waitcnt lgkmcnt(1)
	v_fma_f32 v97, v3, v9, 0
	v_mul_lo_u32 v9, v105, v224
	s_waitcnt lgkmcnt(0)
	v_fma_f32 v98, v7, v5, 0
	v_mul_lo_u32 v5, v237, v225
	v_mad_u64_u32 v[11:12], s[20:21], v106, v225, v[9:10]
	v_mad_u64_u32 v[12:13], s[20:21], v236, v224, v[5:6]
	v_cvt_f32_i32_e32 v9, v11
	v_cvt_f32_i32_e32 v5, v12
	v_fmac_f32_e32 v98, v8, v9
	v_dot4_i32_i8 v9, v59, v240, 0
	v_fmac_f32_e32 v97, v4, v5
	v_dot4_i32_i8 v5, v77, v252, 0
	v_dot4_i32_i8 v5, v78, v253, v5
	;; [unrolled: 1-line block ×15, first 2 shown]
	v_mul_lo_u32 v9, v235, v213
	v_mul_lo_u32 v5, v5, v212
	v_fma_f32 v22, v206, v97, v22
	v_fmac_f32_e32 v21, v114, v98
	v_mad_u64_u32 v[11:12], s[20:21], v234, v212, v[9:10]
	v_mad_u64_u32 v[12:13], s[20:21], v13, v213, v[5:6]
	v_cvt_f32_i32_e32 v9, v11
	v_cvt_f32_i32_e32 v5, v12
	v_fma_f32 v57, v3, v9, 0
	v_mul_lo_u32 v9, v73, v222
	v_fma_f32 v58, v7, v5, 0
	v_mul_lo_u32 v5, v233, v223
	v_mad_u64_u32 v[11:12], s[20:21], v74, v223, v[9:10]
	v_mad_u64_u32 v[12:13], s[20:21], v232, v222, v[5:6]
	v_cvt_f32_i32_e32 v9, v11
	v_cvt_f32_i32_e32 v5, v12
	v_fmac_f32_e32 v58, v8, v9
	v_fmac_f32_e32 v23, v115, v58
	;; [unrolled: 1-line block ×3, first 2 shown]
	v_dot4_i32_i8 v5, v69, v252, 0
	v_dot4_i32_i8 v5, v70, v253, v5
	;; [unrolled: 1-line block ×3, first 2 shown]
	v_fma_f32 v24, v207, v57, v24
	v_dot4_i32_i8 v57, v66, v255, v5
	v_dot4_i32_i8 v5, v71, v248, 0
	;; [unrolled: 1-line block ×13, first 2 shown]
	v_mul_lo_u32 v9, v231, v211
	v_mul_lo_u32 v5, v5, v210
	v_mad_u64_u32 v[11:12], s[20:21], v230, v210, v[9:10]
	v_mad_u64_u32 v[12:13], s[20:21], v13, v211, v[5:6]
	v_cvt_f32_i32_e32 v9, v11
	v_cvt_f32_i32_e32 v5, v12
	v_fma_f32 v14, v3, v9, 0
	v_mul_lo_u32 v9, v57, v220
	v_fma_f32 v15, v7, v5, 0
	v_mul_lo_u32 v5, v229, v221
	v_mad_u64_u32 v[11:12], s[20:21], v58, v221, v[9:10]
	v_mad_u64_u32 v[12:13], s[20:21], v228, v220, v[5:6]
	v_cvt_f32_i32_e32 v9, v11
	v_dot4_i32_i8 v11, v83, v240, 0
	v_cvt_f32_i32_e32 v5, v12
	v_dot4_i32_i8 v11, v84, v241, v11
	v_fmac_f32_e32 v15, v8, v9
	v_dot4_i32_i8 v11, v81, v242, v11
	v_fmac_f32_e32 v14, v4, v5
	v_dot4_i32_i8 v5, v95, v252, 0
	v_dot4_i32_i8 v5, v96, v253, v5
	v_dot4_i32_i8 v5, v93, v254, v5
	v_dot4_i32_i8 v9, v94, v255, v5
	v_dot4_i32_i8 v5, v91, v248, 0
	v_dot4_i32_i8 v5, v92, v249, v5
	v_dot4_i32_i8 v5, v89, v250, v5
	v_dot4_i32_i8 v13, v90, v251, v5
	v_dot4_i32_i8 v5, v87, v244, 0
	v_dot4_i32_i8 v5, v88, v245, v5
	v_dot4_i32_i8 v5, v85, v246, v5
	v_dot4_i32_i8 v5, v86, v247, v5
	v_mul_lo_u32 v5, v5, v214
	v_fma_f32 v26, v208, v14, v26
	v_dot4_i32_i8 v14, v82, v243, v11
	v_mad_u64_u32 v[11:12], s[20:21], v6, v214, v[2:3]
	v_mad_u64_u32 v[5:6], s[20:21], v14, v215, v[5:6]
	v_fmac_f32_e32 v25, v116, v15
	v_cvt_f32_i32_e32 v2, v5
	v_cvt_f32_i32_e32 v5, v11
	v_fma_f32 v7, v7, v2, 0
	v_fma_f32 v11, v3, v5, 0
	v_mul_lo_u32 v2, v10, v219
	v_mul_lo_u32 v3, v9, v218
	v_mad_u64_u32 v[5:6], s[20:21], v13, v219, v[3:4]
	v_mad_u64_u32 v[2:3], s[20:21], v227, v218, v[2:3]
	v_cvt_f32_i32_e32 v3, v5
	s_mov_b32 s20, 8
	v_cvt_f32_i32_e32 v2, v2
	v_fmac_f32_e32 v7, v8, v3
	v_fmac_f32_e32 v27, v205, v7
	v_fmac_f32_e32 v11, v4, v2
	v_fma_f32 v28, v209, v11, v28
	s_cbranch_vccnz .LBB155_6
; %bb.7:                                ;   in Loop: Header=BB155_5 Depth=1
	v_add_u32_e32 v53, s18, v163
	v_add_u32_e32 v16, 4, v113
	;; [unrolled: 1-line block ×3, first 2 shown]
	v_mad_u64_u32 v[16:17], s[0:1], v16, 36, s[2:3]
	v_mad_i64_i32 v[2:3], s[0:1], v2, 36, v[29:30]
	v_add_u32_e32 v4, v53, v155
	v_mad_i64_i32 v[4:5], s[0:1], v4, 36, v[29:30]
	v_add_u32_e32 v6, v53, v156
	v_add_u32_e32 v8, v53, v157
	v_mad_i64_i32 v[6:7], s[0:1], v6, 36, v[29:30]
	v_mad_i64_i32 v[8:9], s[0:1], v8, 36, v[29:30]
	v_add_u32_e32 v10, v53, v158
	v_add_u32_e32 v12, v53, v159
	;; [unrolled: 1-line block ×4, first 2 shown]
	s_barrier
	v_mad_i64_i32 v[10:11], s[0:1], v10, 36, v[29:30]
	v_mad_i64_i32 v[12:13], s[0:1], v12, 36, v[29:30]
	;; [unrolled: 1-line block ×4, first 2 shown]
	global_load_dword v16, v[16:17], off
	s_nop 0
	global_load_dword v2, v[2:3], off offset:4
	s_nop 0
	global_load_dword v3, v[4:5], off offset:4
	;; [unrolled: 2-line block ×3, first 2 shown]
	global_load_dword v5, v[8:9], off offset:4
	s_nop 0
	global_load_dword v6, v[10:11], off offset:4
	global_load_dword v7, v[12:13], off offset:4
	;; [unrolled: 1-line block ×4, first 2 shown]
	s_mov_b32 s0, 16
	s_waitcnt vmcnt(8)
	v_cvt_f32_f16_e32 v10, v16
	s_waitcnt vmcnt(7)
	ds_write_b32 v180, v2
	s_waitcnt vmcnt(6)
	ds_write_b32 v181, v3
	;; [unrolled: 2-line block ×8, first 2 shown]
	ds_write_b32 v152, v10
	s_waitcnt lgkmcnt(0)
	s_barrier
	ds_read_b32 v205, v162
	ds_read_b32 v206, v164 offset:128
	ds_read_b32 v207, v166 offset:256
	;; [unrolled: 1-line block ×3, first 2 shown]
	s_waitcnt lgkmcnt(3)
	v_mov_b32_e32 v209, v205
	s_waitcnt lgkmcnt(2)
	v_mov_b32_e32 v210, v206
	;; [unrolled: 2-line block ×4, first 2 shown]
.LBB155_8:                              ;   Parent Loop BB155_5 Depth=1
                                        ; =>  This Inner Loop Header: Depth=2
	s_lshl_b32 s1, s0, 1
	s_and_b32 s1, s1, 16
	v_or_b32_e32 v2, s1, v143
	v_lshlrev_b32_e32 v15, 2, v2
	s_lshl_b32 s18, s0, 3
	ds_read_b128 v[3:6], v15 offset:33280
	ds_read_b128 v[7:10], v15 offset:33296
	;; [unrolled: 1-line block ×4, first 2 shown]
	v_add_u32_e32 v15, s18, v176
	ds_read2_b32 v[103:104], v15 offset0:6 offset1:7
	ds_read2_b32 v[107:108], v15 offset0:4 offset1:5
	;; [unrolled: 1-line block ×3, first 2 shown]
	ds_read2_b32 v[105:106], v15 offset1:1
	ds_read2_b32 v[109:110], v15 offset0:14 offset1:15
	ds_read2_b32 v[113:114], v15 offset0:12 offset1:13
	;; [unrolled: 1-line block ×4, first 2 shown]
	s_lshr_b32 s19, s0, 1
	v_lshrrev_b32_e32 v2, 1, v2
	s_add_i32 s19, s19, 0xa200
	s_waitcnt lgkmcnt(2)
	v_dot4_i32_i8 v16, v113, v97, 0
	s_waitcnt lgkmcnt(0)
	v_dot4_i32_i8 v15, v115, v11, 0
	v_dot4_i32_i8 v15, v116, v12, v15
	;; [unrolled: 1-line block ×12, first 2 shown]
	v_add_u32_e32 v15, s18, v177
	ds_read2_b32 v[69:70], v15 offset0:6 offset1:7
	ds_read2_b32 v[73:74], v15 offset0:4 offset1:5
	;; [unrolled: 1-line block ×3, first 2 shown]
	ds_read2_b32 v[65:66], v15 offset1:1
	ds_read2_b32 v[83:84], v15 offset0:14 offset1:15
	ds_read2_b32 v[85:86], v15 offset0:12 offset1:13
	;; [unrolled: 1-line block ×4, first 2 shown]
	v_dot4_i32_i8 v16, v114, v98, v16
	v_dot4_i32_i8 v16, v109, v99, v16
	;; [unrolled: 1-line block ×3, first 2 shown]
	s_waitcnt lgkmcnt(2)
	v_dot4_i32_i8 v16, v85, v97, 0
	s_waitcnt lgkmcnt(0)
	v_dot4_i32_i8 v15, v81, v11, 0
	v_dot4_i32_i8 v15, v82, v12, v15
	;; [unrolled: 1-line block ×12, first 2 shown]
	v_add_u32_e32 v15, s18, v178
	ds_read2_b32 v[59:60], v15 offset0:6 offset1:7
	ds_read2_b32 v[61:62], v15 offset0:4 offset1:5
	;; [unrolled: 1-line block ×3, first 2 shown]
	ds_read2_b32 v[57:58], v15 offset1:1
	ds_read2_b32 v[75:76], v15 offset0:14 offset1:15
	ds_read2_b32 v[77:78], v15 offset0:12 offset1:13
	;; [unrolled: 1-line block ×4, first 2 shown]
	v_dot4_i32_i8 v16, v86, v98, v16
	v_dot4_i32_i8 v16, v83, v99, v16
	v_dot4_i32_i8 v231, v84, v100, v16
	s_waitcnt lgkmcnt(2)
	v_dot4_i32_i8 v16, v77, v97, 0
	s_waitcnt lgkmcnt(0)
	v_dot4_i32_i8 v15, v71, v11, 0
	v_dot4_i32_i8 v15, v72, v12, v15
	;; [unrolled: 1-line block ×12, first 2 shown]
	v_add_u32_e32 v15, s18, v179
	ds_read2_b32 v[53:54], v15 offset0:6 offset1:7
	ds_read2_b32 v[91:92], v15 offset0:4 offset1:5
	;; [unrolled: 1-line block ×3, first 2 shown]
	ds_read2_b32 v[89:90], v15 offset1:1
	ds_read2_b32 v[93:94], v15 offset0:14 offset1:15
	ds_read2_b32 v[95:96], v15 offset0:12 offset1:13
	v_dot4_i32_i8 v16, v78, v98, v16
	v_dot4_i32_i8 v16, v75, v99, v16
	;; [unrolled: 1-line block ×3, first 2 shown]
	s_waitcnt lgkmcnt(2)
	v_dot4_i32_i8 v3, v89, v3, 0
	s_waitcnt lgkmcnt(0)
	v_dot4_i32_i8 v16, v95, v97, 0
	v_dot4_i32_i8 v16, v96, v98, v16
	;; [unrolled: 1-line block ×4, first 2 shown]
	ds_read2_b32 v[97:98], v15 offset0:10 offset1:11
	ds_read2_b32 v[99:100], v15 offset0:8 offset1:9
	v_dot4_i32_i8 v3, v90, v4, v3
	v_dot4_i32_i8 v7, v91, v7, 0
	;; [unrolled: 1-line block ×4, first 2 shown]
	s_waitcnt lgkmcnt(0)
	v_dot4_i32_i8 v11, v99, v11, 0
	v_dot4_i32_i8 v11, v100, v12, v11
	;; [unrolled: 1-line block ×3, first 2 shown]
	v_or_b32_e32 v3, s1, v169
	v_dot4_i32_i8 v11, v97, v13, v11
	v_dot4_i32_i8 v7, v53, v9, v7
	v_lshlrev_b32_e32 v15, 2, v3
	v_dot4_i32_i8 v242, v98, v14, v11
	v_dot4_i32_i8 v243, v54, v10, v7
	v_lshrrev_b32_e32 v219, 1, v3
	ds_read_b128 v[3:6], v15 offset:33280
	ds_read_b128 v[7:10], v15 offset:33296
	ds_read_b128 v[11:14], v15 offset:33312
	ds_read_b128 v[213:216], v15 offset:33328
	v_add3_u32 v17, s19, v200, v201
	v_add3_u32 v222, s19, v202, v197
	;; [unrolled: 1-line block ×4, first 2 shown]
	s_waitcnt lgkmcnt(0)
	v_dot4_i32_i8 v15, v113, v213, 0
	v_dot4_i32_i8 v15, v114, v214, v15
	;; [unrolled: 1-line block ×16, first 2 shown]
	ds_read_b64 v[15:16], v2 offset:43584
	ds_read_b32 v2, v17
	ds_read_b64 v[229:230], v219 offset:43584
	s_waitcnt lgkmcnt(1)
	v_bfe_i32 v227, v2, 0, 8
	v_bfe_i32 v228, v2, 8, 8
	v_mul_lo_u32 v17, v218, v227
	v_ashrrev_i32_e32 v225, 24, v2
	v_bfe_i32 v226, v2, 16, 8
	v_mul_lo_u32 v2, v245, v228
	v_mad_u64_u32 v[217:218], s[18:19], v217, v228, v[17:18]
	v_mad_u64_u32 v[218:219], s[18:19], v246, v227, v[2:3]
	v_cvt_f32_i32_e32 v17, v217
	v_cvt_f32_i32_e32 v2, v218
	v_fma_f32 v245, v15, v17, 0
	v_mul_lo_u32 v17, v223, v225
	s_waitcnt lgkmcnt(0)
	v_fma_f32 v246, v229, v2, 0
	v_mul_lo_u32 v2, v221, v226
	v_mad_u64_u32 v[217:218], s[18:19], v224, v226, v[17:18]
	v_mad_u64_u32 v[218:219], s[18:19], v220, v225, v[2:3]
	v_cvt_f32_i32_e32 v17, v217
	v_cvt_f32_i32_e32 v2, v218
	v_fmac_f32_e32 v246, v230, v17
	v_dot4_i32_i8 v17, v65, v3, 0
	v_fmac_f32_e32 v245, v16, v2
	v_dot4_i32_i8 v2, v85, v213, 0
	v_dot4_i32_i8 v2, v86, v214, v2
	;; [unrolled: 1-line block ×8, first 2 shown]
	ds_read_b32 v17, v222
	v_dot4_i32_i8 v2, v82, v12, v2
	v_dot4_i32_i8 v2, v79, v13, v2
	v_fma_f32 v19, v209, v245, v19
	v_dot4_i32_i8 v245, v80, v14, v2
	v_dot4_i32_i8 v2, v73, v7, 0
	;; [unrolled: 1-line block ×4, first 2 shown]
	s_waitcnt lgkmcnt(0)
	v_bfe_i32 v223, v17, 0, 8
	v_dot4_i32_i8 v2, v70, v10, v2
	v_bfe_i32 v224, v17, 8, 8
	v_ashrrev_i32_e32 v221, 24, v17
	v_bfe_i32 v222, v17, 16, 8
	v_mul_lo_u32 v17, v234, v223
	v_mul_lo_u32 v2, v2, v224
	v_fmac_f32_e32 v18, v205, v246
	v_mad_u64_u32 v[217:218], s[18:19], v233, v224, v[17:18]
	v_mad_u64_u32 v[218:219], s[18:19], v219, v223, v[2:3]
	v_cvt_f32_i32_e32 v17, v217
	v_cvt_f32_i32_e32 v2, v218
	v_fma_f32 v233, v15, v17, 0
	v_mul_lo_u32 v17, v220, v221
	v_fma_f32 v234, v229, v2, 0
	v_mul_lo_u32 v2, v232, v222
	v_mad_u64_u32 v[217:218], s[18:19], v245, v222, v[17:18]
	v_mad_u64_u32 v[218:219], s[18:19], v231, v221, v[2:3]
	v_cvt_f32_i32_e32 v17, v217
	v_cvt_f32_i32_e32 v2, v218
	v_fmac_f32_e32 v234, v230, v17
	v_dot4_i32_i8 v17, v57, v3, 0
	v_fmac_f32_e32 v233, v16, v2
	v_dot4_i32_i8 v2, v77, v213, 0
	v_dot4_i32_i8 v2, v78, v214, v2
	;; [unrolled: 1-line block ×5, first 2 shown]
	v_fma_f32 v48, v210, v233, v48
	v_fmac_f32_e32 v47, v206, v234
	v_dot4_i32_i8 v234, v76, v216, v2
	v_dot4_i32_i8 v2, v71, v11, 0
	;; [unrolled: 1-line block ×3, first 2 shown]
	ds_read_b32 v17, v235
	v_dot4_i32_i8 v2, v72, v12, v2
	v_dot4_i32_i8 v2, v67, v13, v2
	v_dot4_i32_i8 v245, v68, v14, v2
	v_dot4_i32_i8 v2, v61, v7, 0
	v_dot4_i32_i8 v2, v62, v8, v2
	v_dot4_i32_i8 v2, v59, v9, v2
	s_waitcnt lgkmcnt(0)
	v_bfe_i32 v219, v17, 0, 8
	v_dot4_i32_i8 v2, v60, v10, v2
	v_bfe_i32 v220, v17, 8, 8
	v_ashrrev_i32_e32 v217, 24, v17
	v_bfe_i32 v218, v17, 16, 8
	v_mul_lo_u32 v17, v239, v219
	v_mul_lo_u32 v2, v2, v220
	v_mad_u64_u32 v[231:232], s[18:19], v238, v220, v[17:18]
	v_mad_u64_u32 v[232:233], s[18:19], v233, v219, v[2:3]
	v_cvt_f32_i32_e32 v17, v231
	v_cvt_f32_i32_e32 v2, v232
	v_fma_f32 v235, v15, v17, 0
	v_mul_lo_u32 v17, v234, v217
	v_fma_f32 v238, v229, v2, 0
	v_mul_lo_u32 v2, v237, v218
	v_mad_u64_u32 v[231:232], s[18:19], v245, v218, v[17:18]
	v_mad_u64_u32 v[232:233], s[18:19], v236, v217, v[2:3]
	v_dot4_i32_i8 v3, v89, v3, 0
	v_dot4_i32_i8 v3, v90, v4, v3
	v_cvt_f32_i32_e32 v2, v232
	v_cvt_f32_i32_e32 v17, v231
	v_dot4_i32_i8 v3, v87, v5, v3
	v_dot4_i32_i8 v5, v88, v6, v3
	v_fmac_f32_e32 v235, v16, v2
	v_dot4_i32_i8 v2, v95, v213, 0
	ds_read_b32 v3, v240
	v_dot4_i32_i8 v2, v96, v214, v2
	v_dot4_i32_i8 v2, v93, v215, v2
	v_fmac_f32_e32 v238, v230, v17
	v_dot4_i32_i8 v17, v94, v216, v2
	v_dot4_i32_i8 v2, v99, v11, 0
	v_dot4_i32_i8 v2, v100, v12, v2
	v_dot4_i32_i8 v2, v97, v13, v2
	s_waitcnt lgkmcnt(0)
	v_bfe_i32 v215, v3, 0, 8
	v_dot4_i32_i8 v11, v98, v14, v2
	v_dot4_i32_i8 v2, v91, v7, 0
	v_bfe_i32 v216, v3, 8, 8
	v_ashrrev_i32_e32 v213, 24, v3
	v_bfe_i32 v214, v3, 16, 8
	v_mul_lo_u32 v3, v244, v215
	v_dot4_i32_i8 v2, v92, v8, v2
	v_dot4_i32_i8 v2, v53, v9, v2
	;; [unrolled: 1-line block ×3, first 2 shown]
	v_mul_lo_u32 v2, v2, v216
	v_mad_u64_u32 v[3:4], s[18:19], v243, v216, v[3:4]
	v_fmac_f32_e32 v49, v207, v238
	v_fma_f32 v50, v211, v235, v50
	v_mad_u64_u32 v[4:5], s[18:19], v5, v215, v[2:3]
	v_cvt_f32_i32_e32 v3, v3
	v_cvt_f32_i32_e32 v2, v4
	v_fma_f32 v6, v15, v3, 0
	v_mul_lo_u32 v3, v17, v213
	v_fma_f32 v7, v229, v2, 0
	v_mul_lo_u32 v2, v242, v214
	v_mad_u64_u32 v[3:4], s[18:19], v11, v214, v[3:4]
	v_mad_u64_u32 v[4:5], s[18:19], v241, v213, v[2:3]
	v_cvt_f32_i32_e32 v3, v3
	v_cvt_f32_i32_e32 v2, v4
	v_fmac_f32_e32 v7, v230, v3
	v_fmac_f32_e32 v51, v208, v7
	;; [unrolled: 1-line block ×3, first 2 shown]
	v_or_b32_e32 v2, s1, v170
	v_lshlrev_b32_e32 v14, 2, v2
	v_fma_f32 v52, v212, v6, v52
	v_lshrrev_b32_e32 v229, 1, v2
	ds_read_b128 v[2:5], v14 offset:33280
	ds_read_b128 v[6:9], v14 offset:33296
	;; [unrolled: 1-line block ×4, first 2 shown]
	s_waitcnt lgkmcnt(0)
	v_dot4_i32_i8 v230, v113, v14, 0
	v_dot4_i32_i8 v230, v114, v15, v230
	;; [unrolled: 1-line block ×57, first 2 shown]
	v_or_b32_e32 v2, s1, v171
	v_dot4_i32_i8 v230, v55, v4, v230
	v_dot4_i32_i8 v247, v94, v17, v14
	;; [unrolled: 1-line block ×4, first 2 shown]
	v_lshlrev_b32_e32 v14, 2, v2
	v_dot4_i32_i8 v246, v56, v5, v230
	v_dot4_i32_i8 v248, v98, v13, v10
	;; [unrolled: 1-line block ×3, first 2 shown]
	v_lshrrev_b32_e32 v231, 1, v2
	ds_read_b128 v[2:5], v14 offset:33280
	ds_read_b128 v[6:9], v14 offset:33296
	;; [unrolled: 1-line block ×4, first 2 shown]
	v_mul_lo_u32 v234, v234, v227
	s_waitcnt lgkmcnt(0)
	v_dot4_i32_i8 v230, v113, v14, 0
	v_dot4_i32_i8 v230, v114, v15, v230
	;; [unrolled: 1-line block ×13, first 2 shown]
	v_mul_lo_u32 v233, v233, v228
	v_mad_u64_u32 v[234:235], s[18:19], v235, v228, v[234:235]
	v_dot4_i32_i8 v230, v106, v3, v230
	v_dot4_i32_i8 v230, v101, v4, v230
	;; [unrolled: 1-line block ×3, first 2 shown]
	ds_read_b64 v[229:230], v229 offset:43584
	ds_read_b64 v[231:232], v231 offset:43584
	v_mad_u64_u32 v[235:236], s[18:19], v236, v227, v[233:234]
	v_cvt_f32_i32_e32 v234, v234
	v_cvt_f32_i32_e32 v233, v235
	s_waitcnt lgkmcnt(1)
	v_fma_f32 v253, v229, v234, 0
	v_mul_lo_u32 v234, v251, v225
	s_waitcnt lgkmcnt(0)
	v_fma_f32 v254, v231, v233, 0
	v_mul_lo_u32 v233, v238, v226
	v_mad_u64_u32 v[234:235], s[18:19], v252, v226, v[234:235]
	v_mad_u64_u32 v[235:236], s[18:19], v237, v225, v[233:234]
	v_cvt_f32_i32_e32 v234, v234
	v_cvt_f32_i32_e32 v233, v235
	v_fmac_f32_e32 v254, v232, v234
	v_dot4_i32_i8 v234, v65, v2, 0
	v_fmac_f32_e32 v253, v230, v233
	v_dot4_i32_i8 v233, v85, v14, 0
	v_dot4_i32_i8 v233, v86, v15, v233
	;; [unrolled: 1-line block ×12, first 2 shown]
	v_mul_lo_u32 v234, v242, v223
	v_dot4_i32_i8 v233, v74, v7, v233
	v_dot4_i32_i8 v233, v69, v8, v233
	;; [unrolled: 1-line block ×3, first 2 shown]
	v_mul_lo_u32 v233, v233, v224
	v_mad_u64_u32 v[234:235], s[18:19], v241, v224, v[234:235]
	v_fma_f32 v40, v209, v253, v40
	v_fmac_f32_e32 v39, v205, v254
	v_mad_u64_u32 v[235:236], s[18:19], v236, v223, v[233:234]
	v_cvt_f32_i32_e32 v234, v234
	v_cvt_f32_i32_e32 v233, v235
	v_fma_f32 v241, v229, v234, 0
	v_mul_lo_u32 v234, v237, v221
	v_fma_f32 v242, v231, v233, 0
	v_mul_lo_u32 v233, v240, v222
	v_mad_u64_u32 v[234:235], s[18:19], v238, v222, v[234:235]
	v_mad_u64_u32 v[235:236], s[18:19], v239, v221, v[233:234]
	v_cvt_f32_i32_e32 v234, v234
	v_cvt_f32_i32_e32 v233, v235
	v_fmac_f32_e32 v242, v232, v234
	v_dot4_i32_i8 v234, v57, v2, 0
	v_fmac_f32_e32 v241, v230, v233
	v_dot4_i32_i8 v233, v77, v14, 0
	v_dot4_i32_i8 v233, v78, v15, v233
	;; [unrolled: 1-line block ×13, first 2 shown]
	v_mul_lo_u32 v3, v250, v215
	v_dot4_i32_i8 v6, v92, v7, v6
	v_dot4_i32_i8 v6, v53, v8, v6
	;; [unrolled: 1-line block ×7, first 2 shown]
	v_mul_lo_u32 v2, v6, v216
	v_mad_u64_u32 v[3:4], s[18:19], v249, v216, v[3:4]
	v_mul_lo_u32 v234, v246, v219
	v_dot4_i32_i8 v233, v62, v7, v233
	v_dot4_i32_i8 v14, v95, v14, 0
	v_mad_u64_u32 v[4:5], s[18:19], v5, v215, v[2:3]
	v_cvt_f32_i32_e32 v3, v3
	v_dot4_i32_i8 v233, v59, v8, v233
	v_dot4_i32_i8 v14, v96, v15, v14
	;; [unrolled: 1-line block ×4, first 2 shown]
	v_mul_lo_u32 v233, v233, v220
	v_mad_u64_u32 v[234:235], s[18:19], v245, v220, v[234:235]
	v_dot4_i32_i8 v14, v94, v17, v14
	v_dot4_i32_i8 v10, v99, v10, 0
	v_cvt_f32_i32_e32 v2, v4
	v_fma_f32 v6, v229, v3, 0
	v_mul_lo_u32 v3, v14, v213
	v_dot4_i32_i8 v10, v100, v11, v10
	v_dot4_i32_i8 v10, v97, v12, v10
	v_mad_u64_u32 v[235:236], s[18:19], v236, v219, v[233:234]
	v_cvt_f32_i32_e32 v234, v234
	v_dot4_i32_i8 v10, v98, v13, v10
	v_fma_f32 v7, v231, v2, 0
	v_mul_lo_u32 v2, v248, v214
	v_mad_u64_u32 v[3:4], s[18:19], v10, v214, v[3:4]
	v_cvt_f32_i32_e32 v233, v235
	v_fma_f32 v239, v229, v234, 0
	v_mul_lo_u32 v234, v237, v217
	v_mad_u64_u32 v[4:5], s[18:19], v247, v213, v[2:3]
	v_fma_f32 v240, v231, v233, 0
	v_mul_lo_u32 v233, v244, v218
	v_mad_u64_u32 v[234:235], s[18:19], v238, v218, v[234:235]
	v_cvt_f32_i32_e32 v2, v4
	v_cvt_f32_i32_e32 v3, v3
	v_mad_u64_u32 v[235:236], s[18:19], v243, v217, v[233:234]
	v_fmac_f32_e32 v6, v230, v2
	v_or_b32_e32 v2, s1, v172
	v_fmac_f32_e32 v7, v232, v3
	v_lshlrev_b32_e32 v14, 2, v2
	v_fma_f32 v46, v212, v6, v46
	v_fmac_f32_e32 v45, v208, v7
	v_lshrrev_b32_e32 v229, 1, v2
	ds_read_b128 v[2:5], v14 offset:33280
	ds_read_b128 v[6:9], v14 offset:33296
	;; [unrolled: 1-line block ×4, first 2 shown]
	v_cvt_f32_i32_e32 v233, v235
	v_cvt_f32_i32_e32 v234, v234
	v_fma_f32 v42, v210, v241, v42
	v_fmac_f32_e32 v41, v206, v242
	v_fmac_f32_e32 v239, v230, v233
	s_waitcnt lgkmcnt(0)
	v_dot4_i32_i8 v230, v113, v14, 0
	v_dot4_i32_i8 v230, v114, v15, v230
	;; [unrolled: 1-line block ×15, first 2 shown]
	v_fmac_f32_e32 v240, v232, v234
	v_dot4_i32_i8 v234, v102, v5, v230
	v_dot4_i32_i8 v230, v85, v14, 0
	v_dot4_i32_i8 v230, v86, v15, v230
	v_dot4_i32_i8 v230, v83, v16, v230
	v_fma_f32 v44, v211, v239, v44
	v_dot4_i32_i8 v239, v84, v17, v230
	v_dot4_i32_i8 v230, v81, v10, 0
	;; [unrolled: 1-line block ×4, first 2 shown]
	v_fmac_f32_e32 v43, v207, v240
	v_dot4_i32_i8 v240, v80, v13, v230
	v_dot4_i32_i8 v230, v73, v6, 0
	;; [unrolled: 1-line block ×34, first 2 shown]
	v_or_b32_e32 v2, s1, v173
	v_dot4_i32_i8 v230, v55, v4, v230
	v_dot4_i32_i8 v247, v94, v17, v14
	;; [unrolled: 1-line block ×4, first 2 shown]
	v_lshlrev_b32_e32 v14, 2, v2
	v_dot4_i32_i8 v246, v56, v5, v230
	v_dot4_i32_i8 v248, v98, v13, v10
	;; [unrolled: 1-line block ×3, first 2 shown]
	v_lshrrev_b32_e32 v231, 1, v2
	ds_read_b128 v[2:5], v14 offset:33280
	ds_read_b128 v[6:9], v14 offset:33296
	ds_read_b128 v[10:13], v14 offset:33312
	ds_read_b128 v[14:17], v14 offset:33328
	v_mul_lo_u32 v234, v234, v227
	s_waitcnt lgkmcnt(0)
	v_dot4_i32_i8 v230, v113, v14, 0
	v_dot4_i32_i8 v230, v114, v15, v230
	;; [unrolled: 1-line block ×13, first 2 shown]
	v_mul_lo_u32 v233, v233, v228
	v_mad_u64_u32 v[234:235], s[18:19], v235, v228, v[234:235]
	v_dot4_i32_i8 v230, v106, v3, v230
	v_dot4_i32_i8 v230, v101, v4, v230
	v_dot4_i32_i8 v236, v102, v5, v230
	ds_read_b64 v[229:230], v229 offset:43584
	ds_read_b64 v[231:232], v231 offset:43584
	v_mad_u64_u32 v[235:236], s[18:19], v236, v227, v[233:234]
	v_cvt_f32_i32_e32 v234, v234
	v_cvt_f32_i32_e32 v233, v235
	s_waitcnt lgkmcnt(1)
	v_fma_f32 v253, v229, v234, 0
	v_mul_lo_u32 v234, v251, v225
	s_waitcnt lgkmcnt(0)
	v_fma_f32 v254, v231, v233, 0
	v_mul_lo_u32 v233, v238, v226
	v_mad_u64_u32 v[234:235], s[18:19], v252, v226, v[234:235]
	v_mad_u64_u32 v[235:236], s[18:19], v237, v225, v[233:234]
	v_cvt_f32_i32_e32 v234, v234
	v_cvt_f32_i32_e32 v233, v235
	v_fmac_f32_e32 v254, v232, v234
	v_dot4_i32_i8 v234, v65, v2, 0
	v_fmac_f32_e32 v253, v230, v233
	v_dot4_i32_i8 v233, v85, v14, 0
	v_dot4_i32_i8 v233, v86, v15, v233
	;; [unrolled: 1-line block ×12, first 2 shown]
	v_mul_lo_u32 v234, v242, v223
	v_dot4_i32_i8 v233, v74, v7, v233
	v_dot4_i32_i8 v233, v69, v8, v233
	;; [unrolled: 1-line block ×3, first 2 shown]
	v_mul_lo_u32 v233, v233, v224
	v_mad_u64_u32 v[234:235], s[18:19], v241, v224, v[234:235]
	v_fmac_f32_e32 v31, v205, v254
	v_fma_f32 v32, v209, v253, v32
	v_mad_u64_u32 v[235:236], s[18:19], v236, v223, v[233:234]
	v_cvt_f32_i32_e32 v234, v234
	v_cvt_f32_i32_e32 v233, v235
	v_fma_f32 v241, v229, v234, 0
	v_mul_lo_u32 v234, v237, v221
	v_fma_f32 v242, v231, v233, 0
	v_mul_lo_u32 v233, v240, v222
	v_mad_u64_u32 v[234:235], s[18:19], v238, v222, v[234:235]
	v_mad_u64_u32 v[235:236], s[18:19], v239, v221, v[233:234]
	v_cvt_f32_i32_e32 v234, v234
	v_cvt_f32_i32_e32 v233, v235
	v_fmac_f32_e32 v242, v232, v234
	v_dot4_i32_i8 v234, v57, v2, 0
	v_fmac_f32_e32 v241, v230, v233
	v_dot4_i32_i8 v233, v77, v14, 0
	v_dot4_i32_i8 v233, v78, v15, v233
	;; [unrolled: 1-line block ×13, first 2 shown]
	v_mul_lo_u32 v3, v250, v215
	v_dot4_i32_i8 v6, v92, v7, v6
	v_dot4_i32_i8 v6, v53, v8, v6
	;; [unrolled: 1-line block ×7, first 2 shown]
	v_mul_lo_u32 v2, v6, v216
	v_mad_u64_u32 v[3:4], s[18:19], v249, v216, v[3:4]
	v_mul_lo_u32 v234, v246, v219
	v_dot4_i32_i8 v233, v62, v7, v233
	v_dot4_i32_i8 v14, v95, v14, 0
	v_mad_u64_u32 v[4:5], s[18:19], v5, v215, v[2:3]
	v_cvt_f32_i32_e32 v3, v3
	v_dot4_i32_i8 v233, v59, v8, v233
	v_dot4_i32_i8 v14, v96, v15, v14
	;; [unrolled: 1-line block ×4, first 2 shown]
	v_mul_lo_u32 v233, v233, v220
	v_mad_u64_u32 v[234:235], s[18:19], v245, v220, v[234:235]
	v_dot4_i32_i8 v14, v94, v17, v14
	v_dot4_i32_i8 v10, v99, v10, 0
	v_cvt_f32_i32_e32 v2, v4
	v_fma_f32 v6, v229, v3, 0
	v_mul_lo_u32 v3, v14, v213
	v_dot4_i32_i8 v10, v100, v11, v10
	v_dot4_i32_i8 v10, v97, v12, v10
	v_mad_u64_u32 v[235:236], s[18:19], v236, v219, v[233:234]
	v_cvt_f32_i32_e32 v234, v234
	v_dot4_i32_i8 v10, v98, v13, v10
	v_fma_f32 v7, v231, v2, 0
	v_mul_lo_u32 v2, v248, v214
	v_mad_u64_u32 v[3:4], s[18:19], v10, v214, v[3:4]
	v_cvt_f32_i32_e32 v233, v235
	v_fma_f32 v239, v229, v234, 0
	v_mul_lo_u32 v234, v237, v217
	v_mad_u64_u32 v[4:5], s[18:19], v247, v213, v[2:3]
	v_fma_f32 v240, v231, v233, 0
	v_mul_lo_u32 v233, v244, v218
	v_mad_u64_u32 v[234:235], s[18:19], v238, v218, v[234:235]
	v_cvt_f32_i32_e32 v2, v4
	v_cvt_f32_i32_e32 v3, v3
	v_mad_u64_u32 v[235:236], s[18:19], v243, v217, v[233:234]
	v_fmac_f32_e32 v6, v230, v2
	v_or_b32_e32 v2, s1, v174
	v_fmac_f32_e32 v7, v232, v3
	v_lshlrev_b32_e32 v14, 2, v2
	v_fma_f32 v38, v212, v6, v38
	v_fmac_f32_e32 v37, v208, v7
	v_lshrrev_b32_e32 v229, 1, v2
	ds_read_b128 v[2:5], v14 offset:33280
	ds_read_b128 v[6:9], v14 offset:33296
	;; [unrolled: 1-line block ×4, first 2 shown]
	v_cvt_f32_i32_e32 v233, v235
	v_cvt_f32_i32_e32 v234, v234
	v_fma_f32 v34, v210, v241, v34
	v_fmac_f32_e32 v33, v206, v242
	v_fmac_f32_e32 v239, v230, v233
	s_waitcnt lgkmcnt(0)
	v_dot4_i32_i8 v230, v113, v14, 0
	v_dot4_i32_i8 v230, v114, v15, v230
	;; [unrolled: 1-line block ×19, first 2 shown]
	v_fmac_f32_e32 v240, v232, v234
	v_dot4_i32_i8 v234, v84, v17, v230
	v_dot4_i32_i8 v230, v81, v10, 0
	;; [unrolled: 1-line block ×21, first 2 shown]
	v_or_b32_e32 v2, s1, v175
	v_dot4_i32_i8 v230, v63, v4, v230
	v_dot4_i32_i8 v232, v59, v8, v232
	;; [unrolled: 1-line block ×4, first 2 shown]
	v_lshlrev_b32_e32 v7, 2, v2
	v_fma_f32 v36, v211, v239, v36
	v_fmac_f32_e32 v35, v207, v240
	v_dot4_i32_i8 v253, v64, v5, v230
	v_dot4_i32_i8 v232, v60, v9, v232
	v_dot4_i32_i8 v233, v56, v5, v233
	v_dot4_i32_i8 v6, v54, v9, v6
	v_lshrrev_b32_e32 v9, 1, v2
	ds_read_b128 v[2:5], v7 offset:33280
	ds_read_b128 v[235:238], v7 offset:33296
	;; [unrolled: 1-line block ×4, first 2 shown]
	v_dot4_i32_i8 v231, v71, v10, 0
	v_dot4_i32_i8 v10, v99, v10, 0
	;; [unrolled: 1-line block ×4, first 2 shown]
	s_waitcnt lgkmcnt(0)
	v_dot4_i32_i8 v7, v113, v243, 0
	v_dot4_i32_i8 v7, v114, v244, v7
	;; [unrolled: 1-line block ×28, first 2 shown]
	ds_read_b64 v[7:8], v229 offset:43584
	ds_read_b64 v[11:12], v9 offset:43584
	v_mul_lo_u32 v9, v13, v228
	v_mul_lo_u32 v13, v250, v227
	s_add_i32 s1, s0, 8
	s_cmp_lt_u32 s0, 24
	s_mov_b32 s0, s1
	v_mad_u64_u32 v[15:16], s[18:19], v249, v228, v[13:14]
	v_mad_u64_u32 v[16:17], s[18:19], v17, v227, v[9:10]
	v_cvt_f32_i32_e32 v13, v15
	v_cvt_f32_i32_e32 v9, v16
	s_waitcnt lgkmcnt(1)
	v_fma_f32 v101, v7, v13, 0
	v_mul_lo_u32 v13, v109, v225
	s_waitcnt lgkmcnt(0)
	v_fma_f32 v102, v11, v9, 0
	v_mul_lo_u32 v9, v248, v226
	v_mad_u64_u32 v[15:16], s[18:19], v110, v226, v[13:14]
	v_mad_u64_u32 v[16:17], s[18:19], v247, v225, v[9:10]
	v_cvt_f32_i32_e32 v13, v15
	v_cvt_f32_i32_e32 v9, v16
	v_fmac_f32_e32 v102, v12, v13
	v_dot4_i32_i8 v13, v65, v2, 0
	v_fmac_f32_e32 v101, v8, v9
	v_dot4_i32_i8 v9, v85, v243, 0
	v_dot4_i32_i8 v9, v86, v244, v9
	;; [unrolled: 1-line block ×15, first 2 shown]
	v_mul_lo_u32 v13, v253, v223
	v_mul_lo_u32 v9, v9, v224
	v_fma_f32 v22, v209, v101, v22
	v_fmac_f32_e32 v21, v205, v102
	v_mad_u64_u32 v[15:16], s[18:19], v252, v224, v[13:14]
	v_mad_u64_u32 v[16:17], s[18:19], v17, v223, v[9:10]
	v_cvt_f32_i32_e32 v13, v15
	v_cvt_f32_i32_e32 v9, v16
	v_fma_f32 v63, v7, v13, 0
	v_mul_lo_u32 v13, v83, v221
	v_fma_f32 v64, v11, v9, 0
	v_mul_lo_u32 v9, v251, v222
	v_mad_u64_u32 v[15:16], s[18:19], v79, v222, v[13:14]
	v_mad_u64_u32 v[16:17], s[18:19], v234, v221, v[9:10]
	v_cvt_f32_i32_e32 v13, v15
	v_cvt_f32_i32_e32 v9, v16
	v_fmac_f32_e32 v64, v12, v13
	v_dot4_i32_i8 v13, v57, v2, 0
	v_fmac_f32_e32 v63, v8, v9
	v_dot4_i32_i8 v9, v77, v243, 0
	v_dot4_i32_i8 v9, v78, v244, v9
	v_dot4_i32_i8 v9, v75, v245, v9
	v_fma_f32 v24, v210, v63, v24
	v_dot4_i32_i8 v63, v76, v246, v9
	v_dot4_i32_i8 v9, v71, v239, 0
	;; [unrolled: 1-line block ×6, first 2 shown]
	v_fmac_f32_e32 v23, v206, v64
	v_dot4_i32_i8 v64, v68, v242, v9
	v_dot4_i32_i8 v9, v61, v235, 0
	;; [unrolled: 1-line block ×3, first 2 shown]
	v_mul_lo_u32 v13, v233, v219
	v_dot4_i32_i8 v9, v62, v236, v9
	v_dot4_i32_i8 v9, v59, v237, v9
	;; [unrolled: 1-line block ×3, first 2 shown]
	v_mul_lo_u32 v9, v9, v220
	v_mad_u64_u32 v[15:16], s[18:19], v232, v220, v[13:14]
	v_dot4_i32_i8 v2, v89, v2, 0
	v_mad_u64_u32 v[16:17], s[18:19], v17, v219, v[9:10]
	v_cvt_f32_i32_e32 v13, v15
	v_dot4_i32_i8 v2, v90, v3, v2
	v_cvt_f32_i32_e32 v9, v16
	v_mul_lo_u32 v3, v254, v215
	v_fma_f32 v55, v7, v13, 0
	v_mul_lo_u32 v13, v63, v217
	v_fma_f32 v56, v11, v9, 0
	v_mul_lo_u32 v9, v231, v218
	v_dot4_i32_i8 v2, v87, v4, v2
	v_mad_u64_u32 v[15:16], s[18:19], v64, v218, v[13:14]
	v_mad_u64_u32 v[16:17], s[18:19], v230, v217, v[9:10]
	v_cvt_f32_i32_e32 v13, v15
	v_dot4_i32_i8 v15, v91, v235, 0
	v_dot4_i32_i8 v15, v92, v236, v15
	;; [unrolled: 1-line block ×4, first 2 shown]
	v_cvt_f32_i32_e32 v9, v16
	v_dot4_i32_i8 v5, v88, v5, v2
	v_mul_lo_u32 v2, v15, v216
	v_mad_u64_u32 v[3:4], s[18:19], v6, v216, v[3:4]
	v_fmac_f32_e32 v55, v8, v9
	v_dot4_i32_i8 v9, v95, v243, 0
	v_mad_u64_u32 v[4:5], s[18:19], v5, v215, v[2:3]
	v_cvt_f32_i32_e32 v3, v3
	v_dot4_i32_i8 v9, v96, v244, v9
	v_dot4_i32_i8 v9, v93, v245, v9
	;; [unrolled: 1-line block ×3, first 2 shown]
	v_fmac_f32_e32 v56, v12, v13
	v_dot4_i32_i8 v13, v99, v239, 0
	v_cvt_f32_i32_e32 v2, v4
	v_fma_f32 v6, v7, v3, 0
	v_mul_lo_u32 v3, v9, v213
	v_dot4_i32_i8 v13, v100, v240, v13
	v_dot4_i32_i8 v13, v97, v241, v13
	;; [unrolled: 1-line block ×3, first 2 shown]
	v_fma_f32 v7, v11, v2, 0
	v_mul_lo_u32 v2, v10, v214
	v_mad_u64_u32 v[3:4], s[18:19], v13, v214, v[3:4]
	v_fma_f32 v26, v211, v55, v26
	v_fmac_f32_e32 v25, v207, v56
	v_mad_u64_u32 v[4:5], s[18:19], v14, v213, v[2:3]
	v_cvt_f32_i32_e32 v3, v3
	v_cvt_f32_i32_e32 v2, v4
	v_fmac_f32_e32 v7, v12, v3
	v_fmac_f32_e32 v27, v208, v7
	v_fmac_f32_e32 v6, v8, v2
	v_fma_f32 v28, v212, v6, v28
	s_cbranch_scc1 .LBB155_8
; %bb.9:                                ;   in Loop: Header=BB155_5 Depth=1
	s_add_i32 s7, s7, 1
	s_cmp_eq_u32 s7, s4
	s_barrier
	s_cbranch_scc0 .LBB155_5
; %bb.10:
	v_cvt_f16_f32_e32 v2, v19
	v_cvt_f16_f32_e32 v3, v18
	v_cvt_f16_f32_e32 v4, v48
	v_cvt_f16_f32_e32 v5, v47
	v_cvt_f16_f32_e32 v6, v50
	v_cvt_f16_f32_e32 v7, v49
	v_cvt_f16_f32_e32 v8, v52
	v_cvt_f16_f32_e32 v9, v51
	v_pack_b32_f16 v20, v3, v2
	v_pack_b32_f16 v19, v5, v4
	v_pack_b32_f16 v18, v7, v6
	v_pack_b32_f16 v17, v9, v8
	v_cvt_f16_f32_e32 v2, v40
	v_cvt_f16_f32_e32 v3, v39
	v_cvt_f16_f32_e32 v4, v42
	v_cvt_f16_f32_e32 v5, v41
	v_cvt_f16_f32_e32 v6, v44
	v_cvt_f16_f32_e32 v7, v43
	v_cvt_f16_f32_e32 v8, v46
	v_cvt_f16_f32_e32 v9, v45
	v_pack_b32_f16 v16, v3, v2
	v_pack_b32_f16 v15, v5, v4
	v_pack_b32_f16 v14, v7, v6
	v_pack_b32_f16 v13, v9, v8
	;; [unrolled: 12-line block ×4, first 2 shown]
	v_mov_b32_e32 v6, v117
.LBB155_11:
	v_cmp_gt_u32_e32 vcc, s8, v6
	s_and_saveexec_b64 s[0:1], vcc
	s_cbranch_execz .LBB155_62
; %bb.12:
	v_mul_lo_u32 v21, v6, s10
	v_add_u32_e32 v0, s6, v0
	v_cmp_gt_u32_e32 vcc, s10, v0
	s_and_saveexec_b64 s[2:3], vcc
	s_cbranch_execz .LBB155_14
; %bb.13:
	v_add_u32_e32 v6, v0, v21
	v_mov_b32_e32 v7, 0
	v_lshlrev_b64 v[6:7], 1, v[6:7]
	s_waitcnt lgkmcnt(0)
	v_mov_b32_e32 v8, s13
	v_add_co_u32_e64 v6, s[0:1], s12, v6
	v_addc_co_u32_e64 v7, s[0:1], v8, v7, s[0:1]
	global_store_short_d16_hi v[6:7], v20, off
.LBB155_14:
	s_or_b64 exec, exec, s[2:3]
	v_add_u32_e32 v6, 32, v0
	v_cmp_gt_u32_e64 s[0:1], s10, v6
	s_and_saveexec_b64 s[4:5], s[0:1]
	s_cbranch_execz .LBB155_16
; %bb.15:
	v_add_u32_e32 v7, v6, v21
	v_mov_b32_e32 v8, 0
	v_lshlrev_b64 v[7:8], 1, v[7:8]
	s_waitcnt lgkmcnt(0)
	v_mov_b32_e32 v22, s13
	v_add_co_u32_e64 v7, s[2:3], s12, v7
	v_addc_co_u32_e64 v8, s[2:3], v22, v8, s[2:3]
	global_store_short_d16_hi v[7:8], v19, off
.LBB155_16:
	s_or_b64 exec, exec, s[4:5]
	v_add_u32_e32 v7, 64, v0
	v_cmp_gt_u32_e64 s[2:3], s10, v7
	s_and_saveexec_b64 s[6:7], s[2:3]
	;; [unrolled: 15-line block ×3, first 2 shown]
	s_cbranch_execz .LBB155_20
; %bb.19:
	v_add_u32_e32 v21, v8, v21
	v_mov_b32_e32 v22, 0
	v_lshlrev_b64 v[21:22], 1, v[21:22]
	s_waitcnt lgkmcnt(0)
	v_mov_b32_e32 v23, s13
	v_add_co_u32_e64 v21, s[6:7], s12, v21
	v_addc_co_u32_e64 v22, s[6:7], v23, v22, s[6:7]
	global_store_short_d16_hi v[21:22], v17, off
.LBB155_20:
	s_or_b64 exec, exec, s[14:15]
	v_add3_u32 v21, v1, s11, 8
	v_cmp_gt_u32_e64 s[6:7], s8, v21
	s_and_b64 exec, exec, s[6:7]
	s_cbranch_execz .LBB155_62
; %bb.21:
	v_mul_lo_u32 v21, v21, s10
	s_and_saveexec_b64 s[14:15], vcc
	s_cbranch_execnz .LBB155_63
; %bb.22:
	s_or_b64 exec, exec, s[14:15]
	s_and_saveexec_b64 s[14:15], s[0:1]
	s_cbranch_execnz .LBB155_64
.LBB155_23:
	s_or_b64 exec, exec, s[14:15]
	s_and_saveexec_b64 s[14:15], s[2:3]
	s_cbranch_execnz .LBB155_65
.LBB155_24:
	s_or_b64 exec, exec, s[14:15]
	s_and_saveexec_b64 s[14:15], s[4:5]
	s_cbranch_execz .LBB155_26
.LBB155_25:
	v_add_u32_e32 v18, v21, v8
	v_mov_b32_e32 v19, 0
	v_lshlrev_b64 v[18:19], 1, v[18:19]
	s_waitcnt lgkmcnt(0)
	v_mov_b32_e32 v20, s13
	v_add_co_u32_e64 v18, s[6:7], s12, v18
	v_addc_co_u32_e64 v19, s[6:7], v20, v19, s[6:7]
	global_store_short v[18:19], v17, off
.LBB155_26:
	s_or_b64 exec, exec, s[14:15]
	v_add3_u32 v17, v1, s11, 16
	v_cmp_gt_u32_e64 s[6:7], s8, v17
	s_and_b64 exec, exec, s[6:7]
	s_cbranch_execz .LBB155_62
; %bb.27:
	v_mul_lo_u32 v17, v17, s10
	s_and_saveexec_b64 s[14:15], vcc
	s_cbranch_execnz .LBB155_66
; %bb.28:
	s_or_b64 exec, exec, s[14:15]
	s_and_saveexec_b64 s[14:15], s[0:1]
	s_cbranch_execnz .LBB155_67
.LBB155_29:
	s_or_b64 exec, exec, s[14:15]
	s_and_saveexec_b64 s[14:15], s[2:3]
	s_cbranch_execnz .LBB155_68
.LBB155_30:
	s_or_b64 exec, exec, s[14:15]
	s_and_saveexec_b64 s[14:15], s[4:5]
	s_cbranch_execz .LBB155_32
.LBB155_31:
	v_add_u32_e32 v17, v17, v8
	v_mov_b32_e32 v18, 0
	v_lshlrev_b64 v[17:18], 1, v[17:18]
	s_waitcnt lgkmcnt(0)
	v_mov_b32_e32 v19, s13
	v_add_co_u32_e64 v17, s[6:7], s12, v17
	v_addc_co_u32_e64 v18, s[6:7], v19, v18, s[6:7]
	global_store_short_d16_hi v[17:18], v13, off
.LBB155_32:
	s_or_b64 exec, exec, s[14:15]
	v_add3_u32 v17, v1, s11, 24
	v_cmp_gt_u32_e64 s[6:7], s8, v17
	s_and_b64 exec, exec, s[6:7]
	s_cbranch_execz .LBB155_62
; %bb.33:
	v_mul_lo_u32 v17, v17, s10
	s_and_saveexec_b64 s[14:15], vcc
	s_cbranch_execnz .LBB155_69
; %bb.34:
	s_or_b64 exec, exec, s[14:15]
	s_and_saveexec_b64 s[14:15], s[0:1]
	s_cbranch_execnz .LBB155_70
.LBB155_35:
	s_or_b64 exec, exec, s[14:15]
	s_and_saveexec_b64 s[14:15], s[2:3]
	s_cbranch_execnz .LBB155_71
.LBB155_36:
	s_or_b64 exec, exec, s[14:15]
	s_and_saveexec_b64 s[14:15], s[4:5]
	s_cbranch_execz .LBB155_38
.LBB155_37:
	v_add_u32_e32 v14, v17, v8
	v_mov_b32_e32 v15, 0
	v_lshlrev_b64 v[14:15], 1, v[14:15]
	s_waitcnt lgkmcnt(0)
	v_mov_b32_e32 v16, s13
	v_add_co_u32_e64 v14, s[6:7], s12, v14
	v_addc_co_u32_e64 v15, s[6:7], v16, v15, s[6:7]
	global_store_short v[14:15], v13, off
.LBB155_38:
	s_or_b64 exec, exec, s[14:15]
	v_add3_u32 v13, v1, s11, 32
	v_cmp_gt_u32_e64 s[6:7], s8, v13
	s_and_b64 exec, exec, s[6:7]
	s_cbranch_execz .LBB155_62
; %bb.39:
	v_mul_lo_u32 v13, v13, s10
	s_and_saveexec_b64 s[14:15], vcc
	s_cbranch_execnz .LBB155_72
; %bb.40:
	s_or_b64 exec, exec, s[14:15]
	s_and_saveexec_b64 s[14:15], s[0:1]
	s_cbranch_execnz .LBB155_73
.LBB155_41:
	s_or_b64 exec, exec, s[14:15]
	s_and_saveexec_b64 s[14:15], s[2:3]
	s_cbranch_execnz .LBB155_74
.LBB155_42:
	s_or_b64 exec, exec, s[14:15]
	s_and_saveexec_b64 s[14:15], s[4:5]
	s_cbranch_execz .LBB155_44
.LBB155_43:
	v_add_u32_e32 v13, v13, v8
	v_mov_b32_e32 v14, 0
	v_lshlrev_b64 v[13:14], 1, v[13:14]
	s_waitcnt lgkmcnt(0)
	v_mov_b32_e32 v15, s13
	v_add_co_u32_e64 v13, s[6:7], s12, v13
	v_addc_co_u32_e64 v14, s[6:7], v15, v14, s[6:7]
	global_store_short_d16_hi v[13:14], v9, off
.LBB155_44:
	s_or_b64 exec, exec, s[14:15]
	v_add3_u32 v13, v1, s11, 40
	v_cmp_gt_u32_e64 s[6:7], s8, v13
	s_and_b64 exec, exec, s[6:7]
	s_cbranch_execz .LBB155_62
; %bb.45:
	v_mul_lo_u32 v13, v13, s10
	s_and_saveexec_b64 s[14:15], vcc
	s_cbranch_execnz .LBB155_75
; %bb.46:
	s_or_b64 exec, exec, s[14:15]
	s_and_saveexec_b64 s[14:15], s[0:1]
	s_cbranch_execnz .LBB155_76
.LBB155_47:
	s_or_b64 exec, exec, s[14:15]
	s_and_saveexec_b64 s[14:15], s[2:3]
	s_cbranch_execnz .LBB155_77
.LBB155_48:
	s_or_b64 exec, exec, s[14:15]
	s_and_saveexec_b64 s[14:15], s[4:5]
	s_cbranch_execz .LBB155_50
.LBB155_49:
	v_add_u32_e32 v10, v13, v8
	v_mov_b32_e32 v11, 0
	v_lshlrev_b64 v[10:11], 1, v[10:11]
	s_waitcnt lgkmcnt(0)
	v_mov_b32_e32 v12, s13
	v_add_co_u32_e64 v10, s[6:7], s12, v10
	v_addc_co_u32_e64 v11, s[6:7], v12, v11, s[6:7]
	global_store_short v[10:11], v9, off
.LBB155_50:
	s_or_b64 exec, exec, s[14:15]
	v_add3_u32 v9, v1, s11, 48
	v_cmp_gt_u32_e64 s[6:7], s8, v9
	s_and_b64 exec, exec, s[6:7]
	s_cbranch_execz .LBB155_62
; %bb.51:
	v_mul_lo_u32 v9, v9, s10
	s_and_saveexec_b64 s[14:15], vcc
	s_cbranch_execnz .LBB155_78
; %bb.52:
	s_or_b64 exec, exec, s[14:15]
	s_and_saveexec_b64 s[14:15], s[0:1]
	s_cbranch_execnz .LBB155_79
.LBB155_53:
	s_or_b64 exec, exec, s[14:15]
	s_and_saveexec_b64 s[14:15], s[2:3]
	s_cbranch_execnz .LBB155_80
.LBB155_54:
	s_or_b64 exec, exec, s[14:15]
	s_and_saveexec_b64 s[14:15], s[4:5]
	s_cbranch_execz .LBB155_56
.LBB155_55:
	v_add_u32_e32 v9, v9, v8
	v_mov_b32_e32 v10, 0
	v_lshlrev_b64 v[9:10], 1, v[9:10]
	s_waitcnt lgkmcnt(0)
	v_mov_b32_e32 v11, s13
	v_add_co_u32_e64 v9, s[6:7], s12, v9
	v_addc_co_u32_e64 v10, s[6:7], v11, v10, s[6:7]
	global_store_short_d16_hi v[9:10], v2, off
.LBB155_56:
	s_or_b64 exec, exec, s[14:15]
	v_add3_u32 v1, v1, s11, 56
	v_cmp_gt_u32_e64 s[6:7], s8, v1
	s_and_b64 exec, exec, s[6:7]
	s_cbranch_execz .LBB155_62
; %bb.57:
	v_mul_lo_u32 v1, v1, s10
	s_and_saveexec_b64 s[6:7], vcc
	s_cbranch_execnz .LBB155_81
; %bb.58:
	s_or_b64 exec, exec, s[6:7]
	s_and_saveexec_b64 s[6:7], s[0:1]
	s_cbranch_execnz .LBB155_82
.LBB155_59:
	s_or_b64 exec, exec, s[6:7]
	s_and_saveexec_b64 s[0:1], s[2:3]
	s_cbranch_execnz .LBB155_83
.LBB155_60:
	s_or_b64 exec, exec, s[0:1]
	s_and_b64 exec, exec, s[4:5]
	s_cbranch_execz .LBB155_62
.LBB155_61:
	v_add_u32_e32 v0, v1, v8
	v_mov_b32_e32 v1, 0
	v_lshlrev_b64 v[0:1], 1, v[0:1]
	s_waitcnt lgkmcnt(0)
	v_mov_b32_e32 v3, s13
	v_add_co_u32_e32 v0, vcc, s12, v0
	v_addc_co_u32_e32 v1, vcc, v3, v1, vcc
	global_store_short v[0:1], v2, off
.LBB155_62:
	s_endpgm
.LBB155_63:
	v_add_u32_e32 v22, v21, v0
	v_mov_b32_e32 v23, 0
	v_lshlrev_b64 v[22:23], 1, v[22:23]
	s_waitcnt lgkmcnt(0)
	v_mov_b32_e32 v24, s13
	v_add_co_u32_e64 v22, s[6:7], s12, v22
	v_addc_co_u32_e64 v23, s[6:7], v24, v23, s[6:7]
	global_store_short v[22:23], v20, off
	s_or_b64 exec, exec, s[14:15]
	s_and_saveexec_b64 s[14:15], s[0:1]
	s_cbranch_execz .LBB155_23
.LBB155_64:
	v_add_u32_e32 v22, v21, v6
	v_mov_b32_e32 v23, 0
	v_lshlrev_b64 v[22:23], 1, v[22:23]
	s_waitcnt lgkmcnt(0)
	v_mov_b32_e32 v20, s13
	v_add_co_u32_e64 v22, s[6:7], s12, v22
	v_addc_co_u32_e64 v23, s[6:7], v20, v23, s[6:7]
	global_store_short v[22:23], v19, off
	s_or_b64 exec, exec, s[14:15]
	s_and_saveexec_b64 s[14:15], s[2:3]
	s_cbranch_execz .LBB155_24
.LBB155_65:
	v_add_u32_e32 v19, v21, v7
	v_mov_b32_e32 v20, 0
	v_lshlrev_b64 v[19:20], 1, v[19:20]
	s_waitcnt lgkmcnt(0)
	v_mov_b32_e32 v22, s13
	v_add_co_u32_e64 v19, s[6:7], s12, v19
	v_addc_co_u32_e64 v20, s[6:7], v22, v20, s[6:7]
	global_store_short v[19:20], v18, off
	s_or_b64 exec, exec, s[14:15]
	s_and_saveexec_b64 s[14:15], s[4:5]
	s_cbranch_execnz .LBB155_25
	s_branch .LBB155_26
.LBB155_66:
	v_add_u32_e32 v18, v17, v0
	v_mov_b32_e32 v19, 0
	v_lshlrev_b64 v[18:19], 1, v[18:19]
	s_waitcnt lgkmcnt(0)
	v_mov_b32_e32 v20, s13
	v_add_co_u32_e64 v18, s[6:7], s12, v18
	v_addc_co_u32_e64 v19, s[6:7], v20, v19, s[6:7]
	global_store_short_d16_hi v[18:19], v16, off
	s_or_b64 exec, exec, s[14:15]
	s_and_saveexec_b64 s[14:15], s[0:1]
	s_cbranch_execz .LBB155_29
.LBB155_67:
	v_add_u32_e32 v18, v17, v6
	v_mov_b32_e32 v19, 0
	v_lshlrev_b64 v[18:19], 1, v[18:19]
	s_waitcnt lgkmcnt(0)
	v_mov_b32_e32 v20, s13
	v_add_co_u32_e64 v18, s[6:7], s12, v18
	v_addc_co_u32_e64 v19, s[6:7], v20, v19, s[6:7]
	global_store_short_d16_hi v[18:19], v15, off
	s_or_b64 exec, exec, s[14:15]
	s_and_saveexec_b64 s[14:15], s[2:3]
	s_cbranch_execz .LBB155_30
.LBB155_68:
	v_add_u32_e32 v18, v17, v7
	v_mov_b32_e32 v19, 0
	v_lshlrev_b64 v[18:19], 1, v[18:19]
	s_waitcnt lgkmcnt(0)
	v_mov_b32_e32 v20, s13
	v_add_co_u32_e64 v18, s[6:7], s12, v18
	v_addc_co_u32_e64 v19, s[6:7], v20, v19, s[6:7]
	global_store_short_d16_hi v[18:19], v14, off
	s_or_b64 exec, exec, s[14:15]
	s_and_saveexec_b64 s[14:15], s[4:5]
	s_cbranch_execnz .LBB155_31
	s_branch .LBB155_32
.LBB155_69:
	v_add_u32_e32 v18, v17, v0
	v_mov_b32_e32 v19, 0
	v_lshlrev_b64 v[18:19], 1, v[18:19]
	s_waitcnt lgkmcnt(0)
	v_mov_b32_e32 v20, s13
	v_add_co_u32_e64 v18, s[6:7], s12, v18
	v_addc_co_u32_e64 v19, s[6:7], v20, v19, s[6:7]
	global_store_short v[18:19], v16, off
	s_or_b64 exec, exec, s[14:15]
	s_and_saveexec_b64 s[14:15], s[0:1]
	s_cbranch_execz .LBB155_35
.LBB155_70:
	v_add_u32_e32 v18, v17, v6
	v_mov_b32_e32 v19, 0
	v_lshlrev_b64 v[18:19], 1, v[18:19]
	s_waitcnt lgkmcnt(0)
	v_mov_b32_e32 v16, s13
	v_add_co_u32_e64 v18, s[6:7], s12, v18
	v_addc_co_u32_e64 v19, s[6:7], v16, v19, s[6:7]
	global_store_short v[18:19], v15, off
	s_or_b64 exec, exec, s[14:15]
	s_and_saveexec_b64 s[14:15], s[2:3]
	s_cbranch_execz .LBB155_36
.LBB155_71:
	v_add_u32_e32 v15, v17, v7
	v_mov_b32_e32 v16, 0
	v_lshlrev_b64 v[15:16], 1, v[15:16]
	s_waitcnt lgkmcnt(0)
	v_mov_b32_e32 v18, s13
	v_add_co_u32_e64 v15, s[6:7], s12, v15
	v_addc_co_u32_e64 v16, s[6:7], v18, v16, s[6:7]
	global_store_short v[15:16], v14, off
	s_or_b64 exec, exec, s[14:15]
	s_and_saveexec_b64 s[14:15], s[4:5]
	s_cbranch_execnz .LBB155_37
	s_branch .LBB155_38
.LBB155_72:
	v_add_u32_e32 v14, v13, v0
	v_mov_b32_e32 v15, 0
	v_lshlrev_b64 v[14:15], 1, v[14:15]
	s_waitcnt lgkmcnt(0)
	v_mov_b32_e32 v16, s13
	v_add_co_u32_e64 v14, s[6:7], s12, v14
	v_addc_co_u32_e64 v15, s[6:7], v16, v15, s[6:7]
	global_store_short_d16_hi v[14:15], v12, off
	s_or_b64 exec, exec, s[14:15]
	s_and_saveexec_b64 s[14:15], s[0:1]
	s_cbranch_execz .LBB155_41
.LBB155_73:
	v_add_u32_e32 v14, v13, v6
	v_mov_b32_e32 v15, 0
	v_lshlrev_b64 v[14:15], 1, v[14:15]
	s_waitcnt lgkmcnt(0)
	v_mov_b32_e32 v16, s13
	v_add_co_u32_e64 v14, s[6:7], s12, v14
	v_addc_co_u32_e64 v15, s[6:7], v16, v15, s[6:7]
	global_store_short_d16_hi v[14:15], v11, off
	s_or_b64 exec, exec, s[14:15]
	s_and_saveexec_b64 s[14:15], s[2:3]
	s_cbranch_execz .LBB155_42
.LBB155_74:
	v_add_u32_e32 v14, v13, v7
	v_mov_b32_e32 v15, 0
	v_lshlrev_b64 v[14:15], 1, v[14:15]
	s_waitcnt lgkmcnt(0)
	v_mov_b32_e32 v16, s13
	v_add_co_u32_e64 v14, s[6:7], s12, v14
	v_addc_co_u32_e64 v15, s[6:7], v16, v15, s[6:7]
	global_store_short_d16_hi v[14:15], v10, off
	s_or_b64 exec, exec, s[14:15]
	s_and_saveexec_b64 s[14:15], s[4:5]
	s_cbranch_execnz .LBB155_43
	s_branch .LBB155_44
.LBB155_75:
	v_add_u32_e32 v14, v13, v0
	v_mov_b32_e32 v15, 0
	v_lshlrev_b64 v[14:15], 1, v[14:15]
	s_waitcnt lgkmcnt(0)
	v_mov_b32_e32 v16, s13
	v_add_co_u32_e64 v14, s[6:7], s12, v14
	v_addc_co_u32_e64 v15, s[6:7], v16, v15, s[6:7]
	global_store_short v[14:15], v12, off
	s_or_b64 exec, exec, s[14:15]
	s_and_saveexec_b64 s[14:15], s[0:1]
	s_cbranch_execz .LBB155_47
.LBB155_76:
	v_add_u32_e32 v14, v13, v6
	v_mov_b32_e32 v15, 0
	v_lshlrev_b64 v[14:15], 1, v[14:15]
	s_waitcnt lgkmcnt(0)
	v_mov_b32_e32 v12, s13
	v_add_co_u32_e64 v14, s[6:7], s12, v14
	v_addc_co_u32_e64 v15, s[6:7], v12, v15, s[6:7]
	global_store_short v[14:15], v11, off
	s_or_b64 exec, exec, s[14:15]
	s_and_saveexec_b64 s[14:15], s[2:3]
	s_cbranch_execz .LBB155_48
.LBB155_77:
	v_add_u32_e32 v11, v13, v7
	v_mov_b32_e32 v12, 0
	v_lshlrev_b64 v[11:12], 1, v[11:12]
	s_waitcnt lgkmcnt(0)
	v_mov_b32_e32 v14, s13
	v_add_co_u32_e64 v11, s[6:7], s12, v11
	v_addc_co_u32_e64 v12, s[6:7], v14, v12, s[6:7]
	global_store_short v[11:12], v10, off
	s_or_b64 exec, exec, s[14:15]
	s_and_saveexec_b64 s[14:15], s[4:5]
	s_cbranch_execnz .LBB155_49
	s_branch .LBB155_50
.LBB155_78:
	v_add_u32_e32 v10, v9, v0
	v_mov_b32_e32 v11, 0
	v_lshlrev_b64 v[10:11], 1, v[10:11]
	s_waitcnt lgkmcnt(0)
	v_mov_b32_e32 v12, s13
	v_add_co_u32_e64 v10, s[6:7], s12, v10
	v_addc_co_u32_e64 v11, s[6:7], v12, v11, s[6:7]
	global_store_short_d16_hi v[10:11], v5, off
	s_or_b64 exec, exec, s[14:15]
	s_and_saveexec_b64 s[14:15], s[0:1]
	s_cbranch_execz .LBB155_53
.LBB155_79:
	v_add_u32_e32 v10, v9, v6
	v_mov_b32_e32 v11, 0
	v_lshlrev_b64 v[10:11], 1, v[10:11]
	s_waitcnt lgkmcnt(0)
	v_mov_b32_e32 v12, s13
	v_add_co_u32_e64 v10, s[6:7], s12, v10
	v_addc_co_u32_e64 v11, s[6:7], v12, v11, s[6:7]
	global_store_short_d16_hi v[10:11], v4, off
	s_or_b64 exec, exec, s[14:15]
	s_and_saveexec_b64 s[14:15], s[2:3]
	s_cbranch_execz .LBB155_54
.LBB155_80:
	v_add_u32_e32 v10, v9, v7
	v_mov_b32_e32 v11, 0
	v_lshlrev_b64 v[10:11], 1, v[10:11]
	s_waitcnt lgkmcnt(0)
	v_mov_b32_e32 v12, s13
	v_add_co_u32_e64 v10, s[6:7], s12, v10
	v_addc_co_u32_e64 v11, s[6:7], v12, v11, s[6:7]
	global_store_short_d16_hi v[10:11], v3, off
	s_or_b64 exec, exec, s[14:15]
	s_and_saveexec_b64 s[14:15], s[4:5]
	s_cbranch_execnz .LBB155_55
	s_branch .LBB155_56
.LBB155_81:
	v_add_u32_e32 v9, v1, v0
	v_mov_b32_e32 v10, 0
	v_lshlrev_b64 v[9:10], 1, v[9:10]
	s_waitcnt lgkmcnt(0)
	v_mov_b32_e32 v0, s13
	v_add_co_u32_e32 v9, vcc, s12, v9
	v_addc_co_u32_e32 v10, vcc, v0, v10, vcc
	global_store_short v[9:10], v5, off
	s_or_b64 exec, exec, s[6:7]
	s_and_saveexec_b64 s[6:7], s[0:1]
	s_cbranch_execz .LBB155_59
.LBB155_82:
	v_add_u32_e32 v5, v1, v6
	v_mov_b32_e32 v6, 0
	v_lshlrev_b64 v[5:6], 1, v[5:6]
	s_waitcnt lgkmcnt(0)
	v_mov_b32_e32 v0, s13
	v_add_co_u32_e32 v5, vcc, s12, v5
	v_addc_co_u32_e32 v6, vcc, v0, v6, vcc
	global_store_short v[5:6], v4, off
	s_or_b64 exec, exec, s[6:7]
	s_and_saveexec_b64 s[0:1], s[2:3]
	s_cbranch_execz .LBB155_60
.LBB155_83:
	v_add_u32_e32 v4, v1, v7
	v_mov_b32_e32 v5, 0
	v_lshlrev_b64 v[4:5], 1, v[4:5]
	s_waitcnt lgkmcnt(0)
	v_mov_b32_e32 v0, s13
	v_add_co_u32_e32 v4, vcc, s12, v4
	v_addc_co_u32_e32 v5, vcc, v0, v5, vcc
	global_store_short v[4:5], v3, off
	s_or_b64 exec, exec, s[0:1]
	s_and_b64 exec, exec, s[4:5]
	s_cbranch_execnz .LBB155_61
	s_branch .LBB155_62
	.section	.rodata,"a",@progbits
	.p2align	6, 0x0
	.amdhsa_kernel _ZL12mul_mat_q6_KIN3c104HalfELb0EEvPKvS3_PT_iiiii
		.amdhsa_group_segment_fixed_size 45136
		.amdhsa_private_segment_fixed_size 0
		.amdhsa_kernarg_size 44
		.amdhsa_user_sgpr_count 6
		.amdhsa_user_sgpr_private_segment_buffer 1
		.amdhsa_user_sgpr_dispatch_ptr 0
		.amdhsa_user_sgpr_queue_ptr 0
		.amdhsa_user_sgpr_kernarg_segment_ptr 1
		.amdhsa_user_sgpr_dispatch_id 0
		.amdhsa_user_sgpr_flat_scratch_init 0
		.amdhsa_user_sgpr_private_segment_size 0
		.amdhsa_uses_dynamic_stack 0
		.amdhsa_system_sgpr_private_segment_wavefront_offset 0
		.amdhsa_system_sgpr_workgroup_id_x 1
		.amdhsa_system_sgpr_workgroup_id_y 1
		.amdhsa_system_sgpr_workgroup_id_z 0
		.amdhsa_system_sgpr_workgroup_info 0
		.amdhsa_system_vgpr_workitem_id 1
		.amdhsa_next_free_vgpr 256
		.amdhsa_next_free_sgpr 98
		.amdhsa_reserve_vcc 1
		.amdhsa_reserve_flat_scratch 0
		.amdhsa_float_round_mode_32 0
		.amdhsa_float_round_mode_16_64 0
		.amdhsa_float_denorm_mode_32 3
		.amdhsa_float_denorm_mode_16_64 3
		.amdhsa_dx10_clamp 1
		.amdhsa_ieee_mode 1
		.amdhsa_fp16_overflow 0
		.amdhsa_exception_fp_ieee_invalid_op 0
		.amdhsa_exception_fp_denorm_src 0
		.amdhsa_exception_fp_ieee_div_zero 0
		.amdhsa_exception_fp_ieee_overflow 0
		.amdhsa_exception_fp_ieee_underflow 0
		.amdhsa_exception_fp_ieee_inexact 0
		.amdhsa_exception_int_div_zero 0
	.end_amdhsa_kernel
	.section	.text._ZL12mul_mat_q6_KIN3c104HalfELb0EEvPKvS3_PT_iiiii,"axG",@progbits,_ZL12mul_mat_q6_KIN3c104HalfELb0EEvPKvS3_PT_iiiii,comdat
.Lfunc_end155:
	.size	_ZL12mul_mat_q6_KIN3c104HalfELb0EEvPKvS3_PT_iiiii, .Lfunc_end155-_ZL12mul_mat_q6_KIN3c104HalfELb0EEvPKvS3_PT_iiiii
                                        ; -- End function
	.set _ZL12mul_mat_q6_KIN3c104HalfELb0EEvPKvS3_PT_iiiii.num_vgpr, 256
	.set _ZL12mul_mat_q6_KIN3c104HalfELb0EEvPKvS3_PT_iiiii.num_agpr, 0
	.set _ZL12mul_mat_q6_KIN3c104HalfELb0EEvPKvS3_PT_iiiii.numbered_sgpr, 22
	.set _ZL12mul_mat_q6_KIN3c104HalfELb0EEvPKvS3_PT_iiiii.num_named_barrier, 0
	.set _ZL12mul_mat_q6_KIN3c104HalfELb0EEvPKvS3_PT_iiiii.private_seg_size, 0
	.set _ZL12mul_mat_q6_KIN3c104HalfELb0EEvPKvS3_PT_iiiii.uses_vcc, 1
	.set _ZL12mul_mat_q6_KIN3c104HalfELb0EEvPKvS3_PT_iiiii.uses_flat_scratch, 0
	.set _ZL12mul_mat_q6_KIN3c104HalfELb0EEvPKvS3_PT_iiiii.has_dyn_sized_stack, 0
	.set _ZL12mul_mat_q6_KIN3c104HalfELb0EEvPKvS3_PT_iiiii.has_recursion, 0
	.set _ZL12mul_mat_q6_KIN3c104HalfELb0EEvPKvS3_PT_iiiii.has_indirect_call, 0
	.section	.AMDGPU.csdata,"",@progbits
; Kernel info:
; codeLenInByte = 23152
; TotalNumSgprs: 26
; NumVgprs: 256
; ScratchSize: 0
; MemoryBound: 0
; FloatMode: 240
; IeeeMode: 1
; LDSByteSize: 45136 bytes/workgroup (compile time only)
; SGPRBlocks: 12
; VGPRBlocks: 63
; NumSGPRsForWavesPerEU: 102
; NumVGPRsForWavesPerEU: 256
; Occupancy: 1
; WaveLimiterHint : 0
; COMPUTE_PGM_RSRC2:SCRATCH_EN: 0
; COMPUTE_PGM_RSRC2:USER_SGPR: 6
; COMPUTE_PGM_RSRC2:TRAP_HANDLER: 0
; COMPUTE_PGM_RSRC2:TGID_X_EN: 1
; COMPUTE_PGM_RSRC2:TGID_Y_EN: 1
; COMPUTE_PGM_RSRC2:TGID_Z_EN: 0
; COMPUTE_PGM_RSRC2:TIDIG_COMP_CNT: 1
	.section	.text._ZL12mul_mat_q6_KIN3c104HalfELb1EEvPKvS3_PT_iiiii,"axG",@progbits,_ZL12mul_mat_q6_KIN3c104HalfELb1EEvPKvS3_PT_iiiii,comdat
	.globl	_ZL12mul_mat_q6_KIN3c104HalfELb1EEvPKvS3_PT_iiiii ; -- Begin function _ZL12mul_mat_q6_KIN3c104HalfELb1EEvPKvS3_PT_iiiii
	.p2align	8
	.type	_ZL12mul_mat_q6_KIN3c104HalfELb1EEvPKvS3_PT_iiiii,@function
_ZL12mul_mat_q6_KIN3c104HalfELb1EEvPKvS3_PT_iiiii: ; @_ZL12mul_mat_q6_KIN3c104HalfELb1EEvPKvS3_PT_iiiii
; %bb.0:
	s_mov_b64 s[26:27], s[2:3]
	s_mov_b64 s[24:25], s[0:1]
	s_add_u32 s24, s24, s8
	s_load_dwordx4 s[8:11], s[4:5], 0x18
	s_load_dword s14, s[4:5], 0x28
	s_addc_u32 s25, s25, 0
	s_lshl_b32 s15, s7, 6
	v_add_u32_e32 v49, s15, v1
	s_waitcnt lgkmcnt(0)
	s_cmpk_gt_i32 s8, 0xff
	s_cbranch_scc1 .LBB156_2
; %bb.1:
	v_add_u32_e32 v6, s15, v1
	s_mov_b64 s[0:1], 0
	s_branch .LBB156_3
.LBB156_2:
	s_mov_b64 s[0:1], -1
                                        ; implicit-def: $vgpr6
.LBB156_3:
	s_load_dwordx2 s[12:13], s[4:5], 0x10
	s_lshl_b32 s6, s6, 7
	s_mov_b32 s7, 0
	v_mov_b32_e32 v2, 0
	s_andn2_b64 vcc, exec, s[0:1]
	v_mov_b32_e32 v9, 0
	v_mov_b32_e32 v13, 0
	;; [unrolled: 1-line block ×15, first 2 shown]
	s_cbranch_vccnz .LBB156_11
; %bb.4:
	s_load_dwordx4 s[0:3], s[4:5], 0x0
	s_ashr_i32 s4, s8, 31
	s_lshr_b32 s4, s4, 24
	s_add_i32 s4, s8, s4
	s_ashr_i32 s5, s11, 31
	s_ashr_i32 s4, s4, 8
	s_lshr_b32 s5, s5, 27
	s_add_i32 s5, s11, s5
	s_mul_i32 s8, s4, s6
	v_lshrrev_b32_e32 v4, 1, v0
	v_and_b32_e32 v5, 7, v0
	s_ashr_i32 s16, s5, 5
	s_mul_hi_i32 s11, s8, 0xd2
	s_mulk_i32 s8, 0xd2
	v_and_b32_e32 v2, 31, v0
	v_and_or_b32 v4, v4, 8, v5
	s_waitcnt lgkmcnt(0)
	s_add_u32 s8, s0, s8
	v_lshlrev_b32_e32 v136, 2, v4
	v_add_u16_e32 v4, -16, v2
	v_cmp_gt_u32_e32 vcc, 16, v2
	s_addc_u32 s11, s1, s11
	s_not_b32 s0, s6
	v_lshlrev_b32_e32 v3, 1, v2
	v_lshlrev_b32_e32 v135, 2, v2
	v_cndmask_b32_e32 v2, v4, v2, vcc
	s_add_i32 s9, s9, s0
	v_cmp_lt_u16_e64 s[0:1], 7, v2
	v_add_u32_e32 v2, 0xe0, v3
	v_cndmask_b32_e32 v2, v2, v3, vcc
	v_and_b32_e32 v2, 0xfe, v2
	v_sub_u32_e32 v2, v3, v2
	v_and_b32_e32 v3, 15, v0
	v_cndmask_b32_e64 v137, 0, 2, s[0:1]
	v_min_i32_e32 v4, s9, v1
	v_add_lshl_u32 v2, v2, v3, 2
	s_movk_i32 s0, 0x104
	v_add_u32_e32 v15, 8, v1
	v_mad_u64_u32 v[20:21], s[18:19], v4, s0, v[2:3]
	v_min_i32_e32 v3, s9, v15
	v_add_u32_e32 v16, 16, v1
	v_mul_lo_u32 v139, v3, s4
	v_mad_u64_u32 v[21:22], s[18:19], v3, s0, v[2:3]
	v_min_i32_e32 v3, s9, v16
	v_add_u32_e32 v17, 24, v1
	v_mul_lo_u32 v140, v3, s4
	;; [unrolled: 4-line block ×6, first 2 shown]
	v_mad_u64_u32 v[26:27], s[18:19], v3, s0, v[2:3]
	v_min_i32_e32 v3, s9, v40
	v_mul_lo_u32 v145, v3, s4
	v_mad_u64_u32 v[27:28], s[18:19], v3, s0, v[2:3]
	v_add_u32_e32 v3, 64, v1
	v_min_i32_e32 v3, s9, v3
	v_mul_lo_u32 v146, v3, s4
	v_mad_u64_u32 v[28:29], s[18:19], v3, s0, v[2:3]
	v_add_u32_e32 v3, 0x48, v1
	;; [unrolled: 4-line block ×8, first 2 shown]
	v_min_i32_e32 v3, s9, v3
	v_lshlrev_b32_e32 v154, 5, v1
	v_mad_u64_u32 v[35:36], s[18:19], v3, s0, v[2:3]
	v_add_u32_e32 v2, v154, v0
	v_and_b32_e32 v2, 0x7f, v2
	v_min_i32_e32 v2, s9, v2
	v_mul_lo_u32 v153, v3, s4
	v_ashrrev_i32_e32 v3, 31, v2
	v_lshrrev_b32_e32 v3, 27, v3
	v_add_u32_e32 v3, v2, v3
	v_ashrrev_i32_e32 v3, 5, v3
	v_mul_lo_u32 v155, v2, s4
	v_lshlrev_b32_e32 v3, 2, v3
	v_lshlrev_b32_e32 v2, 2, v2
	s_mov_b32 s1, 0xae40
	v_mul_lo_u32 v5, v4, s4
	v_add3_u32 v156, v3, v2, s1
	v_lshrrev_b32_e32 v2, 2, v0
	v_lshl_add_u32 v7, v1, 3, v2
	v_and_b32_e32 v3, 0x7f, v7
	v_min_i32_e32 v4, s9, v3
	buffer_store_dword v5, off, s[24:27], 0 ; 4-byte Folded Spill
	v_ashrrev_i32_e32 v5, 31, v4
	v_xor_b32_e32 v3, 64, v3
	v_lshrrev_b32_e32 v5, 29, v5
	v_min_i32_e32 v3, s9, v3
	v_mul_lo_u32 v158, v4, s4
	v_add_u32_e32 v5, v4, v5
	v_lshlrev_b32_e32 v42, 4, v4
	v_ashrrev_i32_e32 v4, 31, v3
	v_lshrrev_b32_e32 v4, 29, v4
	v_add_u32_e32 v4, v3, v4
	v_and_b32_e32 v2, 3, v0
	v_ashrrev_i32_e32 v5, 3, v5
	v_ashrrev_i32_e32 v4, 3, v4
	v_lshlrev_b32_e32 v157, 2, v2
	v_lshlrev_b32_e32 v5, 2, v5
	s_mov_b32 s17, 0xa200
	v_lshlrev_b32_e32 v4, 2, v4
	s_add_i32 s9, s10, -1
	v_add3_u32 v41, v5, v157, s17
	v_mul_lo_u32 v159, v3, s4
	v_add3_u32 v43, v4, v157, s17
	v_lshlrev_b32_e32 v44, 4, v3
	v_cvt_f64_i32_e32 v[3:4], s9
	v_cvt_f64_u32_e32 v[5:6], v49
	v_and_b32_e32 v11, 63, v7
	v_add_u32_e32 v7, 8, v49
	v_cvt_f64_u32_e32 v[7:8], v7
	v_add_u32_e32 v9, 16, v49
	v_min_f64 v[5:6], v[5:6], v[3:4]
	v_cvt_f64_u32_e32 v[9:10], v9
	v_min_f64 v[7:8], v[7:8], v[3:4]
	v_or_b32_e32 v12, s15, v11
	v_min_i32_e32 v12, s9, v12
	v_min_f64 v[9:10], v[9:10], v[3:4]
	v_mad_u64_u32 v[36:37], s[18:19], v12, s16, v[2:3]
	v_cvt_i32_f64_e32 v5, v[5:6]
	v_lshl_or_b32 v2, v11, 4, v157
	v_add_u32_e32 v161, 0xaa40, v2
	v_cvt_i32_f64_e32 v2, v[7:8]
	v_mul_lo_u32 v163, s16, v5
	v_cvt_i32_f64_e32 v5, v[9:10]
	buffer_store_dword v1, off, s[24:27], 0 offset:8 ; 4-byte Folded Spill
	v_mul_lo_u32 v164, s16, v2
	v_add_u32_e32 v2, 24, v49
	v_mul_lo_u32 v165, s16, v5
	v_cvt_f64_u32_e32 v[5:6], v2
	v_add_u32_e32 v2, 32, v49
	v_cvt_f64_u32_e32 v[7:8], v2
	v_add_u32_e32 v2, 40, v49
	v_min_f64 v[5:6], v[5:6], v[3:4]
	v_cvt_f64_u32_e32 v[9:10], v2
	v_add_u32_e32 v2, 48, v49
	v_cvt_f64_u32_e32 v[11:12], v2
	v_min_f64 v[7:8], v[7:8], v[3:4]
	v_min_f64 v[9:10], v[9:10], v[3:4]
	v_lshlrev_b32_e32 v37, 7, v1
	v_mov_b32_e32 v1, v49
	v_add_u32_e32 v2, 56, v49
	v_cvt_i32_f64_e32 v49, v[5:6]
	v_min_f64 v[5:6], v[11:12], v[3:4]
	v_cvt_f64_u32_e32 v[13:14], v2
	v_lshrrev_b32_e32 v50, 5, v0
	v_cvt_i32_f64_e32 v7, v[7:8]
	v_cvt_i32_f64_e32 v8, v[9:10]
	v_min_f64 v[2:3], v[13:14], v[3:4]
	v_lshlrev_b32_e32 v160, 2, v0
	v_mov_b32_e32 v18, 0
	v_cvt_i32_f64_e32 v5, v[5:6]
	v_lshlrev_b32_e32 v6, 2, v50
	v_add3_u32 v171, v160, v6, s1
	v_add_u32_e32 v6, 32, v0
	v_lshrrev_b32_e32 v172, 3, v6
	v_mul_lo_u32 v168, s16, v8
	v_lshlrev_b32_e32 v8, 2, v6
	v_and_b32_e32 v6, 60, v172
	v_add3_u32 v173, v160, v6, s1
	v_add_u32_e32 v6, 64, v0
	v_lshrrev_b32_e32 v174, 3, v6
	v_lshlrev_b32_e32 v9, 2, v6
	v_and_b32_e32 v6, 60, v174
	v_cvt_i32_f64_e32 v2, v[2:3]
	v_add3_u32 v175, v160, v6, s1
	v_add_u32_e32 v6, 0x60, v0
	v_lshrrev_b32_e32 v176, 3, v6
	v_lshlrev_b32_e32 v10, 2, v6
	v_and_b32_e32 v6, 60, v176
	v_add3_u32 v177, v160, v6, s1
	v_mov_b32_e32 v6, 0x2080
	v_mul_lo_u32 v166, s16, v49
	v_mul_lo_u32 v167, s16, v7
	;; [unrolled: 1-line block ×4, first 2 shown]
	v_mad_u32_u24 v186, v0, s0, v6
	v_mov_b32_e32 v6, 0x4100
	v_and_b32_e32 v45, 28, v160
	v_or_b32_e32 v46, 0x8200, v135
	v_lshlrev_b32_e32 v47, 7, v15
	v_lshlrev_b32_e32 v48, 7, v16
	v_lshlrev_b32_e32 v4, 7, v17
	v_lshlrev_b32_e32 v7, 7, v19
	v_lshlrev_b32_e32 v3, 7, v38
	v_lshlrev_b32_e32 v5, 7, v39
	v_lshlrev_b32_e32 v2, 7, v40
	v_lshlrev_b32_e32 v181, 5, v19
	v_mad_u32_u24 v187, v0, s0, v6
	v_mov_b32_e32 v6, 0x6180
	v_mov_b32_e32 v19, v18
	v_lshrrev_b32_e32 v162, 3, v0
	v_lshlrev_b32_e32 v182, 5, v38
	v_lshlrev_b32_e32 v183, 5, v39
	;; [unrolled: 1-line block ×3, first 2 shown]
	v_mul_u32_u24_e32 v185, 0x104, v0
	buffer_store_dword v0, off, s[24:27], 0 offset:4 ; 4-byte Folded Spill
	v_mad_u32_u24 v188, v0, s0, v6
	v_mov_b32_e32 v0, v50
	v_mov_b32_e32 v6, s3
	v_add_co_u32_e32 v53, vcc, s2, v45
	v_add_u32_e32 v189, v41, v42
	v_add_u32_e32 v190, v43, v44
	;; [unrolled: 1-line block ×10, first 2 shown]
	v_mov_b32_e32 v56, v19
	v_mov_b32_e32 v46, v19
	v_mov_b32_e32 v38, v19
	v_mov_b32_e32 v64, v19
	v_mov_b32_e32 v58, v19
	v_mov_b32_e32 v48, v19
	v_mov_b32_e32 v40, v19
	v_mov_b32_e32 v66, v19
	v_mov_b32_e32 v60, v19
	v_mov_b32_e32 v50, v19
	v_mov_b32_e32 v42, v19
	v_mov_b32_e32 v68, v19
	v_mov_b32_e32 v62, v19
	v_mov_b32_e32 v52, v19
	v_mov_b32_e32 v44, v19
	s_movk_i32 s5, 0xd2
	v_lshlrev_b32_e32 v178, 5, v15
	v_lshlrev_b32_e32 v179, 5, v16
	;; [unrolled: 1-line block ×3, first 2 shown]
	v_addc_co_u32_e32 v54, vcc, 0, v6, vcc
	s_mov_b32 s9, 0x30303030
	s_movk_i32 s16, 0x3f00
	s_movk_i32 s17, 0xe000
	v_mov_b32_e32 v199, 8
	v_lshlrev_b32_e32 v200, 2, v8
	v_lshlrev_b32_e32 v201, 2, v9
	;; [unrolled: 1-line block ×3, first 2 shown]
	v_mov_b32_e32 v55, v18
	v_mov_b32_e32 v45, v18
	v_mov_b32_e32 v37, v18
	v_mov_b32_e32 v63, v18
	v_mov_b32_e32 v57, v18
	v_mov_b32_e32 v47, v18
	v_mov_b32_e32 v39, v18
	v_mov_b32_e32 v65, v18
	v_mov_b32_e32 v59, v18
	v_mov_b32_e32 v49, v18
	v_mov_b32_e32 v41, v18
	v_mov_b32_e32 v67, v18
	v_mov_b32_e32 v61, v18
	v_mov_b32_e32 v51, v18
	v_mov_b32_e32 v43, v18
.LBB156_5:                              ; =>This Loop Header: Depth=1
                                        ;     Child Loop BB156_6 Depth 2
                                        ;     Child Loop BB156_8 Depth 2
	buffer_load_dword v6, off, s[24:27], 0  ; 4-byte Folded Reload
	s_mul_i32 s0, s7, 0xd2
	s_mul_hi_u32 s1, s7, 0xd2
	s_add_u32 s0, s8, s0
	s_addc_u32 s1, s11, s1
	v_mov_b32_e32 v3, s1
	v_mov_b32_e32 v2, s0
	v_mad_u64_u32 v[4:5], s[0:1], v0, s5, v[2:3]
	s_lshl_b32 s18, s7, 3
	v_add_u32_e32 v117, s18, v36
	v_mad_i64_i32 v[10:11], s[0:1], v139, s5, v[4:5]
	s_mov_b32 s20, 0
	s_waitcnt vmcnt(0)
	v_mad_i64_i32 v[6:7], s[0:1], v6, s5, v[4:5]
	v_add_co_u32_e32 v8, vcc, v6, v135
	v_addc_co_u32_e32 v9, vcc, 0, v7, vcc
	v_add_co_u32_e32 v6, vcc, v6, v136
	v_addc_co_u32_e32 v7, vcc, 0, v7, vcc
	;; [unrolled: 2-line block ×3, first 2 shown]
	global_load_dword v14, v[8:9], off
	global_load_dword v15, v[6:7], off offset:128
	s_nop 0
	global_load_dword v12, v[12:13], off
	v_add_co_u32_e32 v6, vcc, v10, v136
	v_addc_co_u32_e32 v7, vcc, 0, v11, vcc
	global_load_dword v10, v[6:7], off offset:128
	v_mad_i64_i32 v[6:7], s[0:1], v140, s5, v[4:5]
	v_add_co_u32_e32 v8, vcc, v6, v135
	v_addc_co_u32_e32 v9, vcc, 0, v7, vcc
	v_add_co_u32_e32 v6, vcc, v6, v136
	v_addc_co_u32_e32 v7, vcc, 0, v7, vcc
	global_load_dword v11, v[8:9], off
	global_load_dword v13, v[6:7], off offset:128
	v_mad_i64_i32 v[6:7], s[0:1], v141, s5, v[4:5]
	v_add_co_u32_e32 v8, vcc, v6, v135
	v_addc_co_u32_e32 v9, vcc, 0, v7, vcc
	v_add_co_u32_e32 v6, vcc, v6, v136
	v_addc_co_u32_e32 v7, vcc, 0, v7, vcc
	global_load_dword v16, v[8:9], off
	global_load_dword v17, v[6:7], off offset:128
	s_waitcnt vmcnt(7)
	v_lshrrev_b32_e32 v7, 4, v14
	s_waitcnt vmcnt(6)
	v_ashrrev_i32_e32 v8, v137, v15
	v_and_b32_e32 v6, 0xf0f0f0f, v14
	v_and_b32_e32 v7, 0xf0f0f0f, v7
	v_lshlrev_b32_e32 v14, 4, v8
	s_waitcnt vmcnt(5)
	v_and_b32_e32 v9, 0xf0f0f0f, v12
	v_and_or_b32 v6, v14, s9, v6
	s_waitcnt vmcnt(4)
	v_ashrrev_i32_e32 v10, v137, v10
	v_lshlrev_b32_e32 v15, 4, v10
	v_and_or_b32 v7, v8, s9, v7
	v_and_or_b32 v8, v15, s9, v9
	v_and_b32_e32 v9, 0x3f00, v6
	v_lshlrev_b16_e32 v14, 8, v6
	v_and_b32_sdwa v15, v6, s16 dst_sel:DWORD dst_unused:UNUSED_PAD src0_sel:WORD_1 src1_sel:DWORD
	v_lshlrev_b16_sdwa v6, v199, v6 dst_sel:DWORD dst_unused:UNUSED_PAD src0_sel:DWORD src1_sel:WORD_1
	v_and_b32_e32 v69, 0x3f00, v7
	v_lshlrev_b16_e32 v70, 8, v7
	v_and_b32_sdwa v71, v7, s16 dst_sel:DWORD dst_unused:UNUSED_PAD src0_sel:WORD_1 src1_sel:DWORD
	v_lshlrev_b16_sdwa v7, v199, v7 dst_sel:DWORD dst_unused:UNUSED_PAD src0_sel:DWORD src1_sel:WORD_1
	v_add_u16_e32 v14, 0xe000, v14
	v_add_u16_e32 v6, 0xe000, v6
	;; [unrolled: 1-line block ×4, first 2 shown]
	v_or_b32_sdwa v9, v9, v14 dst_sel:DWORD dst_unused:UNUSED_PAD src0_sel:DWORD src1_sel:BYTE_1
	v_or_b32_sdwa v6, v15, v6 dst_sel:DWORD dst_unused:UNUSED_PAD src0_sel:DWORD src1_sel:BYTE_1
	;; [unrolled: 1-line block ×4, first 2 shown]
	v_lshrrev_b32_e32 v12, 4, v12
	v_add_u16_e32 v9, 0xe000, v9
	v_add_u16_sdwa v6, v6, s17 dst_sel:WORD_1 dst_unused:UNUSED_PAD src0_sel:DWORD src1_sel:DWORD
	v_add_u16_e32 v14, 0xe000, v14
	v_add_u16_sdwa v7, v7, s17 dst_sel:WORD_1 dst_unused:UNUSED_PAD src0_sel:DWORD src1_sel:DWORD
	v_and_b32_e32 v12, 0xf0f0f0f, v12
	v_or_b32_e32 v6, v9, v6
	v_or_b32_e32 v7, v14, v7
	ds_write2_b32 v20, v6, v7 offset1:16
	v_and_or_b32 v6, v10, s9, v12
	v_lshlrev_b16_e32 v9, 8, v6
	v_and_b32_e32 v7, 0x3f00, v6
	v_add_u16_e32 v9, 0xe000, v9
	v_and_b32_e32 v72, 0x3f00, v8
	v_lshlrev_b16_e32 v73, 8, v8
	v_and_b32_sdwa v74, v8, s16 dst_sel:DWORD dst_unused:UNUSED_PAD src0_sel:WORD_1 src1_sel:DWORD
	v_lshlrev_b16_sdwa v8, v199, v8 dst_sel:DWORD dst_unused:UNUSED_PAD src0_sel:DWORD src1_sel:WORD_1
	v_or_b32_sdwa v7, v7, v9 dst_sel:DWORD dst_unused:UNUSED_PAD src0_sel:DWORD src1_sel:BYTE_1
	v_and_b32_sdwa v9, v6, s16 dst_sel:DWORD dst_unused:UNUSED_PAD src0_sel:WORD_1 src1_sel:DWORD
	v_lshlrev_b16_sdwa v6, v199, v6 dst_sel:DWORD dst_unused:UNUSED_PAD src0_sel:DWORD src1_sel:WORD_1
	v_add_u16_e32 v73, 0xe000, v73
	v_add_u16_e32 v8, 0xe000, v8
	;; [unrolled: 1-line block ×3, first 2 shown]
	v_or_b32_sdwa v15, v72, v73 dst_sel:DWORD dst_unused:UNUSED_PAD src0_sel:DWORD src1_sel:BYTE_1
	v_or_b32_sdwa v8, v74, v8 dst_sel:DWORD dst_unused:UNUSED_PAD src0_sel:DWORD src1_sel:BYTE_1
	;; [unrolled: 1-line block ×3, first 2 shown]
	v_add_u16_e32 v15, 0xe000, v15
	v_add_u16_sdwa v8, v8, s17 dst_sel:WORD_1 dst_unused:UNUSED_PAD src0_sel:DWORD src1_sel:DWORD
	v_add_u16_e32 v7, 0xe000, v7
	v_add_u16_sdwa v6, v6, s17 dst_sel:WORD_1 dst_unused:UNUSED_PAD src0_sel:DWORD src1_sel:DWORD
	v_or_b32_e32 v8, v15, v8
	v_or_b32_e32 v6, v7, v6
	ds_write2_b32 v21, v8, v6 offset1:16
	s_waitcnt vmcnt(2)
	v_ashrrev_i32_e32 v8, v137, v13
	v_and_b32_e32 v6, 0xf0f0f0f, v11
	v_lshlrev_b32_e32 v9, 4, v8
	v_and_or_b32 v6, v9, s9, v6
	v_lshlrev_b16_e32 v10, 8, v6
	v_and_b32_e32 v9, 0x3f00, v6
	v_add_u16_e32 v10, 0xe000, v10
	v_or_b32_sdwa v9, v9, v10 dst_sel:DWORD dst_unused:UNUSED_PAD src0_sel:DWORD src1_sel:BYTE_1
	v_and_b32_sdwa v10, v6, s16 dst_sel:DWORD dst_unused:UNUSED_PAD src0_sel:WORD_1 src1_sel:DWORD
	v_lshlrev_b16_sdwa v6, v199, v6 dst_sel:DWORD dst_unused:UNUSED_PAD src0_sel:DWORD src1_sel:WORD_1
	v_add_u16_e32 v6, 0xe000, v6
	v_lshrrev_b32_e32 v7, 4, v11
	v_or_b32_sdwa v6, v10, v6 dst_sel:DWORD dst_unused:UNUSED_PAD src0_sel:DWORD src1_sel:BYTE_1
	v_and_b32_e32 v7, 0xf0f0f0f, v7
	v_add_u16_e32 v9, 0xe000, v9
	v_add_u16_sdwa v6, v6, s17 dst_sel:WORD_1 dst_unused:UNUSED_PAD src0_sel:DWORD src1_sel:DWORD
	v_or_b32_e32 v10, v9, v6
	v_and_or_b32 v11, v8, s9, v7
	v_mad_i64_i32 v[6:7], s[0:1], v142, s5, v[4:5]
	v_lshlrev_b16_e32 v13, 8, v11
	v_and_b32_e32 v12, 0x3f00, v11
	v_add_co_u32_e32 v8, vcc, v6, v135
	v_addc_co_u32_e32 v9, vcc, 0, v7, vcc
	v_add_co_u32_e32 v6, vcc, v6, v136
	v_addc_co_u32_e32 v7, vcc, 0, v7, vcc
	global_load_dword v14, v[8:9], off
	global_load_dword v15, v[6:7], off offset:128
	v_lshlrev_b16_sdwa v8, v199, v11 dst_sel:DWORD dst_unused:UNUSED_PAD src0_sel:DWORD src1_sel:WORD_1
	v_add_u16_e32 v6, 0xe000, v13
	v_and_b32_sdwa v7, v11, s16 dst_sel:DWORD dst_unused:UNUSED_PAD src0_sel:WORD_1 src1_sel:DWORD
	v_add_u16_e32 v8, 0xe000, v8
	v_or_b32_sdwa v6, v12, v6 dst_sel:DWORD dst_unused:UNUSED_PAD src0_sel:DWORD src1_sel:BYTE_1
	v_or_b32_sdwa v7, v7, v8 dst_sel:DWORD dst_unused:UNUSED_PAD src0_sel:DWORD src1_sel:BYTE_1
	v_add_u16_e32 v6, 0xe000, v6
	v_add_u16_sdwa v7, v7, s17 dst_sel:WORD_1 dst_unused:UNUSED_PAD src0_sel:DWORD src1_sel:DWORD
	v_or_b32_e32 v6, v6, v7
	s_waitcnt vmcnt(3)
	v_lshrrev_b32_e32 v7, 4, v16
	s_waitcnt vmcnt(2)
	v_ashrrev_i32_e32 v11, v137, v17
	ds_write2_b32 v22, v10, v6 offset1:16
	v_and_b32_e32 v6, 0xf0f0f0f, v16
	v_and_b32_e32 v10, 0xf0f0f0f, v7
	v_lshlrev_b32_e32 v7, 4, v11
	v_and_or_b32 v12, v7, s9, v6
	v_mad_i64_i32 v[6:7], s[0:1], v143, s5, v[4:5]
	v_lshlrev_b16_e32 v16, 8, v12
	v_and_b32_e32 v13, 0x3f00, v12
	v_add_co_u32_e32 v8, vcc, v6, v135
	v_addc_co_u32_e32 v9, vcc, 0, v7, vcc
	v_add_co_u32_e32 v6, vcc, v6, v136
	v_addc_co_u32_e32 v7, vcc, 0, v7, vcc
	global_load_dword v17, v[8:9], off
	global_load_dword v69, v[6:7], off offset:128
	v_lshlrev_b16_sdwa v8, v199, v12 dst_sel:DWORD dst_unused:UNUSED_PAD src0_sel:DWORD src1_sel:WORD_1
	v_add_u16_e32 v6, 0xe000, v16
	v_and_b32_sdwa v7, v12, s16 dst_sel:DWORD dst_unused:UNUSED_PAD src0_sel:WORD_1 src1_sel:DWORD
	v_add_u16_e32 v8, 0xe000, v8
	v_or_b32_sdwa v6, v13, v6 dst_sel:DWORD dst_unused:UNUSED_PAD src0_sel:DWORD src1_sel:BYTE_1
	v_or_b32_sdwa v7, v7, v8 dst_sel:DWORD dst_unused:UNUSED_PAD src0_sel:DWORD src1_sel:BYTE_1
	v_add_u16_e32 v6, 0xe000, v6
	v_add_u16_sdwa v7, v7, s17 dst_sel:WORD_1 dst_unused:UNUSED_PAD src0_sel:DWORD src1_sel:DWORD
	v_and_or_b32 v8, v11, s9, v10
	v_or_b32_e32 v12, v6, v7
	v_lshlrev_b16_e32 v7, 8, v8
	v_and_b32_e32 v6, 0x3f00, v8
	v_add_u16_e32 v7, 0xe000, v7
	v_or_b32_sdwa v6, v6, v7 dst_sel:DWORD dst_unused:UNUSED_PAD src0_sel:DWORD src1_sel:BYTE_1
	v_add_u16_e32 v10, 0xe000, v6
	v_mad_i64_i32 v[6:7], s[0:1], v144, s5, v[4:5]
	v_and_b32_sdwa v11, v8, s16 dst_sel:DWORD dst_unused:UNUSED_PAD src0_sel:WORD_1 src1_sel:DWORD
	v_lshlrev_b16_sdwa v8, v199, v8 dst_sel:DWORD dst_unused:UNUSED_PAD src0_sel:DWORD src1_sel:WORD_1
	v_add_u16_e32 v13, 0xe000, v8
	v_add_co_u32_e32 v8, vcc, v6, v135
	v_addc_co_u32_e32 v9, vcc, 0, v7, vcc
	v_add_co_u32_e32 v6, vcc, v6, v136
	v_addc_co_u32_e32 v7, vcc, 0, v7, vcc
	global_load_dword v16, v[8:9], off
	global_load_dword v70, v[6:7], off offset:128
	v_or_b32_sdwa v6, v11, v13 dst_sel:DWORD dst_unused:UNUSED_PAD src0_sel:DWORD src1_sel:BYTE_1
	v_add_u16_sdwa v8, v6, s17 dst_sel:WORD_1 dst_unused:UNUSED_PAD src0_sel:DWORD src1_sel:DWORD
	v_mad_i64_i32 v[6:7], s[0:1], v145, s5, v[4:5]
	v_or_b32_e32 v8, v10, v8
	ds_write2_b32 v23, v12, v8 offset1:16
	v_add_co_u32_e32 v8, vcc, v6, v135
	v_addc_co_u32_e32 v9, vcc, 0, v7, vcc
	v_add_co_u32_e32 v6, vcc, v6, v136
	v_addc_co_u32_e32 v7, vcc, 0, v7, vcc
	global_load_dword v10, v[8:9], off
	global_load_dword v11, v[6:7], off offset:128
	v_add_u32_e32 v73, s18, v162
	s_waitcnt vmcnt(7)
	v_and_b32_e32 v6, 0xf0f0f0f, v14
	s_waitcnt vmcnt(6)
	v_ashrrev_i32_e32 v8, v137, v15
	v_lshlrev_b32_e32 v9, 4, v8
	v_and_or_b32 v6, v9, s9, v6
	v_lshlrev_b16_e32 v12, 8, v6
	v_and_b32_e32 v9, 0x3f00, v6
	v_add_u16_e32 v12, 0xe000, v12
	v_or_b32_sdwa v9, v9, v12 dst_sel:DWORD dst_unused:UNUSED_PAD src0_sel:DWORD src1_sel:BYTE_1
	v_and_b32_sdwa v12, v6, s16 dst_sel:DWORD dst_unused:UNUSED_PAD src0_sel:WORD_1 src1_sel:DWORD
	v_lshlrev_b16_sdwa v6, v199, v6 dst_sel:DWORD dst_unused:UNUSED_PAD src0_sel:DWORD src1_sel:WORD_1
	v_lshrrev_b32_e32 v7, 4, v14
	v_add_u16_e32 v6, 0xe000, v6
	v_and_b32_e32 v7, 0xf0f0f0f, v7
	v_or_b32_sdwa v6, v12, v6 dst_sel:DWORD dst_unused:UNUSED_PAD src0_sel:DWORD src1_sel:BYTE_1
	v_add_u16_e32 v9, 0xe000, v9
	v_add_u16_sdwa v6, v6, s17 dst_sel:WORD_1 dst_unused:UNUSED_PAD src0_sel:DWORD src1_sel:DWORD
	v_and_or_b32 v7, v8, s9, v7
	v_or_b32_e32 v6, v9, v6
	v_lshlrev_b16_e32 v9, 8, v7
	v_and_b32_e32 v8, 0x3f00, v7
	v_add_u16_e32 v9, 0xe000, v9
	v_or_b32_sdwa v8, v8, v9 dst_sel:DWORD dst_unused:UNUSED_PAD src0_sel:DWORD src1_sel:BYTE_1
	v_and_b32_sdwa v9, v7, s16 dst_sel:DWORD dst_unused:UNUSED_PAD src0_sel:WORD_1 src1_sel:DWORD
	v_lshlrev_b16_sdwa v7, v199, v7 dst_sel:DWORD dst_unused:UNUSED_PAD src0_sel:DWORD src1_sel:WORD_1
	v_add_u16_e32 v7, 0xe000, v7
	v_or_b32_sdwa v7, v9, v7 dst_sel:DWORD dst_unused:UNUSED_PAD src0_sel:DWORD src1_sel:BYTE_1
	v_add_u16_e32 v8, 0xe000, v8
	v_add_u16_sdwa v7, v7, s17 dst_sel:WORD_1 dst_unused:UNUSED_PAD src0_sel:DWORD src1_sel:DWORD
	v_or_b32_e32 v7, v8, v7
	ds_write2_b32 v24, v6, v7 offset1:16
	s_waitcnt vmcnt(5)
	v_and_b32_e32 v6, 0xf0f0f0f, v17
	s_waitcnt vmcnt(4)
	v_ashrrev_i32_e32 v8, v137, v69
	v_lshlrev_b32_e32 v9, 4, v8
	v_and_or_b32 v6, v9, s9, v6
	v_lshlrev_b16_e32 v12, 8, v6
	v_and_b32_e32 v9, 0x3f00, v6
	v_add_u16_e32 v12, 0xe000, v12
	v_or_b32_sdwa v9, v9, v12 dst_sel:DWORD dst_unused:UNUSED_PAD src0_sel:DWORD src1_sel:BYTE_1
	v_and_b32_sdwa v12, v6, s16 dst_sel:DWORD dst_unused:UNUSED_PAD src0_sel:WORD_1 src1_sel:DWORD
	v_lshlrev_b16_sdwa v6, v199, v6 dst_sel:DWORD dst_unused:UNUSED_PAD src0_sel:DWORD src1_sel:WORD_1
	v_lshrrev_b32_e32 v7, 4, v17
	v_add_u16_e32 v6, 0xe000, v6
	v_and_b32_e32 v7, 0xf0f0f0f, v7
	v_or_b32_sdwa v6, v12, v6 dst_sel:DWORD dst_unused:UNUSED_PAD src0_sel:DWORD src1_sel:BYTE_1
	v_add_u16_e32 v9, 0xe000, v9
	v_add_u16_sdwa v6, v6, s17 dst_sel:WORD_1 dst_unused:UNUSED_PAD src0_sel:DWORD src1_sel:DWORD
	v_and_or_b32 v7, v8, s9, v7
	v_or_b32_e32 v6, v9, v6
	v_lshlrev_b16_e32 v9, 8, v7
	v_and_b32_e32 v8, 0x3f00, v7
	v_add_u16_e32 v9, 0xe000, v9
	v_or_b32_sdwa v8, v8, v9 dst_sel:DWORD dst_unused:UNUSED_PAD src0_sel:DWORD src1_sel:BYTE_1
	v_and_b32_sdwa v9, v7, s16 dst_sel:DWORD dst_unused:UNUSED_PAD src0_sel:WORD_1 src1_sel:DWORD
	v_lshlrev_b16_sdwa v7, v199, v7 dst_sel:DWORD dst_unused:UNUSED_PAD src0_sel:DWORD src1_sel:WORD_1
	v_add_u16_e32 v7, 0xe000, v7
	v_or_b32_sdwa v7, v9, v7 dst_sel:DWORD dst_unused:UNUSED_PAD src0_sel:DWORD src1_sel:BYTE_1
	v_add_u16_e32 v8, 0xe000, v8
	v_add_u16_sdwa v7, v7, s17 dst_sel:WORD_1 dst_unused:UNUSED_PAD src0_sel:DWORD src1_sel:DWORD
	v_or_b32_e32 v7, v8, v7
	ds_write2_b32 v25, v6, v7 offset1:16
	s_waitcnt vmcnt(3)
	v_and_b32_e32 v6, 0xf0f0f0f, v16
	s_waitcnt vmcnt(2)
	v_ashrrev_i32_e32 v8, v137, v70
	v_lshlrev_b32_e32 v9, 4, v8
	v_and_or_b32 v6, v9, s9, v6
	v_lshlrev_b16_e32 v12, 8, v6
	v_and_b32_e32 v9, 0x3f00, v6
	v_add_u16_e32 v12, 0xe000, v12
	v_or_b32_sdwa v9, v9, v12 dst_sel:DWORD dst_unused:UNUSED_PAD src0_sel:DWORD src1_sel:BYTE_1
	v_and_b32_sdwa v12, v6, s16 dst_sel:DWORD dst_unused:UNUSED_PAD src0_sel:WORD_1 src1_sel:DWORD
	v_lshlrev_b16_sdwa v6, v199, v6 dst_sel:DWORD dst_unused:UNUSED_PAD src0_sel:DWORD src1_sel:WORD_1
	v_add_u16_e32 v6, 0xe000, v6
	v_lshrrev_b32_e32 v7, 4, v16
	v_or_b32_sdwa v6, v12, v6 dst_sel:DWORD dst_unused:UNUSED_PAD src0_sel:DWORD src1_sel:BYTE_1
	v_and_b32_e32 v7, 0xf0f0f0f, v7
	v_add_u16_e32 v9, 0xe000, v9
	v_add_u16_sdwa v6, v6, s17 dst_sel:WORD_1 dst_unused:UNUSED_PAD src0_sel:DWORD src1_sel:DWORD
	v_or_b32_e32 v12, v9, v6
	v_and_or_b32 v13, v8, s9, v7
	v_mad_i64_i32 v[6:7], s[0:1], v146, s5, v[4:5]
	v_lshlrev_b16_e32 v15, 8, v13
	v_and_b32_e32 v14, 0x3f00, v13
	v_add_co_u32_e32 v8, vcc, v6, v135
	v_addc_co_u32_e32 v9, vcc, 0, v7, vcc
	v_add_co_u32_e32 v6, vcc, v6, v136
	v_addc_co_u32_e32 v7, vcc, 0, v7, vcc
	global_load_dword v16, v[8:9], off
	global_load_dword v17, v[6:7], off offset:128
	v_lshlrev_b16_sdwa v8, v199, v13 dst_sel:DWORD dst_unused:UNUSED_PAD src0_sel:DWORD src1_sel:WORD_1
	v_add_u16_e32 v6, 0xe000, v15
	v_and_b32_sdwa v7, v13, s16 dst_sel:DWORD dst_unused:UNUSED_PAD src0_sel:WORD_1 src1_sel:DWORD
	v_add_u16_e32 v8, 0xe000, v8
	v_or_b32_sdwa v6, v14, v6 dst_sel:DWORD dst_unused:UNUSED_PAD src0_sel:DWORD src1_sel:BYTE_1
	v_or_b32_sdwa v7, v7, v8 dst_sel:DWORD dst_unused:UNUSED_PAD src0_sel:DWORD src1_sel:BYTE_1
	v_add_u16_e32 v6, 0xe000, v6
	v_add_u16_sdwa v7, v7, s17 dst_sel:WORD_1 dst_unused:UNUSED_PAD src0_sel:DWORD src1_sel:DWORD
	v_or_b32_e32 v6, v6, v7
	s_waitcnt vmcnt(3)
	v_lshrrev_b32_e32 v7, 4, v10
	s_waitcnt vmcnt(2)
	v_ashrrev_i32_e32 v11, v137, v11
	ds_write2_b32 v26, v12, v6 offset1:16
	v_and_b32_e32 v6, 0xf0f0f0f, v10
	v_and_b32_e32 v10, 0xf0f0f0f, v7
	v_lshlrev_b32_e32 v7, 4, v11
	v_and_or_b32 v12, v7, s9, v6
	v_mad_i64_i32 v[6:7], s[0:1], v147, s5, v[4:5]
	v_lshlrev_b16_e32 v14, 8, v12
	v_and_b32_e32 v13, 0x3f00, v12
	v_add_co_u32_e32 v8, vcc, v6, v135
	v_addc_co_u32_e32 v9, vcc, 0, v7, vcc
	v_add_co_u32_e32 v6, vcc, v6, v136
	v_addc_co_u32_e32 v7, vcc, 0, v7, vcc
	global_load_dword v15, v[8:9], off
	global_load_dword v69, v[6:7], off offset:128
	v_lshlrev_b16_sdwa v8, v199, v12 dst_sel:DWORD dst_unused:UNUSED_PAD src0_sel:DWORD src1_sel:WORD_1
	v_add_u16_e32 v6, 0xe000, v14
	v_and_b32_sdwa v7, v12, s16 dst_sel:DWORD dst_unused:UNUSED_PAD src0_sel:WORD_1 src1_sel:DWORD
	v_add_u16_e32 v8, 0xe000, v8
	v_or_b32_sdwa v6, v13, v6 dst_sel:DWORD dst_unused:UNUSED_PAD src0_sel:DWORD src1_sel:BYTE_1
	v_or_b32_sdwa v7, v7, v8 dst_sel:DWORD dst_unused:UNUSED_PAD src0_sel:DWORD src1_sel:BYTE_1
	v_add_u16_e32 v6, 0xe000, v6
	v_add_u16_sdwa v7, v7, s17 dst_sel:WORD_1 dst_unused:UNUSED_PAD src0_sel:DWORD src1_sel:DWORD
	v_and_or_b32 v8, v11, s9, v10
	v_or_b32_e32 v12, v6, v7
	v_lshlrev_b16_e32 v7, 8, v8
	v_and_b32_e32 v6, 0x3f00, v8
	v_add_u16_e32 v7, 0xe000, v7
	v_or_b32_sdwa v6, v6, v7 dst_sel:DWORD dst_unused:UNUSED_PAD src0_sel:DWORD src1_sel:BYTE_1
	v_add_u16_e32 v10, 0xe000, v6
	v_mad_i64_i32 v[6:7], s[0:1], v148, s5, v[4:5]
	v_and_b32_sdwa v11, v8, s16 dst_sel:DWORD dst_unused:UNUSED_PAD src0_sel:WORD_1 src1_sel:DWORD
	v_lshlrev_b16_sdwa v8, v199, v8 dst_sel:DWORD dst_unused:UNUSED_PAD src0_sel:DWORD src1_sel:WORD_1
	v_add_u16_e32 v13, 0xe000, v8
	v_add_co_u32_e32 v8, vcc, v6, v135
	v_addc_co_u32_e32 v9, vcc, 0, v7, vcc
	v_add_co_u32_e32 v6, vcc, v6, v136
	v_addc_co_u32_e32 v7, vcc, 0, v7, vcc
	global_load_dword v14, v[8:9], off
	global_load_dword v70, v[6:7], off offset:128
	v_or_b32_sdwa v6, v11, v13 dst_sel:DWORD dst_unused:UNUSED_PAD src0_sel:DWORD src1_sel:BYTE_1
	v_add_u16_sdwa v8, v6, s17 dst_sel:WORD_1 dst_unused:UNUSED_PAD src0_sel:DWORD src1_sel:DWORD
	v_mad_i64_i32 v[6:7], s[0:1], v149, s5, v[4:5]
	v_or_b32_e32 v8, v10, v8
	ds_write2_b32 v27, v12, v8 offset1:16
	v_add_co_u32_e32 v8, vcc, v6, v135
	v_addc_co_u32_e32 v9, vcc, 0, v7, vcc
	v_add_co_u32_e32 v6, vcc, v6, v136
	v_addc_co_u32_e32 v7, vcc, 0, v7, vcc
	global_load_dword v10, v[8:9], off
	global_load_dword v11, v[6:7], off offset:128
	s_waitcnt vmcnt(7)
	v_and_b32_e32 v6, 0xf0f0f0f, v16
	s_waitcnt vmcnt(6)
	v_ashrrev_i32_e32 v8, v137, v17
	v_lshlrev_b32_e32 v9, 4, v8
	v_and_or_b32 v6, v9, s9, v6
	v_lshlrev_b16_e32 v12, 8, v6
	v_and_b32_e32 v9, 0x3f00, v6
	v_add_u16_e32 v12, 0xe000, v12
	v_or_b32_sdwa v9, v9, v12 dst_sel:DWORD dst_unused:UNUSED_PAD src0_sel:DWORD src1_sel:BYTE_1
	v_and_b32_sdwa v12, v6, s16 dst_sel:DWORD dst_unused:UNUSED_PAD src0_sel:WORD_1 src1_sel:DWORD
	v_lshlrev_b16_sdwa v6, v199, v6 dst_sel:DWORD dst_unused:UNUSED_PAD src0_sel:DWORD src1_sel:WORD_1
	v_lshrrev_b32_e32 v7, 4, v16
	v_add_u16_e32 v6, 0xe000, v6
	v_and_b32_e32 v7, 0xf0f0f0f, v7
	v_or_b32_sdwa v6, v12, v6 dst_sel:DWORD dst_unused:UNUSED_PAD src0_sel:DWORD src1_sel:BYTE_1
	v_add_u16_e32 v9, 0xe000, v9
	v_add_u16_sdwa v6, v6, s17 dst_sel:WORD_1 dst_unused:UNUSED_PAD src0_sel:DWORD src1_sel:DWORD
	v_and_or_b32 v7, v8, s9, v7
	v_or_b32_e32 v6, v9, v6
	v_lshlrev_b16_e32 v9, 8, v7
	v_and_b32_e32 v8, 0x3f00, v7
	v_add_u16_e32 v9, 0xe000, v9
	v_or_b32_sdwa v8, v8, v9 dst_sel:DWORD dst_unused:UNUSED_PAD src0_sel:DWORD src1_sel:BYTE_1
	v_and_b32_sdwa v9, v7, s16 dst_sel:DWORD dst_unused:UNUSED_PAD src0_sel:WORD_1 src1_sel:DWORD
	v_lshlrev_b16_sdwa v7, v199, v7 dst_sel:DWORD dst_unused:UNUSED_PAD src0_sel:DWORD src1_sel:WORD_1
	v_add_u16_e32 v7, 0xe000, v7
	v_or_b32_sdwa v7, v9, v7 dst_sel:DWORD dst_unused:UNUSED_PAD src0_sel:DWORD src1_sel:BYTE_1
	v_add_u16_e32 v8, 0xe000, v8
	v_add_u16_sdwa v7, v7, s17 dst_sel:WORD_1 dst_unused:UNUSED_PAD src0_sel:DWORD src1_sel:DWORD
	v_or_b32_e32 v7, v8, v7
	ds_write2_b32 v28, v6, v7 offset1:16
	s_waitcnt vmcnt(5)
	v_and_b32_e32 v6, 0xf0f0f0f, v15
	s_waitcnt vmcnt(4)
	v_ashrrev_i32_e32 v8, v137, v69
	v_lshlrev_b32_e32 v9, 4, v8
	v_and_or_b32 v6, v9, s9, v6
	v_lshlrev_b16_e32 v12, 8, v6
	v_and_b32_e32 v9, 0x3f00, v6
	v_add_u16_e32 v12, 0xe000, v12
	v_or_b32_sdwa v9, v9, v12 dst_sel:DWORD dst_unused:UNUSED_PAD src0_sel:DWORD src1_sel:BYTE_1
	v_and_b32_sdwa v12, v6, s16 dst_sel:DWORD dst_unused:UNUSED_PAD src0_sel:WORD_1 src1_sel:DWORD
	v_lshlrev_b16_sdwa v6, v199, v6 dst_sel:DWORD dst_unused:UNUSED_PAD src0_sel:DWORD src1_sel:WORD_1
	v_lshrrev_b32_e32 v7, 4, v15
	v_add_u16_e32 v6, 0xe000, v6
	v_and_b32_e32 v7, 0xf0f0f0f, v7
	v_or_b32_sdwa v6, v12, v6 dst_sel:DWORD dst_unused:UNUSED_PAD src0_sel:DWORD src1_sel:BYTE_1
	v_add_u16_e32 v9, 0xe000, v9
	v_add_u16_sdwa v6, v6, s17 dst_sel:WORD_1 dst_unused:UNUSED_PAD src0_sel:DWORD src1_sel:DWORD
	v_and_or_b32 v7, v8, s9, v7
	v_or_b32_e32 v6, v9, v6
	v_lshlrev_b16_e32 v9, 8, v7
	v_and_b32_e32 v8, 0x3f00, v7
	v_add_u16_e32 v9, 0xe000, v9
	v_or_b32_sdwa v8, v8, v9 dst_sel:DWORD dst_unused:UNUSED_PAD src0_sel:DWORD src1_sel:BYTE_1
	v_and_b32_sdwa v9, v7, s16 dst_sel:DWORD dst_unused:UNUSED_PAD src0_sel:WORD_1 src1_sel:DWORD
	v_lshlrev_b16_sdwa v7, v199, v7 dst_sel:DWORD dst_unused:UNUSED_PAD src0_sel:DWORD src1_sel:WORD_1
	v_add_u16_e32 v7, 0xe000, v7
	v_or_b32_sdwa v7, v9, v7 dst_sel:DWORD dst_unused:UNUSED_PAD src0_sel:DWORD src1_sel:BYTE_1
	v_add_u16_e32 v8, 0xe000, v8
	v_add_u16_sdwa v7, v7, s17 dst_sel:WORD_1 dst_unused:UNUSED_PAD src0_sel:DWORD src1_sel:DWORD
	v_or_b32_e32 v7, v8, v7
	ds_write2_b32 v29, v6, v7 offset1:16
	s_waitcnt vmcnt(3)
	v_and_b32_e32 v6, 0xf0f0f0f, v14
	s_waitcnt vmcnt(2)
	v_ashrrev_i32_e32 v8, v137, v70
	v_lshlrev_b32_e32 v9, 4, v8
	v_and_or_b32 v6, v9, s9, v6
	v_lshlrev_b16_e32 v12, 8, v6
	v_and_b32_e32 v9, 0x3f00, v6
	v_add_u16_e32 v12, 0xe000, v12
	v_or_b32_sdwa v9, v9, v12 dst_sel:DWORD dst_unused:UNUSED_PAD src0_sel:DWORD src1_sel:BYTE_1
	v_and_b32_sdwa v12, v6, s16 dst_sel:DWORD dst_unused:UNUSED_PAD src0_sel:WORD_1 src1_sel:DWORD
	v_lshlrev_b16_sdwa v6, v199, v6 dst_sel:DWORD dst_unused:UNUSED_PAD src0_sel:DWORD src1_sel:WORD_1
	v_add_u16_e32 v6, 0xe000, v6
	v_lshrrev_b32_e32 v7, 4, v14
	v_or_b32_sdwa v6, v12, v6 dst_sel:DWORD dst_unused:UNUSED_PAD src0_sel:DWORD src1_sel:BYTE_1
	v_and_b32_e32 v7, 0xf0f0f0f, v7
	v_add_u16_e32 v9, 0xe000, v9
	v_add_u16_sdwa v6, v6, s17 dst_sel:WORD_1 dst_unused:UNUSED_PAD src0_sel:DWORD src1_sel:DWORD
	v_or_b32_e32 v12, v9, v6
	v_and_or_b32 v13, v8, s9, v7
	v_mad_i64_i32 v[6:7], s[0:1], v150, s5, v[4:5]
	v_lshlrev_b16_e32 v15, 8, v13
	v_and_b32_e32 v14, 0x3f00, v13
	v_add_co_u32_e32 v8, vcc, v6, v135
	v_addc_co_u32_e32 v9, vcc, 0, v7, vcc
	v_add_co_u32_e32 v6, vcc, v6, v136
	v_addc_co_u32_e32 v7, vcc, 0, v7, vcc
	global_load_dword v16, v[8:9], off
	global_load_dword v17, v[6:7], off offset:128
	v_lshlrev_b16_sdwa v8, v199, v13 dst_sel:DWORD dst_unused:UNUSED_PAD src0_sel:DWORD src1_sel:WORD_1
	v_add_u16_e32 v6, 0xe000, v15
	v_and_b32_sdwa v7, v13, s16 dst_sel:DWORD dst_unused:UNUSED_PAD src0_sel:WORD_1 src1_sel:DWORD
	v_add_u16_e32 v8, 0xe000, v8
	v_or_b32_sdwa v6, v14, v6 dst_sel:DWORD dst_unused:UNUSED_PAD src0_sel:DWORD src1_sel:BYTE_1
	v_or_b32_sdwa v7, v7, v8 dst_sel:DWORD dst_unused:UNUSED_PAD src0_sel:DWORD src1_sel:BYTE_1
	v_add_u16_e32 v6, 0xe000, v6
	v_add_u16_sdwa v7, v7, s17 dst_sel:WORD_1 dst_unused:UNUSED_PAD src0_sel:DWORD src1_sel:DWORD
	v_or_b32_e32 v6, v6, v7
	s_waitcnt vmcnt(3)
	v_lshrrev_b32_e32 v7, 4, v10
	s_waitcnt vmcnt(2)
	v_ashrrev_i32_e32 v11, v137, v11
	ds_write2_b32 v30, v12, v6 offset1:16
	v_and_b32_e32 v6, 0xf0f0f0f, v10
	v_and_b32_e32 v10, 0xf0f0f0f, v7
	v_lshlrev_b32_e32 v7, 4, v11
	v_and_or_b32 v12, v7, s9, v6
	v_mad_i64_i32 v[6:7], s[0:1], v151, s5, v[4:5]
	v_lshlrev_b16_e32 v14, 8, v12
	v_and_b32_e32 v13, 0x3f00, v12
	v_add_co_u32_e32 v8, vcc, v6, v135
	v_addc_co_u32_e32 v9, vcc, 0, v7, vcc
	v_add_co_u32_e32 v6, vcc, v6, v136
	v_addc_co_u32_e32 v7, vcc, 0, v7, vcc
	global_load_dword v15, v[8:9], off
	global_load_dword v69, v[6:7], off offset:128
	v_lshlrev_b16_sdwa v8, v199, v12 dst_sel:DWORD dst_unused:UNUSED_PAD src0_sel:DWORD src1_sel:WORD_1
	v_add_u16_e32 v6, 0xe000, v14
	v_and_b32_sdwa v7, v12, s16 dst_sel:DWORD dst_unused:UNUSED_PAD src0_sel:WORD_1 src1_sel:DWORD
	v_add_u16_e32 v8, 0xe000, v8
	v_or_b32_sdwa v6, v13, v6 dst_sel:DWORD dst_unused:UNUSED_PAD src0_sel:DWORD src1_sel:BYTE_1
	v_or_b32_sdwa v7, v7, v8 dst_sel:DWORD dst_unused:UNUSED_PAD src0_sel:DWORD src1_sel:BYTE_1
	v_add_u16_e32 v6, 0xe000, v6
	v_add_u16_sdwa v7, v7, s17 dst_sel:WORD_1 dst_unused:UNUSED_PAD src0_sel:DWORD src1_sel:DWORD
	v_or_b32_e32 v8, v6, v7
	v_and_or_b32 v6, v11, s9, v10
	v_lshlrev_b16_e32 v9, 8, v6
	v_and_b32_e32 v7, 0x3f00, v6
	v_add_u16_e32 v9, 0xe000, v9
	v_or_b32_sdwa v7, v7, v9 dst_sel:DWORD dst_unused:UNUSED_PAD src0_sel:DWORD src1_sel:BYTE_1
	v_add_u16_e32 v9, 0xe000, v7
	v_and_b32_sdwa v7, v6, s16 dst_sel:DWORD dst_unused:UNUSED_PAD src0_sel:WORD_1 src1_sel:DWORD
	v_lshlrev_b16_sdwa v6, v199, v6 dst_sel:DWORD dst_unused:UNUSED_PAD src0_sel:DWORD src1_sel:WORD_1
	v_add_u16_e32 v6, 0xe000, v6
	v_or_b32_sdwa v6, v7, v6 dst_sel:DWORD dst_unused:UNUSED_PAD src0_sel:DWORD src1_sel:BYTE_1
	v_add_u16_sdwa v10, v6, s17 dst_sel:WORD_1 dst_unused:UNUSED_PAD src0_sel:DWORD src1_sel:DWORD
	v_mad_i64_i32 v[6:7], s[0:1], v152, s5, v[4:5]
	v_or_b32_e32 v9, v9, v10
	ds_write2_b32 v31, v8, v9 offset1:16
	v_add_co_u32_e32 v8, vcc, v6, v135
	v_mad_i64_i32 v[4:5], s[0:1], v153, s5, v[4:5]
	v_addc_co_u32_e32 v9, vcc, 0, v7, vcc
	v_add_co_u32_e32 v6, vcc, v6, v136
	v_addc_co_u32_e32 v7, vcc, 0, v7, vcc
	v_add_co_u32_e32 v10, vcc, v4, v135
	;; [unrolled: 2-line block ×3, first 2 shown]
	v_addc_co_u32_e32 v5, vcc, 0, v5, vcc
	global_load_dword v12, v[8:9], off
	global_load_dword v13, v[6:7], off offset:128
	global_load_dword v14, v[10:11], off
	global_load_dword v70, v[4:5], off offset:128
	v_add_u32_e32 v10, v73, v167
	v_mad_i64_i32 v[10:11], s[0:1], v10, 36, v[53:54]
	s_waitcnt vmcnt(7)
	v_and_b32_e32 v4, 0xf0f0f0f, v16
	s_waitcnt vmcnt(6)
	v_ashrrev_i32_e32 v6, v137, v17
	v_lshlrev_b32_e32 v7, 4, v6
	v_and_or_b32 v4, v7, s9, v4
	v_lshlrev_b16_e32 v8, 8, v4
	v_and_b32_e32 v7, 0x3f00, v4
	v_add_u16_e32 v8, 0xe000, v8
	v_or_b32_sdwa v7, v7, v8 dst_sel:DWORD dst_unused:UNUSED_PAD src0_sel:DWORD src1_sel:BYTE_1
	v_and_b32_sdwa v8, v4, s16 dst_sel:DWORD dst_unused:UNUSED_PAD src0_sel:WORD_1 src1_sel:DWORD
	v_lshlrev_b16_sdwa v4, v199, v4 dst_sel:DWORD dst_unused:UNUSED_PAD src0_sel:DWORD src1_sel:WORD_1
	v_lshrrev_b32_e32 v5, 4, v16
	v_add_u16_e32 v4, 0xe000, v4
	v_and_b32_e32 v5, 0xf0f0f0f, v5
	v_or_b32_sdwa v4, v8, v4 dst_sel:DWORD dst_unused:UNUSED_PAD src0_sel:DWORD src1_sel:BYTE_1
	v_add_u16_e32 v7, 0xe000, v7
	v_add_u16_sdwa v4, v4, s17 dst_sel:WORD_1 dst_unused:UNUSED_PAD src0_sel:DWORD src1_sel:DWORD
	v_and_or_b32 v5, v6, s9, v5
	v_or_b32_e32 v4, v7, v4
	v_lshlrev_b16_e32 v7, 8, v5
	v_and_b32_e32 v6, 0x3f00, v5
	v_add_u16_e32 v7, 0xe000, v7
	v_or_b32_sdwa v6, v6, v7 dst_sel:DWORD dst_unused:UNUSED_PAD src0_sel:DWORD src1_sel:BYTE_1
	v_and_b32_sdwa v7, v5, s16 dst_sel:DWORD dst_unused:UNUSED_PAD src0_sel:WORD_1 src1_sel:DWORD
	v_lshlrev_b16_sdwa v5, v199, v5 dst_sel:DWORD dst_unused:UNUSED_PAD src0_sel:DWORD src1_sel:WORD_1
	v_add_u16_e32 v5, 0xe000, v5
	v_or_b32_sdwa v5, v7, v5 dst_sel:DWORD dst_unused:UNUSED_PAD src0_sel:DWORD src1_sel:BYTE_1
	v_add_u16_e32 v6, 0xe000, v6
	v_add_u16_sdwa v5, v5, s17 dst_sel:WORD_1 dst_unused:UNUSED_PAD src0_sel:DWORD src1_sel:DWORD
	v_or_b32_e32 v5, v6, v5
	ds_write2_b32 v32, v4, v5 offset1:16
	s_waitcnt vmcnt(5)
	v_and_b32_e32 v4, 0xf0f0f0f, v15
	s_waitcnt vmcnt(4)
	v_ashrrev_i32_e32 v6, v137, v69
	v_lshlrev_b32_e32 v7, 4, v6
	v_and_or_b32 v4, v7, s9, v4
	v_lshlrev_b16_e32 v8, 8, v4
	v_and_b32_e32 v7, 0x3f00, v4
	v_add_u16_e32 v8, 0xe000, v8
	v_lshrrev_b32_e32 v5, 4, v15
	v_or_b32_sdwa v7, v7, v8 dst_sel:DWORD dst_unused:UNUSED_PAD src0_sel:DWORD src1_sel:BYTE_1
	v_and_b32_sdwa v8, v4, s16 dst_sel:DWORD dst_unused:UNUSED_PAD src0_sel:WORD_1 src1_sel:DWORD
	v_lshlrev_b16_sdwa v4, v199, v4 dst_sel:DWORD dst_unused:UNUSED_PAD src0_sel:DWORD src1_sel:WORD_1
	v_and_b32_e32 v5, 0xf0f0f0f, v5
	v_add_u16_e32 v4, 0xe000, v4
	v_or_b32_sdwa v4, v8, v4 dst_sel:DWORD dst_unused:UNUSED_PAD src0_sel:DWORD src1_sel:BYTE_1
	v_and_or_b32 v16, v6, s9, v5
	v_add_u16_e32 v7, 0xe000, v7
	v_add_u16_sdwa v4, v4, s17 dst_sel:WORD_1 dst_unused:UNUSED_PAD src0_sel:DWORD src1_sel:DWORD
	v_lshlrev_b16_e32 v5, 8, v16
	v_or_b32_e32 v15, v7, v4
	v_and_b32_e32 v4, 0x3f00, v16
	v_add_u16_e32 v5, 0xe000, v5
	v_mad_i64_i32 v[6:7], s[0:1], v158, s5, v[2:3]
	v_or_b32_sdwa v4, v4, v5 dst_sel:DWORD dst_unused:UNUSED_PAD src0_sel:DWORD src1_sel:BYTE_1
	v_add_u16_e32 v17, 0xe000, v4
	v_mad_i64_i32 v[4:5], s[0:1], v155, s5, v[2:3]
	v_mad_i64_i32 v[2:3], s[0:1], v159, s5, v[2:3]
	v_add_co_u32_e32 v6, vcc, v6, v157
	v_addc_co_u32_e32 v7, vcc, 0, v7, vcc
	v_add_co_u32_e32 v2, vcc, v2, v157
	v_addc_co_u32_e32 v3, vcc, 0, v3, vcc
	global_load_ushort v69, v[4:5], off offset:208
	global_load_dword v71, v[6:7], off offset:192
	global_load_dword v72, v[2:3], off offset:192
	v_add_u32_e32 v2, v73, v163
	v_mad_i64_i32 v[2:3], s[0:1], v2, 36, v[53:54]
	v_add_u32_e32 v4, v73, v164
	v_mad_i64_i32 v[4:5], s[0:1], v4, 36, v[53:54]
	;; [unrolled: 2-line block ×4, first 2 shown]
	global_load_dword v74, v[2:3], off offset:4
	global_load_dword v75, v[4:5], off offset:4
	global_load_dword v76, v[6:7], off offset:4
	global_load_dword v77, v[8:9], off offset:4
	s_nop 0
	global_load_dword v10, v[10:11], off offset:4
	v_add_u32_e32 v2, v73, v168
	v_mad_u64_u32 v[6:7], s[0:1], v117, 36, s[2:3]
	v_mad_i64_i32 v[2:3], s[0:1], v2, 36, v[53:54]
	v_add_u32_e32 v4, v73, v169
	v_mad_i64_i32 v[4:5], s[0:1], v4, 36, v[53:54]
	v_add_u32_e32 v8, v73, v170
	v_mad_i64_i32 v[8:9], s[0:1], v8, 36, v[53:54]
	global_load_dword v6, v[6:7], off
	s_nop 0
	global_load_dword v2, v[2:3], off offset:4
	s_nop 0
	global_load_dword v3, v[4:5], off offset:4
	s_nop 0
	global_load_dword v4, v[8:9], off offset:4
	v_lshlrev_b16_sdwa v7, v199, v16 dst_sel:DWORD dst_unused:UNUSED_PAD src0_sel:DWORD src1_sel:WORD_1
	v_and_b32_sdwa v5, v16, s16 dst_sel:DWORD dst_unused:UNUSED_PAD src0_sel:WORD_1 src1_sel:DWORD
	v_add_u16_e32 v7, 0xe000, v7
	v_or_b32_sdwa v5, v5, v7 dst_sel:DWORD dst_unused:UNUSED_PAD src0_sel:DWORD src1_sel:BYTE_1
	v_add_u16_sdwa v5, v5, s17 dst_sel:WORD_1 dst_unused:UNUSED_PAD src0_sel:DWORD src1_sel:DWORD
	v_or_b32_e32 v5, v17, v5
	s_waitcnt vmcnt(14)
	v_ashrrev_i32_e32 v8, v137, v13
	ds_write2_b32 v33, v15, v5 offset1:16
	v_and_b32_e32 v5, 0xf0f0f0f, v12
	v_lshlrev_b32_e32 v9, 4, v8
	v_and_or_b32 v5, v9, s9, v5
	v_lshlrev_b16_e32 v11, 8, v5
	v_and_b32_e32 v9, 0x3f00, v5
	v_add_u16_e32 v11, 0xe000, v11
	v_or_b32_sdwa v9, v9, v11 dst_sel:DWORD dst_unused:UNUSED_PAD src0_sel:DWORD src1_sel:BYTE_1
	v_and_b32_sdwa v11, v5, s16 dst_sel:DWORD dst_unused:UNUSED_PAD src0_sel:WORD_1 src1_sel:DWORD
	v_lshlrev_b16_sdwa v5, v199, v5 dst_sel:DWORD dst_unused:UNUSED_PAD src0_sel:DWORD src1_sel:WORD_1
	v_lshrrev_b32_e32 v7, 4, v12
	v_add_u16_e32 v5, 0xe000, v5
	v_and_b32_e32 v7, 0xf0f0f0f, v7
	v_or_b32_sdwa v5, v11, v5 dst_sel:DWORD dst_unused:UNUSED_PAD src0_sel:DWORD src1_sel:BYTE_1
	v_add_u16_e32 v9, 0xe000, v9
	v_add_u16_sdwa v5, v5, s17 dst_sel:WORD_1 dst_unused:UNUSED_PAD src0_sel:DWORD src1_sel:DWORD
	v_and_or_b32 v7, v8, s9, v7
	v_or_b32_e32 v5, v9, v5
	v_lshlrev_b16_e32 v9, 8, v7
	v_and_b32_e32 v8, 0x3f00, v7
	v_add_u16_e32 v9, 0xe000, v9
	v_or_b32_sdwa v8, v8, v9 dst_sel:DWORD dst_unused:UNUSED_PAD src0_sel:DWORD src1_sel:BYTE_1
	v_and_b32_sdwa v9, v7, s16 dst_sel:DWORD dst_unused:UNUSED_PAD src0_sel:WORD_1 src1_sel:DWORD
	v_lshlrev_b16_sdwa v7, v199, v7 dst_sel:DWORD dst_unused:UNUSED_PAD src0_sel:DWORD src1_sel:WORD_1
	v_add_u16_e32 v7, 0xe000, v7
	v_or_b32_sdwa v7, v9, v7 dst_sel:DWORD dst_unused:UNUSED_PAD src0_sel:DWORD src1_sel:BYTE_1
	v_add_u16_e32 v8, 0xe000, v8
	v_add_u16_sdwa v7, v7, s17 dst_sel:WORD_1 dst_unused:UNUSED_PAD src0_sel:DWORD src1_sel:DWORD
	v_or_b32_e32 v7, v8, v7
	s_waitcnt vmcnt(12)
	v_ashrrev_i32_e32 v8, v137, v70
	ds_write2_b32 v34, v5, v7 offset1:16
	v_and_b32_e32 v5, 0xf0f0f0f, v14
	v_lshlrev_b32_e32 v9, 4, v8
	v_and_or_b32 v5, v9, s9, v5
	v_lshlrev_b16_e32 v11, 8, v5
	v_and_b32_e32 v9, 0x3f00, v5
	v_add_u16_e32 v11, 0xe000, v11
	v_or_b32_sdwa v9, v9, v11 dst_sel:DWORD dst_unused:UNUSED_PAD src0_sel:DWORD src1_sel:BYTE_1
	v_and_b32_sdwa v11, v5, s16 dst_sel:DWORD dst_unused:UNUSED_PAD src0_sel:WORD_1 src1_sel:DWORD
	v_lshlrev_b16_sdwa v5, v199, v5 dst_sel:DWORD dst_unused:UNUSED_PAD src0_sel:DWORD src1_sel:WORD_1
	v_lshrrev_b32_e32 v7, 4, v14
	v_add_u16_e32 v5, 0xe000, v5
	v_and_b32_e32 v7, 0xf0f0f0f, v7
	v_or_b32_sdwa v5, v11, v5 dst_sel:DWORD dst_unused:UNUSED_PAD src0_sel:DWORD src1_sel:BYTE_1
	v_add_u16_e32 v9, 0xe000, v9
	v_add_u16_sdwa v5, v5, s17 dst_sel:WORD_1 dst_unused:UNUSED_PAD src0_sel:DWORD src1_sel:DWORD
	v_and_or_b32 v7, v8, s9, v7
	v_or_b32_e32 v5, v9, v5
	v_lshlrev_b16_e32 v9, 8, v7
	v_and_b32_e32 v8, 0x3f00, v7
	v_add_u16_e32 v9, 0xe000, v9
	v_or_b32_sdwa v8, v8, v9 dst_sel:DWORD dst_unused:UNUSED_PAD src0_sel:DWORD src1_sel:BYTE_1
	v_and_b32_sdwa v9, v7, s16 dst_sel:DWORD dst_unused:UNUSED_PAD src0_sel:WORD_1 src1_sel:DWORD
	v_lshlrev_b16_sdwa v7, v199, v7 dst_sel:DWORD dst_unused:UNUSED_PAD src0_sel:DWORD src1_sel:WORD_1
	v_add_u16_e32 v7, 0xe000, v7
	v_or_b32_sdwa v7, v9, v7 dst_sel:DWORD dst_unused:UNUSED_PAD src0_sel:DWORD src1_sel:BYTE_1
	s_waitcnt vmcnt(11)
	v_cvt_f32_f16_e32 v9, v69
	v_add_u16_e32 v8, 0xe000, v8
	v_add_u16_sdwa v7, v7, s17 dst_sel:WORD_1 dst_unused:UNUSED_PAD src0_sel:DWORD src1_sel:DWORD
	v_or_b32_e32 v7, v8, v7
	ds_write2_b32 v35, v5, v7 offset1:16
	ds_write_b32 v156, v9
	s_waitcnt vmcnt(10)
	ds_write_b32 v189, v71
	s_waitcnt vmcnt(9)
	;; [unrolled: 2-line block ×7, first 2 shown]
	ds_write_b32 v195, v10
	s_mov_b64 s[0:1], -1
	s_waitcnt vmcnt(3)
	v_cvt_f32_f16_e32 v5, v6
	s_waitcnt vmcnt(2)
	ds_write_b32 v196, v2
	s_waitcnt vmcnt(1)
	ds_write_b32 v197, v3
	;; [unrolled: 2-line block ×3, first 2 shown]
	ds_write_b32 v161, v5
	s_waitcnt lgkmcnt(0)
	s_barrier
	ds_read_b32 v118, v171
	ds_read_b32 v119, v173 offset:128
	ds_read_b32 v120, v175 offset:256
	;; [unrolled: 1-line block ×3, first 2 shown]
	s_waitcnt lgkmcnt(3)
	v_mov_b32_e32 v122, v118
	s_waitcnt lgkmcnt(2)
	v_mov_b32_e32 v123, v119
	;; [unrolled: 2-line block ×4, first 2 shown]
.LBB156_6:                              ;   Parent Loop BB156_5 Depth=1
                                        ; =>  This Inner Loop Header: Depth=2
	s_lshl_b32 s19, s20, 1
	v_or_b32_e32 v2, s19, v154
	v_lshlrev_b32_e32 v3, 2, v2
	s_lshr_b32 s21, s20, 1
	s_lshl_b32 s20, s20, 3
	ds_read_b128 v[209:212], v3 offset:33280
	ds_read_b128 v[213:216], v3 offset:33296
	;; [unrolled: 1-line block ×4, first 2 shown]
	s_add_i32 s21, s21, 0xa200
	v_lshlrev_b32_e32 v203, 2, v162
	v_lshlrev_b32_e32 v204, 2, v160
	v_add_u32_e32 v3, s20, v185
	v_lshrrev_b32_e32 v233, 1, v2
	v_add3_u32 v2, s21, v203, v204
	ds_read2_b32 v[103:104], v3 offset0:6 offset1:7
	ds_read2_b32 v[107:108], v3 offset0:4 offset1:5
	;; [unrolled: 1-line block ×3, first 2 shown]
	ds_read2_b32 v[105:106], v3 offset1:1
	ds_read_b32 v235, v2
	ds_read2_b32 v[109:110], v3 offset0:14 offset1:15
	ds_read2_b32 v[113:114], v3 offset0:12 offset1:13
	;; [unrolled: 1-line block ×4, first 2 shown]
	v_lshlrev_b32_e32 v205, 2, v172
	v_add_u32_e32 v3, s20, v186
	v_lshlrev_b32_e32 v206, 2, v174
	s_waitcnt lgkmcnt(2)
	v_dot4_i32_i8 v2, v113, v221, 0
	v_dot4_i32_i8 v2, v114, v222, v2
	;; [unrolled: 1-line block ×4, first 2 shown]
	s_waitcnt lgkmcnt(0)
	v_dot4_i32_i8 v2, v115, v217, 0
	v_dot4_i32_i8 v2, v116, v218, v2
	v_dot4_i32_i8 v2, v111, v219, v2
	v_dot4_i32_i8 v238, v112, v220, v2
	v_dot4_i32_i8 v2, v107, v213, 0
	v_dot4_i32_i8 v2, v108, v214, v2
	v_dot4_i32_i8 v2, v103, v215, v2
	v_dot4_i32_i8 v239, v104, v216, v2
	v_dot4_i32_i8 v2, v105, v209, 0
	v_dot4_i32_i8 v2, v106, v210, v2
	v_dot4_i32_i8 v2, v101, v211, v2
	v_dot4_i32_i8 v240, v102, v212, v2
	v_add3_u32 v2, s21, v205, v200
	ds_read2_b32 v[81:82], v3 offset0:6 offset1:7
	ds_read2_b32 v[89:90], v3 offset0:4 offset1:5
	ds_read2_b32 v[77:78], v3 offset0:2 offset1:3
	ds_read2_b32 v[85:86], v3 offset1:1
	ds_read_b32 v241, v2
	ds_read2_b32 v[93:94], v3 offset0:14 offset1:15
	ds_read2_b32 v[97:98], v3 offset0:12 offset1:13
	;; [unrolled: 1-line block ×4, first 2 shown]
	v_add_u32_e32 v3, s20, v187
	v_lshlrev_b32_e32 v207, 2, v176
	v_add3_u32 v10, s21, v207, v202
	s_waitcnt lgkmcnt(2)
	v_dot4_i32_i8 v2, v97, v221, 0
	v_dot4_i32_i8 v2, v98, v222, v2
	;; [unrolled: 1-line block ×4, first 2 shown]
	s_waitcnt lgkmcnt(0)
	v_dot4_i32_i8 v2, v99, v217, 0
	v_dot4_i32_i8 v2, v100, v218, v2
	;; [unrolled: 1-line block ×12, first 2 shown]
	v_add3_u32 v2, s21, v206, v201
	ds_read2_b32 v[16:17], v3 offset0:6 offset1:7
	ds_read2_b32 v[73:74], v3 offset0:4 offset1:5
	;; [unrolled: 1-line block ×3, first 2 shown]
	ds_read2_b32 v[71:72], v3 offset1:1
	ds_read_b32 v246, v2
	ds_read2_b32 v[79:80], v3 offset0:14 offset1:15
	ds_read2_b32 v[87:88], v3 offset0:12 offset1:13
	;; [unrolled: 1-line block ×4, first 2 shown]
	v_add_u32_e32 v69, s20, v188
	v_bfe_i32 v132, v235, 8, 8
	v_bfe_i32 v208, v235, 0, 8
	s_waitcnt lgkmcnt(2)
	v_dot4_i32_i8 v2, v87, v221, 0
	v_dot4_i32_i8 v2, v88, v222, v2
	;; [unrolled: 1-line block ×4, first 2 shown]
	s_waitcnt lgkmcnt(0)
	v_dot4_i32_i8 v2, v91, v217, 0
	v_dot4_i32_i8 v2, v92, v218, v2
	;; [unrolled: 1-line block ×12, first 2 shown]
	ds_read2_b32 v[4:5], v69 offset0:6 offset1:7
	ds_read2_b32 v[8:9], v69 offset0:4 offset1:5
	;; [unrolled: 1-line block ×3, first 2 shown]
	ds_read2_b32 v[6:7], v69 offset1:1
	ds_read_b32 v251, v10
	ds_read2_b32 v[10:11], v69 offset0:14 offset1:15
	ds_read2_b32 v[75:76], v69 offset0:12 offset1:13
	v_bfe_i32 v131, v241, 0, 8
	s_waitcnt lgkmcnt(3)
	v_dot4_i32_i8 v127, v6, v209, 0
	v_or_b32_e32 v209, s19, v178
	v_dot4_i32_i8 v127, v7, v210, v127
	s_waitcnt lgkmcnt(0)
	v_dot4_i32_i8 v12, v75, v221, 0
	v_dot4_i32_i8 v12, v76, v222, v12
	;; [unrolled: 1-line block ×4, first 2 shown]
	ds_read2_b32 v[12:13], v69 offset0:10 offset1:11
	ds_read2_b32 v[69:70], v69 offset0:8 offset1:9
	v_lshlrev_b32_e32 v210, 2, v209
	v_lshrrev_b32_e32 v209, 1, v209
	v_dot4_i32_i8 v127, v2, v211, v127
	v_dot4_i32_i8 v255, v3, v212, v127
	s_waitcnt lgkmcnt(0)
	v_dot4_i32_i8 v126, v69, v217, 0
	v_dot4_i32_i8 v126, v70, v218, v126
	;; [unrolled: 1-line block ×4, first 2 shown]
	ds_read_b128 v[217:220], v210 offset:33280
	ds_read_b128 v[221:224], v210 offset:33296
	;; [unrolled: 1-line block ×4, first 2 shown]
	v_dot4_i32_i8 v126, v8, v213, 0
	v_dot4_i32_i8 v126, v9, v214, v126
	;; [unrolled: 1-line block ×4, first 2 shown]
	s_waitcnt lgkmcnt(0)
	v_dot4_i32_i8 v210, v113, v229, 0
	v_dot4_i32_i8 v210, v114, v230, v210
	;; [unrolled: 1-line block ×12, first 2 shown]
	ds_read_b64 v[233:234], v233 offset:43584
	v_ashrrev_i32_e32 v215, 24, v235
	v_bfe_i32 v216, v235, 16, 8
	ds_read_b64 v[235:236], v209 offset:43584
	v_mul_lo_u32 v209, v210, v132
	v_mul_lo_u32 v210, v240, v208
	v_dot4_i32_i8 v211, v105, v217, 0
	v_dot4_i32_i8 v211, v106, v218, v211
	;; [unrolled: 1-line block ×4, first 2 shown]
	v_mad_u64_u32 v[210:211], s[20:21], v239, v132, v[210:211]
	v_bfe_i32 v130, v241, 8, 8
	v_bfe_i32 v128, v246, 8, 8
	v_mad_u64_u32 v[211:212], s[20:21], v212, v208, v[209:210]
	v_cvt_f32_i32_e32 v210, v210
	v_bfe_i32 v129, v246, 0, 8
	v_cvt_f32_i32_e32 v209, v211
	v_bfe_i32 v127, v251, 0, 8
	s_waitcnt lgkmcnt(1)
	v_fma_f32 v239, v233, v210, 0
	v_mul_lo_u32 v210, v213, v215
	s_waitcnt lgkmcnt(0)
	v_fma_f32 v240, v235, v209, 0
	v_mul_lo_u32 v209, v238, v216
	v_ashrrev_i32_e32 v213, 24, v241
	v_mad_u64_u32 v[210:211], s[20:21], v214, v216, v[210:211]
	v_bfe_i32 v214, v241, 16, 8
	v_bfe_i32 v126, v251, 8, 8
	v_mad_u64_u32 v[211:212], s[20:21], v237, v215, v[209:210]
	v_cvt_f32_i32_e32 v210, v210
	s_and_b64 vcc, exec, s[0:1]
	v_cvt_f32_i32_e32 v209, v211
	s_mov_b64 s[0:1], 0
	v_fmac_f32_e32 v240, v236, v210
	v_dot4_i32_i8 v210, v85, v217, 0
	v_fmac_f32_e32 v239, v234, v209
	v_dot4_i32_i8 v209, v97, v229, 0
	v_dot4_i32_i8 v209, v98, v230, v209
	;; [unrolled: 1-line block ×12, first 2 shown]
	v_mul_lo_u32 v210, v245, v131
	v_dot4_i32_i8 v209, v90, v222, v209
	v_dot4_i32_i8 v209, v81, v223, v209
	;; [unrolled: 1-line block ×3, first 2 shown]
	v_mul_lo_u32 v209, v209, v130
	v_mad_u64_u32 v[210:211], s[20:21], v244, v130, v[210:211]
	v_fma_f32 v19, v122, v239, v19
	v_fmac_f32_e32 v18, v118, v240
	v_mad_u64_u32 v[211:212], s[20:21], v212, v131, v[209:210]
	v_cvt_f32_i32_e32 v210, v210
	v_cvt_f32_i32_e32 v209, v211
	v_fma_f32 v239, v233, v210, 0
	v_mul_lo_u32 v210, v237, v213
	v_fma_f32 v240, v235, v209, 0
	v_mul_lo_u32 v209, v243, v214
	v_mad_u64_u32 v[210:211], s[20:21], v238, v214, v[210:211]
	v_mad_u64_u32 v[211:212], s[20:21], v242, v213, v[209:210]
	v_cvt_f32_i32_e32 v210, v210
	v_bfe_i32 v212, v246, 16, 8
	v_cvt_f32_i32_e32 v209, v211
	v_ashrrev_i32_e32 v211, 24, v246
	v_fmac_f32_e32 v240, v236, v210
	v_fmac_f32_e32 v63, v119, v240
	;; [unrolled: 1-line block ×3, first 2 shown]
	v_dot4_i32_i8 v209, v87, v229, 0
	v_dot4_i32_i8 v209, v88, v230, v209
	;; [unrolled: 1-line block ×3, first 2 shown]
	v_fma_f32 v64, v123, v239, v64
	v_dot4_i32_i8 v239, v80, v232, v209
	v_dot4_i32_i8 v209, v91, v225, 0
	;; [unrolled: 1-line block ×13, first 2 shown]
	v_mul_lo_u32 v209, v209, v128
	v_mul_lo_u32 v210, v250, v129
	v_mad_u64_u32 v[237:238], s[20:21], v249, v128, v[210:211]
	v_mad_u64_u32 v[209:210], s[20:21], v241, v129, v[209:210]
	v_cvt_f32_i32_e32 v210, v237
	v_cvt_f32_i32_e32 v209, v209
	v_fma_f32 v241, v233, v210, 0
	v_mul_lo_u32 v210, v239, v211
	v_fma_f32 v242, v235, v209, 0
	v_mul_lo_u32 v209, v248, v212
	v_mad_u64_u32 v[237:238], s[20:21], v240, v212, v[210:211]
	v_mad_u64_u32 v[209:210], s[20:21], v247, v211, v[209:210]
	v_cvt_f32_i32_e32 v210, v237
	v_cvt_f32_i32_e32 v209, v209
	v_fmac_f32_e32 v242, v236, v210
	v_bfe_i32 v210, v251, 16, 8
	v_fmac_f32_e32 v241, v234, v209
	v_dot4_i32_i8 v209, v75, v229, 0
	v_dot4_i32_i8 v209, v76, v230, v209
	;; [unrolled: 1-line block ×14, first 2 shown]
	v_mul_lo_u32 v218, v255, v127
	v_dot4_i32_i8 v209, v2, v219, v209
	v_mul_lo_u32 v217, v221, v126
	v_dot4_i32_i8 v220, v3, v220, v209
	v_mad_u64_u32 v[218:219], s[20:21], v254, v126, v[218:219]
	v_ashrrev_i32_e32 v209, 24, v251
	v_fma_f32 v66, v124, v241, v66
	v_mad_u64_u32 v[219:220], s[20:21], v220, v127, v[217:218]
	v_cvt_f32_i32_e32 v218, v218
	v_fmac_f32_e32 v65, v120, v242
	v_cvt_f32_i32_e32 v217, v219
	v_fma_f32 v221, v233, v218, 0
	v_mul_lo_u32 v218, v229, v209
	v_fma_f32 v222, v235, v217, 0
	v_mul_lo_u32 v217, v253, v210
	v_mad_u64_u32 v[218:219], s[20:21], v225, v210, v[218:219]
	v_mad_u64_u32 v[219:220], s[20:21], v252, v209, v[217:218]
	v_cvt_f32_i32_e32 v218, v218
	v_cvt_f32_i32_e32 v217, v219
	v_fmac_f32_e32 v222, v236, v218
	v_fmac_f32_e32 v67, v121, v222
	;; [unrolled: 1-line block ×3, first 2 shown]
	v_or_b32_e32 v217, s19, v179
	v_lshlrev_b32_e32 v229, 2, v217
	v_fma_f32 v68, v125, v221, v68
	v_lshrrev_b32_e32 v233, 1, v217
	ds_read_b128 v[217:220], v229 offset:33280
	ds_read_b128 v[221:224], v229 offset:33296
	;; [unrolled: 1-line block ×4, first 2 shown]
	s_waitcnt lgkmcnt(0)
	v_dot4_i32_i8 v234, v113, v229, 0
	v_dot4_i32_i8 v234, v114, v230, v234
	;; [unrolled: 1-line block ×57, first 2 shown]
	v_or_b32_e32 v217, s19, v180
	v_dot4_i32_i8 v234, v14, v219, v234
	v_dot4_i32_i8 v251, v11, v232, v229
	;; [unrolled: 1-line block ×4, first 2 shown]
	v_lshlrev_b32_e32 v229, 2, v217
	v_dot4_i32_i8 v250, v15, v220, v234
	v_dot4_i32_i8 v252, v13, v228, v225
	;; [unrolled: 1-line block ×3, first 2 shown]
	v_lshrrev_b32_e32 v235, 1, v217
	ds_read_b128 v[217:220], v229 offset:33280
	ds_read_b128 v[221:224], v229 offset:33296
	;; [unrolled: 1-line block ×4, first 2 shown]
	v_mul_lo_u32 v238, v238, v208
	s_waitcnt lgkmcnt(0)
	v_dot4_i32_i8 v234, v113, v229, 0
	v_dot4_i32_i8 v234, v114, v230, v234
	;; [unrolled: 1-line block ×13, first 2 shown]
	v_mul_lo_u32 v237, v237, v132
	v_mad_u64_u32 v[238:239], s[20:21], v239, v132, v[238:239]
	v_dot4_i32_i8 v234, v106, v218, v234
	v_dot4_i32_i8 v234, v101, v219, v234
	;; [unrolled: 1-line block ×3, first 2 shown]
	ds_read_b64 v[233:234], v233 offset:43584
	ds_read_b64 v[235:236], v235 offset:43584
	v_mad_u64_u32 v[239:240], s[20:21], v240, v208, v[237:238]
	v_cvt_f32_i32_e32 v238, v238
	v_cvt_f32_i32_e32 v237, v239
	s_waitcnt lgkmcnt(1)
	v_fma_f32 v134, v233, v238, 0
	v_mul_lo_u32 v238, v255, v215
	s_waitcnt lgkmcnt(0)
	v_fma_f32 v138, v235, v237, 0
	v_mul_lo_u32 v237, v242, v216
	v_mad_u64_u32 v[238:239], s[20:21], v133, v216, v[238:239]
	v_mad_u64_u32 v[239:240], s[20:21], v241, v215, v[237:238]
	v_cvt_f32_i32_e32 v237, v238
	v_mul_lo_u32 v238, v246, v131
	v_cvt_f32_i32_e32 v133, v239
	v_fmac_f32_e32 v138, v236, v237
	v_fmac_f32_e32 v55, v118, v138
	v_dot4_i32_i8 v138, v89, v221, 0
	v_dot4_i32_i8 v138, v90, v222, v138
	;; [unrolled: 1-line block ×7, first 2 shown]
	v_fmac_f32_e32 v134, v234, v133
	v_dot4_i32_i8 v133, v97, v229, 0
	v_dot4_i32_i8 v240, v78, v220, v237
	v_mul_lo_u32 v237, v138, v130
	v_mad_u64_u32 v[238:239], s[20:21], v245, v130, v[238:239]
	v_dot4_i32_i8 v133, v98, v230, v133
	v_dot4_i32_i8 v133, v93, v231, v133
	;; [unrolled: 1-line block ×3, first 2 shown]
	v_fma_f32 v56, v122, v134, v56
	v_dot4_i32_i8 v134, v99, v225, 0
	v_mad_u64_u32 v[239:240], s[20:21], v240, v131, v[237:238]
	v_cvt_f32_i32_e32 v237, v238
	v_mul_lo_u32 v238, v133, v213
	v_dot4_i32_i8 v134, v100, v226, v134
	v_dot4_i32_i8 v134, v95, v227, v134
	;; [unrolled: 1-line block ×3, first 2 shown]
	v_cvt_f32_i32_e32 v138, v239
	v_mad_u64_u32 v[238:239], s[20:21], v134, v214, v[238:239]
	v_fma_f32 v241, v233, v237, 0
	v_mul_lo_u32 v237, v244, v214
	v_cvt_f32_i32_e32 v134, v238
	v_fma_f32 v138, v235, v138, 0
	v_mad_u64_u32 v[239:240], s[20:21], v243, v213, v[237:238]
	v_fmac_f32_e32 v138, v236, v134
	v_fmac_f32_e32 v57, v119, v138
	v_cvt_f32_i32_e32 v133, v239
	v_dot4_i32_i8 v138, v73, v221, 0
	v_mul_lo_u32 v238, v250, v129
	v_dot4_i32_i8 v138, v74, v222, v138
	v_dot4_i32_i8 v237, v71, v217, 0
	;; [unrolled: 1-line block ×6, first 2 shown]
	v_fmac_f32_e32 v241, v234, v133
	v_dot4_i32_i8 v133, v87, v229, 0
	v_dot4_i32_i8 v240, v15, v220, v237
	v_mul_lo_u32 v237, v138, v128
	v_mad_u64_u32 v[238:239], s[20:21], v249, v128, v[238:239]
	v_dot4_i32_i8 v133, v88, v230, v133
	v_dot4_i32_i8 v133, v79, v231, v133
	;; [unrolled: 1-line block ×4, first 2 shown]
	v_mad_u64_u32 v[239:240], s[20:21], v240, v129, v[237:238]
	v_cvt_f32_i32_e32 v237, v238
	v_mul_lo_u32 v238, v133, v211
	v_dot4_i32_i8 v134, v92, v226, v134
	v_dot4_i32_i8 v134, v83, v227, v134
	;; [unrolled: 1-line block ×3, first 2 shown]
	v_cvt_f32_i32_e32 v138, v239
	v_mad_u64_u32 v[238:239], s[20:21], v134, v212, v[238:239]
	v_fma_f32 v58, v123, v241, v58
	v_fma_f32 v241, v233, v237, 0
	v_mul_lo_u32 v237, v248, v212
	v_cvt_f32_i32_e32 v134, v238
	v_fma_f32 v138, v235, v138, 0
	v_dot4_i32_i8 v217, v6, v217, 0
	v_mad_u64_u32 v[239:240], s[20:21], v247, v211, v[237:238]
	v_fmac_f32_e32 v138, v236, v134
	v_fmac_f32_e32 v59, v120, v138
	v_cvt_f32_i32_e32 v133, v239
	v_dot4_i32_i8 v138, v8, v221, 0
	v_dot4_i32_i8 v217, v7, v218, v217
	v_mul_lo_u32 v218, v254, v127
	v_dot4_i32_i8 v138, v9, v222, v138
	v_dot4_i32_i8 v138, v4, v223, v138
	;; [unrolled: 1-line block ×4, first 2 shown]
	v_fmac_f32_e32 v241, v234, v133
	v_dot4_i32_i8 v133, v75, v229, 0
	v_dot4_i32_i8 v220, v3, v220, v217
	v_mul_lo_u32 v217, v138, v126
	v_mad_u64_u32 v[218:219], s[20:21], v253, v126, v[218:219]
	v_dot4_i32_i8 v133, v76, v230, v133
	v_dot4_i32_i8 v133, v10, v231, v133
	;; [unrolled: 1-line block ×4, first 2 shown]
	v_mad_u64_u32 v[219:220], s[20:21], v220, v127, v[217:218]
	v_cvt_f32_i32_e32 v217, v218
	v_mul_lo_u32 v218, v133, v209
	v_dot4_i32_i8 v134, v70, v226, v134
	v_dot4_i32_i8 v134, v12, v227, v134
	v_dot4_i32_i8 v134, v13, v228, v134
	v_cvt_f32_i32_e32 v138, v219
	v_fma_f32 v221, v233, v217, 0
	v_mul_lo_u32 v217, v252, v210
	v_mad_u64_u32 v[218:219], s[20:21], v134, v210, v[218:219]
	v_fma_f32 v138, v235, v138, 0
	v_fma_f32 v60, v124, v241, v60
	v_mad_u64_u32 v[219:220], s[20:21], v251, v209, v[217:218]
	v_cvt_f32_i32_e32 v134, v218
	v_cvt_f32_i32_e32 v133, v219
	v_fmac_f32_e32 v138, v236, v134
	v_fmac_f32_e32 v61, v121, v138
	;; [unrolled: 1-line block ×3, first 2 shown]
	v_or_b32_e32 v133, s19, v181
	v_lshlrev_b32_e32 v134, 2, v133
	v_fma_f32 v62, v125, v221, v62
	ds_read_b128 v[217:220], v134 offset:33280
	ds_read_b128 v[221:224], v134 offset:33296
	;; [unrolled: 1-line block ×4, first 2 shown]
	v_lshrrev_b32_e32 v133, 1, v133
	s_waitcnt lgkmcnt(2)
	v_dot4_i32_i8 v233, v107, v221, 0
	v_dot4_i32_i8 v233, v108, v222, v233
	;; [unrolled: 1-line block ×8, first 2 shown]
	s_waitcnt lgkmcnt(0)
	v_dot4_i32_i8 v233, v97, v229, 0
	v_dot4_i32_i8 v233, v98, v230, v233
	;; [unrolled: 1-line block ×45, first 2 shown]
	v_or_b32_e32 v217, s19, v182
	v_dot4_i32_i8 v134, v109, v231, v134
	v_dot4_i32_i8 v138, v111, v227, v138
	;; [unrolled: 1-line block ×6, first 2 shown]
	v_lshlrev_b32_e32 v229, 2, v217
	v_dot4_i32_i8 v134, v110, v232, v134
	v_dot4_i32_i8 v138, v112, v228, v138
	;; [unrolled: 1-line block ×5, first 2 shown]
	v_lshrrev_b32_e32 v235, 1, v217
	ds_read_b128 v[217:220], v229 offset:33280
	ds_read_b128 v[221:224], v229 offset:33296
	;; [unrolled: 1-line block ×4, first 2 shown]
	v_mul_lo_u32 v238, v238, v208
	s_waitcnt lgkmcnt(0)
	v_dot4_i32_i8 v233, v113, v229, 0
	v_dot4_i32_i8 v233, v114, v230, v233
	v_dot4_i32_i8 v233, v109, v231, v233
	v_dot4_i32_i8 v253, v110, v232, v233
	v_dot4_i32_i8 v233, v115, v225, 0
	v_dot4_i32_i8 v233, v116, v226, v233
	v_dot4_i32_i8 v233, v111, v227, v233
	v_dot4_i32_i8 v254, v112, v228, v233
	v_dot4_i32_i8 v233, v107, v221, 0
	v_dot4_i32_i8 v233, v108, v222, v233
	v_dot4_i32_i8 v233, v103, v223, v233
	v_dot4_i32_i8 v237, v104, v224, v233
	v_dot4_i32_i8 v233, v105, v217, 0
	v_mul_lo_u32 v237, v237, v132
	v_mad_u64_u32 v[238:239], s[20:21], v239, v132, v[238:239]
	v_dot4_i32_i8 v233, v106, v218, v233
	v_dot4_i32_i8 v233, v101, v219, v233
	;; [unrolled: 1-line block ×3, first 2 shown]
	v_mad_u64_u32 v[239:240], s[20:21], v240, v208, v[237:238]
	v_cvt_f32_i32_e32 v237, v238
	v_mul_lo_u32 v238, v253, v215
	ds_read_b64 v[233:234], v133 offset:43584
	ds_read_b64 v[235:236], v235 offset:43584
	v_cvt_f32_i32_e32 v133, v239
	v_mad_u64_u32 v[238:239], s[20:21], v254, v216, v[238:239]
	s_waitcnt lgkmcnt(1)
	v_fma_f32 v255, v233, v237, 0
	v_mul_lo_u32 v237, v138, v216
	v_cvt_f32_i32_e32 v138, v238
	s_waitcnt lgkmcnt(0)
	v_fma_f32 v133, v235, v133, 0
	v_mad_u64_u32 v[239:240], s[20:21], v134, v215, v[237:238]
	v_fmac_f32_e32 v133, v236, v138
	v_dot4_i32_i8 v138, v89, v221, 0
	v_mul_lo_u32 v238, v244, v131
	v_dot4_i32_i8 v138, v90, v222, v138
	v_dot4_i32_i8 v237, v85, v217, 0
	;; [unrolled: 1-line block ×6, first 2 shown]
	v_cvt_f32_i32_e32 v134, v239
	v_fmac_f32_e32 v45, v118, v133
	v_dot4_i32_i8 v133, v97, v229, 0
	v_dot4_i32_i8 v240, v78, v220, v237
	v_mul_lo_u32 v237, v138, v130
	v_mad_u64_u32 v[238:239], s[20:21], v243, v130, v[238:239]
	v_dot4_i32_i8 v133, v98, v230, v133
	v_dot4_i32_i8 v133, v93, v231, v133
	v_dot4_i32_i8 v133, v94, v232, v133
	v_fmac_f32_e32 v255, v234, v134
	v_dot4_i32_i8 v134, v99, v225, 0
	v_mad_u64_u32 v[239:240], s[20:21], v240, v131, v[237:238]
	v_cvt_f32_i32_e32 v237, v238
	v_mul_lo_u32 v238, v133, v213
	v_dot4_i32_i8 v134, v100, v226, v134
	v_dot4_i32_i8 v134, v95, v227, v134
	v_dot4_i32_i8 v134, v96, v228, v134
	v_cvt_f32_i32_e32 v138, v239
	v_mad_u64_u32 v[238:239], s[20:21], v134, v214, v[238:239]
	v_fma_f32 v243, v233, v237, 0
	v_mul_lo_u32 v237, v242, v214
	v_cvt_f32_i32_e32 v134, v238
	v_fma_f32 v138, v235, v138, 0
	v_fma_f32 v46, v122, v255, v46
	v_mad_u64_u32 v[239:240], s[20:21], v241, v213, v[237:238]
	v_fmac_f32_e32 v138, v236, v134
	v_fmac_f32_e32 v47, v119, v138
	v_cvt_f32_i32_e32 v133, v239
	v_dot4_i32_i8 v138, v73, v221, 0
	v_mul_lo_u32 v238, v248, v129
	v_dot4_i32_i8 v138, v74, v222, v138
	v_dot4_i32_i8 v237, v71, v217, 0
	;; [unrolled: 1-line block ×6, first 2 shown]
	v_fmac_f32_e32 v243, v234, v133
	v_dot4_i32_i8 v133, v87, v229, 0
	v_dot4_i32_i8 v240, v15, v220, v237
	v_mul_lo_u32 v237, v138, v128
	v_mad_u64_u32 v[238:239], s[20:21], v247, v128, v[238:239]
	v_dot4_i32_i8 v133, v88, v230, v133
	v_dot4_i32_i8 v133, v79, v231, v133
	;; [unrolled: 1-line block ×4, first 2 shown]
	v_mad_u64_u32 v[239:240], s[20:21], v240, v129, v[237:238]
	v_cvt_f32_i32_e32 v237, v238
	v_mul_lo_u32 v238, v133, v211
	v_dot4_i32_i8 v134, v92, v226, v134
	v_dot4_i32_i8 v134, v83, v227, v134
	;; [unrolled: 1-line block ×3, first 2 shown]
	v_cvt_f32_i32_e32 v138, v239
	v_mad_u64_u32 v[238:239], s[20:21], v134, v212, v[238:239]
	v_fma_f32 v241, v233, v237, 0
	v_mul_lo_u32 v237, v246, v212
	v_cvt_f32_i32_e32 v134, v238
	v_fma_f32 v138, v235, v138, 0
	v_dot4_i32_i8 v217, v6, v217, 0
	v_mad_u64_u32 v[239:240], s[20:21], v245, v211, v[237:238]
	v_fmac_f32_e32 v138, v236, v134
	v_fmac_f32_e32 v49, v120, v138
	v_cvt_f32_i32_e32 v133, v239
	v_dot4_i32_i8 v138, v8, v221, 0
	v_dot4_i32_i8 v217, v7, v218, v217
	v_mul_lo_u32 v218, v252, v127
	v_dot4_i32_i8 v138, v9, v222, v138
	v_dot4_i32_i8 v138, v4, v223, v138
	;; [unrolled: 1-line block ×4, first 2 shown]
	v_fmac_f32_e32 v241, v234, v133
	v_dot4_i32_i8 v133, v75, v229, 0
	v_dot4_i32_i8 v220, v3, v220, v217
	v_mul_lo_u32 v217, v138, v126
	v_mad_u64_u32 v[218:219], s[20:21], v251, v126, v[218:219]
	v_dot4_i32_i8 v133, v76, v230, v133
	v_dot4_i32_i8 v133, v10, v231, v133
	;; [unrolled: 1-line block ×4, first 2 shown]
	v_mad_u64_u32 v[219:220], s[20:21], v220, v127, v[217:218]
	v_cvt_f32_i32_e32 v217, v218
	v_mul_lo_u32 v218, v133, v209
	v_dot4_i32_i8 v134, v70, v226, v134
	v_dot4_i32_i8 v134, v12, v227, v134
	;; [unrolled: 1-line block ×3, first 2 shown]
	v_cvt_f32_i32_e32 v138, v219
	v_fma_f32 v221, v233, v217, 0
	v_mul_lo_u32 v217, v250, v210
	v_mad_u64_u32 v[218:219], s[20:21], v134, v210, v[218:219]
	v_fma_f32 v138, v235, v138, 0
	v_fma_f32 v48, v123, v243, v48
	v_mad_u64_u32 v[219:220], s[20:21], v249, v209, v[217:218]
	v_cvt_f32_i32_e32 v134, v218
	v_fma_f32 v50, v124, v241, v50
	v_cvt_f32_i32_e32 v133, v219
	v_fmac_f32_e32 v138, v236, v134
	v_fmac_f32_e32 v51, v121, v138
	;; [unrolled: 1-line block ×3, first 2 shown]
	v_or_b32_e32 v133, s19, v183
	v_lshlrev_b32_e32 v134, 2, v133
	ds_read_b128 v[234:237], v134 offset:33280
	ds_read_b128 v[238:241], v134 offset:33296
	;; [unrolled: 1-line block ×4, first 2 shown]
	v_lshrrev_b32_e32 v230, 1, v133
	v_fma_f32 v52, v125, v221, v52
	s_waitcnt lgkmcnt(0)
	v_dot4_i32_i8 v133, v113, v217, 0
	v_dot4_i32_i8 v133, v114, v218, v133
	;; [unrolled: 1-line block ×64, first 2 shown]
	v_or_b32_e32 v133, s19, v184
	v_lshlrev_b32_e32 v134, 2, v133
	ds_read_b128 v[234:237], v134 offset:33280
	ds_read_b128 v[238:241], v134 offset:33296
	;; [unrolled: 1-line block ×4, first 2 shown]
	v_lshrrev_b32_e32 v133, 1, v133
	s_waitcnt lgkmcnt(2)
	v_dot4_i32_i8 v89, v89, v238, 0
	v_dot4_i32_i8 v89, v90, v239, v89
	;; [unrolled: 1-line block ×8, first 2 shown]
	v_mul_lo_u32 v77, v81, v130
	v_mul_lo_u32 v78, v228, v131
	v_dot4_i32_i8 v107, v107, v238, 0
	v_dot4_i32_i8 v107, v108, v239, v107
	;; [unrolled: 1-line block ×5, first 2 shown]
	v_mad_u64_u32 v[81:82], s[20:21], v227, v130, v[78:79]
	v_mad_u64_u32 v[77:78], s[20:21], v85, v131, v[77:78]
	v_dot4_i32_i8 v103, v106, v235, v103
	v_dot4_i32_i8 v101, v101, v236, v103
	;; [unrolled: 1-line block ×3, first 2 shown]
	ds_read_b64 v[101:102], v230 offset:43584
	ds_read_b64 v[103:104], v133 offset:43584
	s_waitcnt lgkmcnt(2)
	v_dot4_i32_i8 v97, v97, v246, 0
	v_cvt_f32_i32_e32 v77, v77
	v_cvt_f32_i32_e32 v78, v81
	v_dot4_i32_i8 v97, v98, v247, v97
	v_dot4_i32_i8 v93, v93, v248, v97
	v_dot4_i32_i8 v73, v73, v238, 0
	v_dot4_i32_i8 v93, v94, v249, v93
	v_dot4_i32_i8 v73, v74, v239, v73
	v_dot4_i32_i8 v94, v99, v242, 0
	s_waitcnt lgkmcnt(1)
	v_fma_f32 v85, v101, v78, 0
	s_waitcnt lgkmcnt(0)
	v_fma_f32 v86, v103, v77, 0
	v_mul_lo_u32 v77, v226, v214
	v_mul_lo_u32 v78, v93, v213
	v_dot4_i32_i8 v16, v16, v240, v73
	v_dot4_i32_i8 v94, v100, v243, v94
	;; [unrolled: 1-line block ×8, first 2 shown]
	v_mad_u64_u32 v[81:82], s[20:21], v94, v214, v[78:79]
	v_mad_u64_u32 v[77:78], s[20:21], v225, v213, v[77:78]
	v_dot4_i32_i8 v17, v15, v237, v14
	v_mul_lo_u32 v15, v224, v129
	v_cvt_f32_i32_e32 v77, v77
	v_mul_lo_u32 v14, v16, v128
	v_cvt_f32_i32_e32 v78, v81
	v_mad_u64_u32 v[15:16], s[20:21], v223, v128, v[15:16]
	v_fmac_f32_e32 v85, v102, v77
	v_dot4_i32_i8 v77, v87, v246, 0
	v_mad_u64_u32 v[16:17], s[20:21], v17, v129, v[14:15]
	v_cvt_f32_i32_e32 v15, v15
	v_dot4_i32_i8 v77, v88, v247, v77
	v_dot4_i32_i8 v77, v79, v248, v77
	;; [unrolled: 1-line block ×3, first 2 shown]
	v_fmac_f32_e32 v86, v104, v78
	v_dot4_i32_i8 v78, v91, v242, 0
	v_cvt_f32_i32_e32 v14, v16
	v_fma_f32 v71, v101, v15, 0
	v_mul_lo_u32 v15, v77, v211
	v_dot4_i32_i8 v78, v92, v243, v78
	v_dot4_i32_i8 v78, v83, v244, v78
	;; [unrolled: 1-line block ×5, first 2 shown]
	v_fma_f32 v72, v103, v14, 0
	v_mul_lo_u32 v14, v222, v212
	v_mad_u64_u32 v[15:16], s[20:21], v78, v212, v[15:16]
	v_dot4_i32_i8 v4, v4, v240, v8
	v_dot4_i32_i8 v4, v5, v241, v4
	;; [unrolled: 1-line block ×5, first 2 shown]
	v_mul_lo_u32 v106, v233, v208
	v_mad_u64_u32 v[16:17], s[20:21], v221, v211, v[14:15]
	v_dot4_i32_i8 v5, v3, v237, v2
	v_mul_lo_u32 v3, v220, v127
	v_mul_lo_u32 v105, v107, v132
	v_mad_u64_u32 v[106:107], s[20:21], v232, v132, v[106:107]
	v_cvt_f32_i32_e32 v14, v16
	v_mul_lo_u32 v2, v4, v126
	v_mad_u64_u32 v[3:4], s[20:21], v219, v126, v[3:4]
	v_dot4_i32_i8 v113, v113, v246, 0
	v_dot4_i32_i8 v113, v114, v247, v113
	v_mad_u64_u32 v[107:108], s[20:21], v108, v208, v[105:106]
	v_cvt_f32_i32_e32 v106, v106
	v_fmac_f32_e32 v71, v102, v14
	v_dot4_i32_i8 v14, v75, v246, 0
	v_mad_u64_u32 v[4:5], s[20:21], v5, v127, v[2:3]
	v_cvt_f32_i32_e32 v3, v3
	v_dot4_i32_i8 v109, v109, v248, v113
	v_dot4_i32_i8 v14, v76, v247, v14
	;; [unrolled: 1-line block ×8, first 2 shown]
	v_cvt_f32_i32_e32 v105, v107
	v_fma_f32 v111, v101, v106, 0
	v_mul_lo_u32 v106, v109, v215
	v_dot4_i32_i8 v11, v69, v242, 0
	v_cvt_f32_i32_e32 v2, v4
	v_fma_f32 v6, v101, v3, 0
	v_mul_lo_u32 v3, v10, v209
	v_dot4_i32_i8 v11, v70, v243, v11
	v_dot4_i32_i8 v11, v12, v244, v11
	;; [unrolled: 1-line block ×4, first 2 shown]
	v_fma_f32 v112, v103, v105, 0
	v_mul_lo_u32 v105, v231, v216
	v_mad_u64_u32 v[106:107], s[20:21], v110, v216, v[106:107]
	v_fma_f32 v7, v103, v2, 0
	v_mul_lo_u32 v2, v218, v210
	v_mad_u64_u32 v[3:4], s[20:21], v11, v210, v[3:4]
	v_mad_u64_u32 v[107:108], s[20:21], v229, v215, v[105:106]
	;; [unrolled: 1-line block ×3, first 2 shown]
	v_cvt_f32_i32_e32 v105, v107
	v_cvt_f32_i32_e32 v106, v106
	;; [unrolled: 1-line block ×5, first 2 shown]
	v_fmac_f32_e32 v112, v104, v106
	v_fmac_f32_e32 v111, v102, v105
	;; [unrolled: 1-line block ×5, first 2 shown]
	v_fma_f32 v38, v122, v111, v38
	v_fmac_f32_e32 v37, v118, v112
	v_fma_f32 v40, v123, v85, v40
	v_fmac_f32_e32 v39, v119, v86
	v_fma_f32 v42, v124, v71, v42
	v_fmac_f32_e32 v41, v120, v72
	v_fma_f32 v44, v125, v6, v44
	v_fmac_f32_e32 v43, v121, v7
	s_mov_b32 s20, 8
	s_cbranch_vccnz .LBB156_6
; %bb.7:                                ;   in Loop: Header=BB156_5 Depth=1
	v_add_u32_e32 v69, s18, v172
	v_add_u32_e32 v16, 4, v117
	v_add_u32_e32 v2, v69, v163
	v_mad_u64_u32 v[16:17], s[0:1], v16, 36, s[2:3]
	v_mad_i64_i32 v[2:3], s[0:1], v2, 36, v[53:54]
	v_add_u32_e32 v4, v69, v164
	v_mad_i64_i32 v[4:5], s[0:1], v4, 36, v[53:54]
	v_add_u32_e32 v6, v69, v165
	v_add_u32_e32 v8, v69, v166
	v_mad_i64_i32 v[6:7], s[0:1], v6, 36, v[53:54]
	v_mad_i64_i32 v[8:9], s[0:1], v8, 36, v[53:54]
	v_add_u32_e32 v10, v69, v167
	v_add_u32_e32 v12, v69, v168
	;; [unrolled: 1-line block ×4, first 2 shown]
	s_barrier
	v_mad_i64_i32 v[10:11], s[0:1], v10, 36, v[53:54]
	v_mad_i64_i32 v[12:13], s[0:1], v12, 36, v[53:54]
	;; [unrolled: 1-line block ×4, first 2 shown]
	global_load_dword v16, v[16:17], off
	s_nop 0
	global_load_dword v2, v[2:3], off offset:4
	s_nop 0
	global_load_dword v3, v[4:5], off offset:4
	;; [unrolled: 2-line block ×3, first 2 shown]
	global_load_dword v5, v[8:9], off offset:4
	s_nop 0
	global_load_dword v6, v[10:11], off offset:4
	global_load_dword v7, v[12:13], off offset:4
	;; [unrolled: 1-line block ×4, first 2 shown]
	s_mov_b32 s0, 16
	s_waitcnt vmcnt(8)
	v_cvt_f32_f16_e32 v10, v16
	s_waitcnt vmcnt(7)
	ds_write_b32 v191, v2
	s_waitcnt vmcnt(6)
	ds_write_b32 v192, v3
	;; [unrolled: 2-line block ×8, first 2 shown]
	ds_write_b32 v161, v10
	s_waitcnt lgkmcnt(0)
	s_barrier
	ds_read_b32 v208, v171
	ds_read_b32 v209, v173 offset:128
	ds_read_b32 v210, v175 offset:256
	;; [unrolled: 1-line block ×3, first 2 shown]
	s_waitcnt lgkmcnt(3)
	v_mov_b32_e32 v212, v208
	s_waitcnt lgkmcnt(2)
	v_mov_b32_e32 v213, v209
	;; [unrolled: 2-line block ×4, first 2 shown]
.LBB156_8:                              ;   Parent Loop BB156_5 Depth=1
                                        ; =>  This Inner Loop Header: Depth=2
	s_lshl_b32 s1, s0, 1
	s_and_b32 s1, s1, 16
	v_or_b32_e32 v2, s1, v154
	s_lshl_b32 s18, s0, 3
	v_lshlrev_b32_e32 v14, 2, v2
	v_add_u32_e32 v69, s18, v185
	v_lshrrev_b32_e32 v133, 1, v2
	ds_read_b128 v[2:5], v14 offset:33280
	ds_read_b128 v[6:9], v14 offset:33296
	ds_read_b128 v[10:13], v14 offset:33312
	ds_read_b128 v[14:17], v14 offset:33328
	ds_read2_b32 v[121:122], v69 offset0:6 offset1:7
	ds_read2_b32 v[123:124], v69 offset0:4 offset1:5
	;; [unrolled: 1-line block ×3, first 2 shown]
	ds_read2_b32 v[119:120], v69 offset1:1
	ds_read2_b32 v[127:128], v69 offset0:14 offset1:15
	ds_read2_b32 v[131:132], v69 offset0:12 offset1:13
	;; [unrolled: 1-line block ×4, first 2 shown]
	v_add_u32_e32 v77, s18, v187
	v_add_u32_e32 v115, s18, v188
	s_lshr_b32 s19, s0, 1
	s_waitcnt lgkmcnt(2)
	v_dot4_i32_i8 v70, v131, v14, 0
	s_waitcnt lgkmcnt(0)
	v_dot4_i32_i8 v69, v129, v10, 0
	v_dot4_i32_i8 v69, v130, v11, v69
	;; [unrolled: 1-line block ×12, first 2 shown]
	v_add_u32_e32 v69, s18, v186
	ds_read2_b32 v[85:86], v69 offset0:6 offset1:7
	ds_read2_b32 v[91:92], v69 offset0:4 offset1:5
	;; [unrolled: 1-line block ×3, first 2 shown]
	ds_read2_b32 v[81:82], v69 offset1:1
	ds_read2_b32 v[103:104], v69 offset0:14 offset1:15
	ds_read2_b32 v[107:108], v69 offset0:12 offset1:13
	;; [unrolled: 1-line block ×4, first 2 shown]
	v_dot4_i32_i8 v70, v132, v15, v70
	v_dot4_i32_i8 v70, v127, v16, v70
	;; [unrolled: 1-line block ×3, first 2 shown]
	s_waitcnt lgkmcnt(2)
	v_dot4_i32_i8 v70, v107, v14, 0
	s_waitcnt lgkmcnt(0)
	v_dot4_i32_i8 v69, v105, v10, 0
	v_dot4_i32_i8 v69, v106, v11, v69
	;; [unrolled: 1-line block ×15, first 2 shown]
	ds_read2_b32 v[73:74], v77 offset0:6 offset1:7
	ds_read2_b32 v[75:76], v77 offset0:4 offset1:5
	;; [unrolled: 1-line block ×3, first 2 shown]
	ds_read2_b32 v[71:72], v77 offset1:1
	ds_read2_b32 v[87:88], v77 offset0:14 offset1:15
	ds_read2_b32 v[93:94], v77 offset0:12 offset1:13
	;; [unrolled: 1-line block ×4, first 2 shown]
	s_add_i32 s19, s19, 0xa200
	v_add3_u32 v134, s19, v203, v204
	v_add3_u32 v221, s19, v205, v200
	s_waitcnt lgkmcnt(2)
	v_dot4_i32_i8 v78, v93, v14, 0
	s_waitcnt lgkmcnt(0)
	v_dot4_i32_i8 v77, v89, v10, 0
	v_dot4_i32_i8 v77, v90, v11, v77
	;; [unrolled: 1-line block ×15, first 2 shown]
	ds_read2_b32 v[77:78], v115 offset0:6 offset1:7
	ds_read2_b32 v[99:100], v115 offset0:4 offset1:5
	;; [unrolled: 1-line block ×3, first 2 shown]
	ds_read2_b32 v[97:98], v115 offset1:1
	ds_read2_b32 v[109:110], v115 offset0:14 offset1:15
	ds_read2_b32 v[111:112], v115 offset0:12 offset1:13
	;; [unrolled: 1-line block ×4, first 2 shown]
	s_waitcnt lgkmcnt(6)
	v_dot4_i32_i8 v6, v99, v6, 0
	s_waitcnt lgkmcnt(4)
	v_dot4_i32_i8 v2, v97, v2, 0
	v_dot4_i32_i8 v2, v98, v3, v2
	s_waitcnt lgkmcnt(2)
	v_dot4_i32_i8 v14, v111, v14, 0
	;; [unrolled: 3-line block ×3, first 2 shown]
	v_dot4_i32_i8 v2, v95, v4, v2
	v_dot4_i32_i8 v14, v109, v16, v14
	;; [unrolled: 1-line block ×5, first 2 shown]
	v_or_b32_e32 v2, s1, v178
	v_dot4_i32_i8 v244, v110, v17, v14
	v_dot4_i32_i8 v10, v113, v12, v10
	;; [unrolled: 1-line block ×3, first 2 shown]
	v_lshlrev_b32_e32 v14, 2, v2
	v_dot4_i32_i8 v245, v114, v13, v10
	v_dot4_i32_i8 v246, v78, v9, v6
	v_lshrrev_b32_e32 v216, 1, v2
	ds_read_b128 v[2:5], v14 offset:33280
	ds_read_b128 v[6:9], v14 offset:33296
	;; [unrolled: 1-line block ×4, first 2 shown]
	ds_read_b64 v[232:233], v133 offset:43584
	ds_read_b32 v133, v134
	v_add3_u32 v238, s19, v206, v201
	v_add3_u32 v243, s19, v207, v202
	s_waitcnt lgkmcnt(5)
	v_dot4_i32_i8 v226, v119, v2, 0
	s_waitcnt lgkmcnt(2)
	v_dot4_i32_i8 v219, v131, v14, 0
	v_dot4_i32_i8 v219, v132, v15, v219
	v_dot4_i32_i8 v219, v127, v16, v219
	v_dot4_i32_i8 v224, v128, v17, v219
	v_dot4_i32_i8 v219, v129, v10, 0
	v_dot4_i32_i8 v219, v130, v11, v219
	v_dot4_i32_i8 v219, v125, v12, v219
	s_waitcnt lgkmcnt(0)
	v_bfe_i32 v230, v133, 0, 8
	v_dot4_i32_i8 v225, v126, v13, v219
	v_dot4_i32_i8 v219, v123, v6, 0
	v_mul_lo_u32 v217, v217, v230
	v_dot4_i32_i8 v219, v124, v7, v219
	v_dot4_i32_i8 v219, v121, v8, v219
	;; [unrolled: 1-line block ×3, first 2 shown]
	v_bfe_i32 v231, v133, 8, 8
	ds_read_b64 v[234:235], v216 offset:43584
	v_mul_lo_u32 v216, v219, v231
	v_mad_u64_u32 v[217:218], s[18:19], v218, v231, v[217:218]
	v_dot4_i32_i8 v226, v120, v3, v226
	v_dot4_i32_i8 v226, v117, v4, v226
	;; [unrolled: 1-line block ×3, first 2 shown]
	v_ashrrev_i32_e32 v228, 24, v133
	v_mad_u64_u32 v[218:219], s[18:19], v226, v230, v[216:217]
	v_cvt_f32_i32_e32 v134, v217
	v_mul_lo_u32 v217, v224, v228
	v_bfe_i32 v229, v133, 16, 8
	v_cvt_f32_i32_e32 v133, v218
	v_mul_lo_u32 v216, v220, v229
	v_mad_u64_u32 v[217:218], s[18:19], v225, v229, v[217:218]
	s_waitcnt lgkmcnt(0)
	v_fma_f32 v133, v234, v133, 0
	v_fma_f32 v134, v232, v134, 0
	v_mad_u64_u32 v[218:219], s[18:19], v138, v228, v[216:217]
	v_cvt_f32_i32_e32 v216, v217
	v_cvt_f32_i32_e32 v138, v218
	v_fmac_f32_e32 v133, v235, v216
	v_dot4_i32_i8 v216, v81, v2, 0
	v_dot4_i32_i8 v216, v82, v3, v216
	;; [unrolled: 1-line block ×4, first 2 shown]
	ds_read_b32 v216, v221
	v_fmac_f32_e32 v134, v233, v138
	v_dot4_i32_i8 v138, v91, v6, 0
	v_dot4_i32_i8 v138, v92, v7, v138
	;; [unrolled: 1-line block ×3, first 2 shown]
	s_waitcnt lgkmcnt(0)
	v_bfe_i32 v226, v216, 0, 8
	v_mul_lo_u32 v217, v237, v226
	v_dot4_i32_i8 v138, v86, v9, v138
	v_bfe_i32 v227, v216, 8, 8
	v_fmac_f32_e32 v18, v208, v133
	v_dot4_i32_i8 v133, v107, v14, 0
	v_ashrrev_i32_e32 v224, 24, v216
	v_bfe_i32 v225, v216, 16, 8
	v_mul_lo_u32 v216, v138, v227
	v_mad_u64_u32 v[217:218], s[18:19], v236, v227, v[217:218]
	v_dot4_i32_i8 v133, v108, v15, v133
	v_dot4_i32_i8 v133, v103, v16, v133
	;; [unrolled: 1-line block ×3, first 2 shown]
	v_fma_f32 v19, v212, v134, v19
	v_dot4_i32_i8 v134, v105, v10, 0
	v_mad_u64_u32 v[218:219], s[18:19], v219, v226, v[216:217]
	v_cvt_f32_i32_e32 v216, v217
	v_mul_lo_u32 v217, v133, v224
	v_dot4_i32_i8 v134, v106, v11, v134
	v_dot4_i32_i8 v134, v101, v12, v134
	;; [unrolled: 1-line block ×3, first 2 shown]
	v_cvt_f32_i32_e32 v138, v218
	v_fma_f32 v220, v232, v216, 0
	v_mul_lo_u32 v216, v223, v225
	v_mad_u64_u32 v[217:218], s[18:19], v134, v225, v[217:218]
	v_fma_f32 v138, v234, v138, 0
	v_mad_u64_u32 v[218:219], s[18:19], v222, v224, v[216:217]
	v_dot4_i32_i8 v216, v71, v2, 0
	v_dot4_i32_i8 v216, v72, v3, v216
	;; [unrolled: 1-line block ×4, first 2 shown]
	ds_read_b32 v216, v238
	v_cvt_f32_i32_e32 v134, v217
	v_dot4_i32_i8 v2, v97, v2, 0
	v_dot4_i32_i8 v2, v98, v3, v2
	;; [unrolled: 1-line block ×3, first 2 shown]
	v_cvt_f32_i32_e32 v133, v218
	v_fmac_f32_e32 v138, v235, v134
	v_dot4_i32_i8 v5, v96, v5, v2
	ds_read_b32 v2, v243
	s_waitcnt lgkmcnt(1)
	v_bfe_i32 v222, v216, 0, 8
	v_fmac_f32_e32 v63, v209, v138
	v_dot4_i32_i8 v138, v75, v6, 0
	v_mul_lo_u32 v217, v242, v222
	v_dot4_i32_i8 v138, v76, v7, v138
	v_dot4_i32_i8 v138, v73, v8, v138
	v_fmac_f32_e32 v220, v233, v133
	v_dot4_i32_i8 v138, v74, v9, v138
	v_bfe_i32 v223, v216, 8, 8
	v_fma_f32 v64, v213, v220, v64
	v_dot4_i32_i8 v133, v93, v14, 0
	v_ashrrev_i32_e32 v220, 24, v216
	v_bfe_i32 v221, v216, 16, 8
	v_mul_lo_u32 v216, v138, v223
	v_mad_u64_u32 v[217:218], s[18:19], v241, v223, v[217:218]
	v_dot4_i32_i8 v133, v94, v15, v133
	v_dot4_i32_i8 v133, v87, v16, v133
	;; [unrolled: 1-line block ×4, first 2 shown]
	v_mad_u64_u32 v[218:219], s[18:19], v219, v222, v[216:217]
	v_cvt_f32_i32_e32 v216, v217
	v_mul_lo_u32 v217, v133, v220
	v_dot4_i32_i8 v134, v90, v11, v134
	v_dot4_i32_i8 v134, v83, v12, v134
	;; [unrolled: 1-line block ×3, first 2 shown]
	v_cvt_f32_i32_e32 v138, v218
	v_fma_f32 v236, v232, v216, 0
	v_mul_lo_u32 v216, v240, v221
	v_mad_u64_u32 v[217:218], s[18:19], v134, v221, v[217:218]
	v_dot4_i32_i8 v6, v99, v6, 0
	v_dot4_i32_i8 v6, v100, v7, v6
	v_mad_u64_u32 v[218:219], s[18:19], v239, v220, v[216:217]
	v_dot4_i32_i8 v6, v77, v8, v6
	v_dot4_i32_i8 v6, v78, v9, v6
	v_cvt_f32_i32_e32 v133, v218
	s_waitcnt lgkmcnt(0)
	v_bfe_i32 v218, v2, 0, 8
	v_mul_lo_u32 v3, v247, v218
	v_bfe_i32 v219, v2, 8, 8
	v_cvt_f32_i32_e32 v134, v217
	v_ashrrev_i32_e32 v216, 24, v2
	v_bfe_i32 v217, v2, 16, 8
	v_mul_lo_u32 v2, v6, v219
	v_mad_u64_u32 v[3:4], s[18:19], v246, v219, v[3:4]
	v_dot4_i32_i8 v14, v111, v14, 0
	v_dot4_i32_i8 v14, v112, v15, v14
	v_mad_u64_u32 v[4:5], s[18:19], v5, v218, v[2:3]
	v_cvt_f32_i32_e32 v3, v3
	v_dot4_i32_i8 v14, v109, v16, v14
	v_dot4_i32_i8 v14, v110, v17, v14
	;; [unrolled: 1-line block ×3, first 2 shown]
	v_cvt_f32_i32_e32 v2, v4
	v_fma_f32 v6, v232, v3, 0
	v_mul_lo_u32 v3, v14, v216
	v_dot4_i32_i8 v10, v116, v11, v10
	v_dot4_i32_i8 v10, v113, v12, v10
	;; [unrolled: 1-line block ×3, first 2 shown]
	v_fma_f32 v7, v234, v2, 0
	v_mul_lo_u32 v2, v245, v217
	v_mad_u64_u32 v[3:4], s[18:19], v10, v217, v[3:4]
	v_fmac_f32_e32 v236, v233, v133
	v_fma_f32 v138, v234, v138, 0
	v_mad_u64_u32 v[4:5], s[18:19], v244, v216, v[2:3]
	v_cvt_f32_i32_e32 v3, v3
	v_fmac_f32_e32 v138, v235, v134
	v_cvt_f32_i32_e32 v2, v4
	v_fmac_f32_e32 v65, v210, v138
	v_fmac_f32_e32 v7, v235, v3
	;; [unrolled: 1-line block ×4, first 2 shown]
	v_or_b32_e32 v2, s1, v179
	v_lshlrev_b32_e32 v14, 2, v2
	v_fma_f32 v68, v215, v6, v68
	v_lshrrev_b32_e32 v133, 1, v2
	ds_read_b128 v[2:5], v14 offset:33280
	ds_read_b128 v[6:9], v14 offset:33296
	;; [unrolled: 1-line block ×4, first 2 shown]
	v_fma_f32 v66, v214, v236, v66
	s_waitcnt lgkmcnt(2)
	v_dot4_i32_i8 v232, v123, v6, 0
	v_dot4_i32_i8 v232, v124, v7, v232
	;; [unrolled: 1-line block ×8, first 2 shown]
	s_waitcnt lgkmcnt(0)
	v_dot4_i32_i8 v232, v107, v14, 0
	v_dot4_i32_i8 v232, v108, v15, v232
	;; [unrolled: 1-line block ×45, first 2 shown]
	v_or_b32_e32 v2, s1, v180
	v_dot4_i32_i8 v134, v127, v16, v134
	v_dot4_i32_i8 v138, v125, v12, v138
	;; [unrolled: 1-line block ×6, first 2 shown]
	v_lshlrev_b32_e32 v14, 2, v2
	v_dot4_i32_i8 v134, v128, v17, v134
	v_dot4_i32_i8 v138, v126, v13, v138
	;; [unrolled: 1-line block ×5, first 2 shown]
	v_lshrrev_b32_e32 v234, 1, v2
	ds_read_b128 v[2:5], v14 offset:33280
	ds_read_b128 v[6:9], v14 offset:33296
	;; [unrolled: 1-line block ×4, first 2 shown]
	v_mul_lo_u32 v237, v237, v230
	s_waitcnt lgkmcnt(0)
	v_dot4_i32_i8 v232, v131, v14, 0
	v_dot4_i32_i8 v232, v132, v15, v232
	;; [unrolled: 1-line block ×13, first 2 shown]
	v_mul_lo_u32 v236, v236, v231
	v_mad_u64_u32 v[237:238], s[18:19], v238, v231, v[237:238]
	v_dot4_i32_i8 v232, v120, v3, v232
	v_dot4_i32_i8 v232, v117, v4, v232
	;; [unrolled: 1-line block ×3, first 2 shown]
	v_mad_u64_u32 v[238:239], s[18:19], v239, v230, v[236:237]
	v_cvt_f32_i32_e32 v236, v237
	v_mul_lo_u32 v237, v252, v228
	ds_read_b64 v[232:233], v133 offset:43584
	ds_read_b64 v[234:235], v234 offset:43584
	v_cvt_f32_i32_e32 v133, v238
	v_mad_u64_u32 v[237:238], s[18:19], v253, v229, v[237:238]
	s_waitcnt lgkmcnt(1)
	v_fma_f32 v254, v232, v236, 0
	v_mul_lo_u32 v236, v138, v229
	v_cvt_f32_i32_e32 v138, v237
	s_waitcnt lgkmcnt(0)
	v_fma_f32 v133, v234, v133, 0
	v_mad_u64_u32 v[238:239], s[18:19], v134, v228, v[236:237]
	v_fmac_f32_e32 v133, v235, v138
	v_dot4_i32_i8 v138, v91, v6, 0
	v_mul_lo_u32 v237, v243, v226
	v_dot4_i32_i8 v138, v92, v7, v138
	v_dot4_i32_i8 v236, v81, v2, 0
	;; [unrolled: 1-line block ×6, first 2 shown]
	v_cvt_f32_i32_e32 v134, v238
	v_fmac_f32_e32 v55, v208, v133
	v_dot4_i32_i8 v133, v107, v14, 0
	v_dot4_i32_i8 v239, v80, v5, v236
	v_mul_lo_u32 v236, v138, v227
	v_mad_u64_u32 v[237:238], s[18:19], v242, v227, v[237:238]
	v_dot4_i32_i8 v133, v108, v15, v133
	v_dot4_i32_i8 v133, v103, v16, v133
	;; [unrolled: 1-line block ×3, first 2 shown]
	v_fmac_f32_e32 v254, v233, v134
	v_dot4_i32_i8 v134, v105, v10, 0
	v_mad_u64_u32 v[238:239], s[18:19], v239, v226, v[236:237]
	v_cvt_f32_i32_e32 v236, v237
	v_mul_lo_u32 v237, v133, v224
	v_dot4_i32_i8 v134, v106, v11, v134
	v_dot4_i32_i8 v134, v101, v12, v134
	;; [unrolled: 1-line block ×3, first 2 shown]
	v_cvt_f32_i32_e32 v138, v238
	v_mad_u64_u32 v[237:238], s[18:19], v134, v225, v[237:238]
	v_fma_f32 v242, v232, v236, 0
	v_mul_lo_u32 v236, v241, v225
	v_cvt_f32_i32_e32 v134, v237
	v_fma_f32 v138, v234, v138, 0
	v_fma_f32 v56, v212, v254, v56
	v_mad_u64_u32 v[238:239], s[18:19], v240, v224, v[236:237]
	v_fmac_f32_e32 v138, v235, v134
	v_dot4_i32_i8 v236, v71, v2, 0
	v_dot4_i32_i8 v2, v97, v2, 0
	v_fmac_f32_e32 v57, v209, v138
	v_dot4_i32_i8 v138, v75, v6, 0
	v_dot4_i32_i8 v236, v72, v3, v236
	;; [unrolled: 1-line block ×4, first 2 shown]
	v_mul_lo_u32 v3, v251, v218
	v_dot4_i32_i8 v6, v100, v7, v6
	v_dot4_i32_i8 v6, v77, v8, v6
	;; [unrolled: 1-line block ×5, first 2 shown]
	v_cvt_f32_i32_e32 v133, v238
	v_dot4_i32_i8 v239, v70, v5, v236
	v_dot4_i32_i8 v5, v96, v5, v2
	v_mul_lo_u32 v2, v6, v219
	v_mad_u64_u32 v[3:4], s[18:19], v250, v219, v[3:4]
	v_mul_lo_u32 v237, v247, v222
	v_dot4_i32_i8 v138, v76, v7, v138
	v_fmac_f32_e32 v242, v233, v133
	v_dot4_i32_i8 v133, v93, v14, 0
	v_dot4_i32_i8 v138, v73, v8, v138
	;; [unrolled: 1-line block ×3, first 2 shown]
	v_mad_u64_u32 v[4:5], s[18:19], v5, v218, v[2:3]
	v_cvt_f32_i32_e32 v3, v3
	v_dot4_i32_i8 v138, v74, v9, v138
	v_dot4_i32_i8 v14, v112, v15, v14
	v_mul_lo_u32 v236, v138, v223
	v_mad_u64_u32 v[237:238], s[18:19], v246, v223, v[237:238]
	v_dot4_i32_i8 v14, v109, v16, v14
	v_dot4_i32_i8 v133, v94, v15, v133
	;; [unrolled: 1-line block ×6, first 2 shown]
	v_cvt_f32_i32_e32 v2, v4
	v_fma_f32 v6, v232, v3, 0
	v_mul_lo_u32 v3, v14, v216
	v_dot4_i32_i8 v133, v88, v17, v133
	v_dot4_i32_i8 v10, v116, v11, v10
	v_mad_u64_u32 v[238:239], s[18:19], v239, v222, v[236:237]
	v_cvt_f32_i32_e32 v236, v237
	v_mul_lo_u32 v237, v133, v220
	v_dot4_i32_i8 v10, v113, v12, v10
	v_dot4_i32_i8 v134, v90, v11, v134
	;; [unrolled: 1-line block ×4, first 2 shown]
	v_fma_f32 v7, v234, v2, 0
	v_mul_lo_u32 v2, v249, v217
	v_mad_u64_u32 v[3:4], s[18:19], v10, v217, v[3:4]
	v_dot4_i32_i8 v134, v84, v13, v134
	v_cvt_f32_i32_e32 v138, v238
	v_fma_f32 v240, v232, v236, 0
	v_mul_lo_u32 v236, v245, v221
	v_mad_u64_u32 v[237:238], s[18:19], v134, v221, v[237:238]
	v_mad_u64_u32 v[4:5], s[18:19], v248, v216, v[2:3]
	;; [unrolled: 1-line block ×3, first 2 shown]
	v_cvt_f32_i32_e32 v2, v4
	v_cvt_f32_i32_e32 v3, v3
	;; [unrolled: 1-line block ×4, first 2 shown]
	v_fmac_f32_e32 v6, v233, v2
	v_or_b32_e32 v2, s1, v181
	v_fmac_f32_e32 v7, v235, v3
	v_lshlrev_b32_e32 v14, 2, v2
	v_fmac_f32_e32 v240, v233, v133
	v_fma_f32 v62, v215, v6, v62
	v_fmac_f32_e32 v61, v211, v7
	v_lshrrev_b32_e32 v133, 1, v2
	ds_read_b128 v[2:5], v14 offset:33280
	ds_read_b128 v[6:9], v14 offset:33296
	;; [unrolled: 1-line block ×4, first 2 shown]
	v_fma_f32 v60, v214, v240, v60
	v_fma_f32 v58, v213, v242, v58
	s_waitcnt lgkmcnt(2)
	v_dot4_i32_i8 v232, v123, v6, 0
	v_dot4_i32_i8 v232, v124, v7, v232
	;; [unrolled: 1-line block ×8, first 2 shown]
	s_waitcnt lgkmcnt(0)
	v_dot4_i32_i8 v232, v107, v14, 0
	v_dot4_i32_i8 v232, v108, v15, v232
	;; [unrolled: 1-line block ×27, first 2 shown]
	v_fma_f32 v138, v234, v138, 0
	v_dot4_i32_i8 v246, v74, v9, v232
	v_dot4_i32_i8 v232, v71, v2, 0
	;; [unrolled: 1-line block ×3, first 2 shown]
	v_fmac_f32_e32 v138, v235, v134
	v_dot4_i32_i8 v134, v131, v14, 0
	v_dot4_i32_i8 v14, v111, v14, 0
	;; [unrolled: 1-line block ×3, first 2 shown]
	v_fmac_f32_e32 v59, v210, v138
	v_dot4_i32_i8 v138, v129, v10, 0
	v_dot4_i32_i8 v14, v112, v15, v14
	;; [unrolled: 1-line block ×12, first 2 shown]
	v_or_b32_e32 v2, s1, v182
	v_dot4_i32_i8 v134, v127, v16, v134
	v_dot4_i32_i8 v138, v125, v12, v138
	;; [unrolled: 1-line block ×6, first 2 shown]
	v_lshlrev_b32_e32 v14, 2, v2
	v_dot4_i32_i8 v134, v128, v17, v134
	v_dot4_i32_i8 v138, v126, v13, v138
	;; [unrolled: 1-line block ×5, first 2 shown]
	v_lshrrev_b32_e32 v234, 1, v2
	ds_read_b128 v[2:5], v14 offset:33280
	ds_read_b128 v[6:9], v14 offset:33296
	;; [unrolled: 1-line block ×4, first 2 shown]
	v_mul_lo_u32 v237, v237, v230
	s_waitcnt lgkmcnt(0)
	v_dot4_i32_i8 v232, v131, v14, 0
	v_dot4_i32_i8 v232, v132, v15, v232
	;; [unrolled: 1-line block ×13, first 2 shown]
	v_mul_lo_u32 v236, v236, v231
	v_mad_u64_u32 v[237:238], s[18:19], v238, v231, v[237:238]
	v_dot4_i32_i8 v232, v120, v3, v232
	v_dot4_i32_i8 v232, v117, v4, v232
	;; [unrolled: 1-line block ×3, first 2 shown]
	v_mad_u64_u32 v[238:239], s[18:19], v239, v230, v[236:237]
	v_cvt_f32_i32_e32 v236, v237
	v_mul_lo_u32 v237, v252, v228
	ds_read_b64 v[232:233], v133 offset:43584
	ds_read_b64 v[234:235], v234 offset:43584
	v_cvt_f32_i32_e32 v133, v238
	v_mad_u64_u32 v[237:238], s[18:19], v253, v229, v[237:238]
	s_waitcnt lgkmcnt(1)
	v_fma_f32 v254, v232, v236, 0
	v_mul_lo_u32 v236, v138, v229
	v_cvt_f32_i32_e32 v138, v237
	s_waitcnt lgkmcnt(0)
	v_fma_f32 v133, v234, v133, 0
	v_mad_u64_u32 v[238:239], s[18:19], v134, v228, v[236:237]
	v_fmac_f32_e32 v133, v235, v138
	v_dot4_i32_i8 v138, v91, v6, 0
	v_mul_lo_u32 v237, v243, v226
	v_dot4_i32_i8 v138, v92, v7, v138
	v_dot4_i32_i8 v236, v81, v2, 0
	;; [unrolled: 1-line block ×6, first 2 shown]
	v_cvt_f32_i32_e32 v134, v238
	v_fmac_f32_e32 v45, v208, v133
	v_dot4_i32_i8 v133, v107, v14, 0
	v_dot4_i32_i8 v239, v80, v5, v236
	v_mul_lo_u32 v236, v138, v227
	v_mad_u64_u32 v[237:238], s[18:19], v242, v227, v[237:238]
	v_dot4_i32_i8 v133, v108, v15, v133
	v_dot4_i32_i8 v133, v103, v16, v133
	;; [unrolled: 1-line block ×3, first 2 shown]
	v_fmac_f32_e32 v254, v233, v134
	v_dot4_i32_i8 v134, v105, v10, 0
	v_mad_u64_u32 v[238:239], s[18:19], v239, v226, v[236:237]
	v_cvt_f32_i32_e32 v236, v237
	v_mul_lo_u32 v237, v133, v224
	v_dot4_i32_i8 v134, v106, v11, v134
	v_dot4_i32_i8 v134, v101, v12, v134
	;; [unrolled: 1-line block ×3, first 2 shown]
	v_cvt_f32_i32_e32 v138, v238
	v_mad_u64_u32 v[237:238], s[18:19], v134, v225, v[237:238]
	v_fma_f32 v242, v232, v236, 0
	v_mul_lo_u32 v236, v241, v225
	v_cvt_f32_i32_e32 v134, v237
	v_fma_f32 v138, v234, v138, 0
	v_fma_f32 v46, v212, v254, v46
	v_mad_u64_u32 v[238:239], s[18:19], v240, v224, v[236:237]
	v_fmac_f32_e32 v138, v235, v134
	v_dot4_i32_i8 v236, v71, v2, 0
	v_dot4_i32_i8 v2, v97, v2, 0
	v_fmac_f32_e32 v47, v209, v138
	v_dot4_i32_i8 v138, v75, v6, 0
	v_dot4_i32_i8 v236, v72, v3, v236
	;; [unrolled: 1-line block ×4, first 2 shown]
	v_mul_lo_u32 v3, v251, v218
	v_dot4_i32_i8 v6, v100, v7, v6
	v_dot4_i32_i8 v6, v77, v8, v6
	;; [unrolled: 1-line block ×5, first 2 shown]
	v_cvt_f32_i32_e32 v133, v238
	v_dot4_i32_i8 v239, v70, v5, v236
	v_dot4_i32_i8 v5, v96, v5, v2
	v_mul_lo_u32 v2, v6, v219
	v_mad_u64_u32 v[3:4], s[18:19], v250, v219, v[3:4]
	v_fmac_f32_e32 v242, v233, v133
	v_dot4_i32_i8 v133, v93, v14, 0
	v_dot4_i32_i8 v14, v111, v14, 0
	v_mad_u64_u32 v[4:5], s[18:19], v5, v218, v[2:3]
	v_cvt_f32_i32_e32 v3, v3
	v_dot4_i32_i8 v14, v112, v15, v14
	v_mul_lo_u32 v237, v247, v222
	v_dot4_i32_i8 v14, v109, v16, v14
	v_dot4_i32_i8 v138, v76, v7, v138
	;; [unrolled: 1-line block ×6, first 2 shown]
	v_cvt_f32_i32_e32 v2, v4
	v_fma_f32 v6, v232, v3, 0
	v_mul_lo_u32 v3, v14, v216
	v_dot4_i32_i8 v138, v74, v9, v138
	v_dot4_i32_i8 v10, v116, v11, v10
	v_mul_lo_u32 v236, v138, v223
	v_mad_u64_u32 v[237:238], s[18:19], v246, v223, v[237:238]
	v_dot4_i32_i8 v10, v113, v12, v10
	v_dot4_i32_i8 v133, v94, v15, v133
	v_dot4_i32_i8 v10, v114, v13, v10
	v_dot4_i32_i8 v133, v87, v16, v133
	v_fma_f32 v7, v234, v2, 0
	v_mul_lo_u32 v2, v249, v217
	v_mad_u64_u32 v[3:4], s[18:19], v10, v217, v[3:4]
	v_dot4_i32_i8 v133, v88, v17, v133
	v_mad_u64_u32 v[238:239], s[18:19], v239, v222, v[236:237]
	v_cvt_f32_i32_e32 v236, v237
	v_mul_lo_u32 v237, v133, v220
	v_dot4_i32_i8 v134, v90, v11, v134
	v_dot4_i32_i8 v134, v83, v12, v134
	v_mad_u64_u32 v[4:5], s[18:19], v248, v216, v[2:3]
	v_dot4_i32_i8 v134, v84, v13, v134
	v_cvt_f32_i32_e32 v138, v238
	v_fma_f32 v240, v232, v236, 0
	v_mul_lo_u32 v236, v245, v221
	v_mad_u64_u32 v[237:238], s[18:19], v134, v221, v[237:238]
	v_cvt_f32_i32_e32 v2, v4
	v_cvt_f32_i32_e32 v3, v3
	v_mad_u64_u32 v[238:239], s[18:19], v244, v220, v[236:237]
	v_fmac_f32_e32 v6, v233, v2
	v_or_b32_e32 v2, s1, v183
	v_fmac_f32_e32 v7, v235, v3
	v_lshlrev_b32_e32 v14, 2, v2
	v_cvt_f32_i32_e32 v133, v238
	v_fma_f32 v52, v215, v6, v52
	v_fmac_f32_e32 v51, v211, v7
	v_lshrrev_b32_e32 v232, 1, v2
	ds_read_b128 v[2:5], v14 offset:33280
	ds_read_b128 v[6:9], v14 offset:33296
	;; [unrolled: 1-line block ×4, first 2 shown]
	v_cvt_f32_i32_e32 v134, v237
	v_fma_f32 v138, v234, v138, 0
	v_fmac_f32_e32 v240, v233, v133
	s_waitcnt lgkmcnt(3)
	v_dot4_i32_i8 v233, v119, v2, 0
	v_dot4_i32_i8 v237, v81, v2, 0
	;; [unrolled: 1-line block ×4, first 2 shown]
	v_fmac_f32_e32 v138, v235, v134
	s_waitcnt lgkmcnt(0)
	v_dot4_i32_i8 v133, v131, v14, 0
	v_dot4_i32_i8 v234, v107, v14, 0
	;; [unrolled: 1-line block ×5, first 2 shown]
	v_fma_f32 v50, v214, v240, v50
	v_fmac_f32_e32 v49, v210, v138
	v_dot4_i32_i8 v134, v129, v10, 0
	v_dot4_i32_i8 v138, v123, v6, 0
	;; [unrolled: 1-line block ×26, first 2 shown]
	v_or_b32_e32 v2, s1, v184
	v_fma_f32 v48, v213, v242, v48
	v_dot4_i32_i8 v133, v127, v16, v133
	v_dot4_i32_i8 v134, v125, v12, v134
	;; [unrolled: 1-line block ×15, first 2 shown]
	v_lshlrev_b32_e32 v14, 2, v2
	v_dot4_i32_i8 v133, v128, v17, v133
	v_dot4_i32_i8 v134, v126, v13, v134
	;; [unrolled: 1-line block ×14, first 2 shown]
	v_lshrrev_b32_e32 v246, 1, v2
	ds_read_b128 v[2:5], v14 offset:33280
	ds_read_b128 v[6:9], v14 offset:33296
	ds_read_b128 v[10:13], v14 offset:33312
	ds_read_b128 v[14:17], v14 offset:33328
	s_add_i32 s1, s0, 8
	s_waitcnt lgkmcnt(3)
	v_dot4_i32_i8 v81, v81, v2, 0
	v_dot4_i32_i8 v81, v82, v3, v81
	;; [unrolled: 1-line block ×3, first 2 shown]
	s_waitcnt lgkmcnt(2)
	v_dot4_i32_i8 v91, v91, v6, 0
	v_dot4_i32_i8 v82, v80, v5, v79
	v_mul_lo_u32 v80, v237, v226
	v_dot4_i32_i8 v91, v92, v7, v91
	v_dot4_i32_i8 v85, v85, v8, v91
	;; [unrolled: 1-line block ×3, first 2 shown]
	v_mul_lo_u32 v79, v85, v227
	v_mad_u64_u32 v[80:81], s[18:19], v236, v227, v[80:81]
	v_dot4_i32_i8 v119, v119, v2, 0
	v_dot4_i32_i8 v119, v120, v3, v119
	;; [unrolled: 1-line block ×6, first 2 shown]
	ds_read_b64 v[117:118], v232 offset:43584
	ds_read_b64 v[119:120], v246 offset:43584
	s_waitcnt lgkmcnt(2)
	v_dot4_i32_i8 v107, v107, v14, 0
	v_mad_u64_u32 v[81:82], s[18:19], v82, v226, v[79:80]
	v_cvt_f32_i32_e32 v80, v80
	v_dot4_i32_i8 v107, v108, v15, v107
	v_dot4_i32_i8 v103, v103, v16, v107
	;; [unrolled: 1-line block ×4, first 2 shown]
	v_cvt_f32_i32_e32 v79, v81
	s_waitcnt lgkmcnt(1)
	v_fma_f32 v85, v117, v80, 0
	v_mul_lo_u32 v80, v103, v224
	v_dot4_i32_i8 v104, v106, v11, v104
	v_dot4_i32_i8 v101, v101, v12, v104
	;; [unrolled: 1-line block ×3, first 2 shown]
	s_waitcnt lgkmcnt(0)
	v_fma_f32 v86, v119, v79, 0
	v_mul_lo_u32 v79, v235, v225
	v_mad_u64_u32 v[80:81], s[18:19], v101, v225, v[80:81]
	v_dot4_i32_i8 v71, v71, v2, 0
	v_dot4_i32_i8 v71, v72, v3, v71
	;; [unrolled: 1-line block ×6, first 2 shown]
	v_mul_lo_u32 v122, v233, v230
	v_mad_u64_u32 v[81:82], s[18:19], v234, v224, v[79:80]
	v_dot4_i32_i8 v75, v75, v6, 0
	v_dot4_i32_i8 v72, v70, v5, v69
	v_mul_lo_u32 v70, v241, v222
	v_dot4_i32_i8 v6, v99, v6, 0
	v_dot4_i32_i8 v2, v98, v3, v2
	v_mul_lo_u32 v3, v245, v218
	v_dot4_i32_i8 v75, v76, v7, v75
	v_dot4_i32_i8 v6, v100, v7, v6
	;; [unrolled: 1-line block ×7, first 2 shown]
	v_mul_lo_u32 v121, v121, v231
	v_mad_u64_u32 v[122:123], s[18:19], v138, v231, v[122:123]
	v_cvt_f32_i32_e32 v79, v81
	v_mul_lo_u32 v69, v73, v223
	v_mad_u64_u32 v[70:71], s[18:19], v240, v223, v[70:71]
	v_dot4_i32_i8 v5, v96, v5, v2
	v_mul_lo_u32 v2, v6, v219
	v_mad_u64_u32 v[3:4], s[18:19], v244, v219, v[3:4]
	v_dot4_i32_i8 v131, v131, v14, 0
	v_dot4_i32_i8 v131, v132, v15, v131
	;; [unrolled: 1-line block ×3, first 2 shown]
	v_mad_u64_u32 v[123:124], s[18:19], v124, v230, v[121:122]
	v_cvt_f32_i32_e32 v122, v122
	v_cvt_f32_i32_e32 v80, v80
	v_fmac_f32_e32 v85, v118, v79
	v_dot4_i32_i8 v79, v93, v14, 0
	v_mad_u64_u32 v[71:72], s[18:19], v72, v222, v[69:70]
	v_cvt_f32_i32_e32 v70, v70
	v_dot4_i32_i8 v14, v111, v14, 0
	v_mad_u64_u32 v[4:5], s[18:19], v5, v218, v[2:3]
	v_cvt_f32_i32_e32 v3, v3
	v_dot4_i32_i8 v127, v128, v17, v127
	v_dot4_i32_i8 v128, v129, v10, 0
	;; [unrolled: 1-line block ×11, first 2 shown]
	v_cvt_f32_i32_e32 v121, v123
	v_fma_f32 v126, v117, v122, 0
	v_mul_lo_u32 v122, v127, v228
	v_fmac_f32_e32 v86, v120, v80
	v_dot4_i32_i8 v80, v89, v10, 0
	v_cvt_f32_i32_e32 v69, v71
	v_fma_f32 v73, v117, v70, 0
	v_mul_lo_u32 v70, v79, v220
	v_dot4_i32_i8 v10, v115, v10, 0
	v_cvt_f32_i32_e32 v2, v4
	v_fma_f32 v6, v117, v3, 0
	v_mul_lo_u32 v3, v14, v216
	v_dot4_i32_i8 v80, v90, v11, v80
	v_dot4_i32_i8 v10, v116, v11, v10
	;; [unrolled: 1-line block ×6, first 2 shown]
	v_fma_f32 v128, v119, v121, 0
	v_mul_lo_u32 v121, v134, v229
	v_mad_u64_u32 v[122:123], s[18:19], v125, v229, v[122:123]
	v_fma_f32 v74, v119, v69, 0
	v_mul_lo_u32 v69, v239, v221
	v_mad_u64_u32 v[70:71], s[18:19], v80, v221, v[70:71]
	;; [unrolled: 3-line block ×3, first 2 shown]
	v_mad_u64_u32 v[123:124], s[18:19], v133, v228, v[121:122]
	v_mad_u64_u32 v[71:72], s[18:19], v238, v220, v[69:70]
	;; [unrolled: 1-line block ×3, first 2 shown]
	v_cvt_f32_i32_e32 v121, v123
	v_cvt_f32_i32_e32 v122, v122
	;; [unrolled: 1-line block ×6, first 2 shown]
	v_fmac_f32_e32 v128, v120, v122
	v_fmac_f32_e32 v126, v118, v121
	;; [unrolled: 1-line block ×6, first 2 shown]
	v_fma_f32 v38, v212, v126, v38
	v_fmac_f32_e32 v37, v208, v128
	v_fma_f32 v40, v213, v85, v40
	v_fmac_f32_e32 v39, v209, v86
	;; [unrolled: 2-line block ×4, first 2 shown]
	s_cmp_lt_u32 s0, 24
	s_mov_b32 s0, s1
	s_cbranch_scc1 .LBB156_8
; %bb.9:                                ;   in Loop: Header=BB156_5 Depth=1
	s_add_i32 s7, s7, 1
	s_cmp_eq_u32 s7, s4
	s_barrier
	s_cbranch_scc0 .LBB156_5
; %bb.10:
	v_cvt_f16_f32_e32 v4, v64
	v_cvt_f16_f32_e32 v5, v63
	;; [unrolled: 1-line block ×6, first 2 shown]
	v_pack_b32_f16 v19, v5, v4
	v_pack_b32_f16 v18, v7, v6
	v_cvt_f16_f32_e32 v4, v58
	v_cvt_f16_f32_e32 v5, v57
	;; [unrolled: 1-line block ×5, first 2 shown]
	v_pack_b32_f16 v15, v5, v4
	v_cvt_f16_f32_e32 v4, v48
	v_pack_b32_f16 v14, v7, v6
	v_cvt_f16_f32_e32 v5, v47
	v_cvt_f16_f32_e32 v6, v50
	;; [unrolled: 1-line block ×4, first 2 shown]
	v_pack_b32_f16 v11, v5, v4
	v_cvt_f16_f32_e32 v4, v40
	v_pack_b32_f16 v10, v7, v6
	v_cvt_f16_f32_e32 v6, v39
	v_pack_b32_f16 v20, v3, v2
	v_pack_b32_f16 v17, v9, v8
	v_cvt_f16_f32_e32 v2, v56
	v_pack_b32_f16 v4, v6, v4
	v_mov_b32_e32 v6, v1
	buffer_load_dword v0, off, s[24:27], 0 offset:4 ; 4-byte Folded Reload
	buffer_load_dword v1, off, s[24:27], 0 offset:8 ; 4-byte Folded Reload
	v_cvt_f16_f32_e32 v3, v55
	v_cvt_f16_f32_e32 v8, v62
	;; [unrolled: 1-line block ×4, first 2 shown]
	v_pack_b32_f16 v16, v3, v2
	v_cvt_f16_f32_e32 v2, v46
	v_pack_b32_f16 v13, v9, v8
	v_cvt_f16_f32_e32 v3, v45
	v_cvt_f16_f32_e32 v8, v52
	;; [unrolled: 1-line block ×4, first 2 shown]
	v_pack_b32_f16 v12, v3, v2
	v_cvt_f16_f32_e32 v2, v38
	v_pack_b32_f16 v9, v9, v8
	v_cvt_f16_f32_e32 v3, v37
	v_cvt_f16_f32_e32 v8, v41
	;; [unrolled: 1-line block ×3, first 2 shown]
	v_pack_b32_f16 v5, v3, v2
	v_pack_b32_f16 v3, v8, v7
	;; [unrolled: 1-line block ×3, first 2 shown]
.LBB156_11:
	v_cmp_gt_u32_e32 vcc, s10, v6
	s_and_saveexec_b64 s[0:1], vcc
	s_cbranch_execz .LBB156_62
; %bb.12:
	v_mul_lo_u32 v21, v6, s14
	s_waitcnt vmcnt(1)
	v_add_u32_e32 v0, s6, v0
	v_cmp_gt_u32_e32 vcc, s14, v0
	s_and_saveexec_b64 s[2:3], vcc
	s_cbranch_execz .LBB156_14
; %bb.13:
	v_add_u32_e32 v6, v0, v21
	v_mov_b32_e32 v7, 0
	v_lshlrev_b64 v[6:7], 1, v[6:7]
	s_waitcnt lgkmcnt(0)
	v_mov_b32_e32 v8, s13
	v_add_co_u32_e64 v6, s[0:1], s12, v6
	v_addc_co_u32_e64 v7, s[0:1], v8, v7, s[0:1]
	global_store_short_d16_hi v[6:7], v20, off
.LBB156_14:
	s_or_b64 exec, exec, s[2:3]
	v_add_u32_e32 v6, 32, v0
	v_cmp_gt_u32_e64 s[0:1], s14, v6
	s_and_saveexec_b64 s[4:5], s[0:1]
	s_cbranch_execz .LBB156_16
; %bb.15:
	v_add_u32_e32 v7, v6, v21
	v_mov_b32_e32 v8, 0
	v_lshlrev_b64 v[7:8], 1, v[7:8]
	s_waitcnt lgkmcnt(0)
	v_mov_b32_e32 v22, s13
	v_add_co_u32_e64 v7, s[2:3], s12, v7
	v_addc_co_u32_e64 v8, s[2:3], v22, v8, s[2:3]
	global_store_short_d16_hi v[7:8], v19, off
.LBB156_16:
	s_or_b64 exec, exec, s[4:5]
	v_add_u32_e32 v7, 64, v0
	v_cmp_gt_u32_e64 s[2:3], s14, v7
	s_and_saveexec_b64 s[6:7], s[2:3]
	;; [unrolled: 15-line block ×3, first 2 shown]
	s_cbranch_execz .LBB156_20
; %bb.19:
	v_add_u32_e32 v21, v8, v21
	v_mov_b32_e32 v22, 0
	v_lshlrev_b64 v[21:22], 1, v[21:22]
	s_waitcnt lgkmcnt(0)
	v_mov_b32_e32 v23, s13
	v_add_co_u32_e64 v21, s[6:7], s12, v21
	v_addc_co_u32_e64 v22, s[6:7], v23, v22, s[6:7]
	global_store_short_d16_hi v[21:22], v17, off
.LBB156_20:
	s_or_b64 exec, exec, s[8:9]
	s_waitcnt vmcnt(0)
	v_add3_u32 v21, v1, s15, 8
	v_cmp_gt_u32_e64 s[6:7], s10, v21
	s_and_b64 exec, exec, s[6:7]
	s_cbranch_execz .LBB156_62
; %bb.21:
	v_mul_lo_u32 v21, v21, s14
	s_and_saveexec_b64 s[8:9], vcc
	s_cbranch_execnz .LBB156_63
; %bb.22:
	s_or_b64 exec, exec, s[8:9]
	s_and_saveexec_b64 s[8:9], s[0:1]
	s_cbranch_execnz .LBB156_64
.LBB156_23:
	s_or_b64 exec, exec, s[8:9]
	s_and_saveexec_b64 s[8:9], s[2:3]
	s_cbranch_execnz .LBB156_65
.LBB156_24:
	s_or_b64 exec, exec, s[8:9]
	s_and_saveexec_b64 s[8:9], s[4:5]
	s_cbranch_execz .LBB156_26
.LBB156_25:
	v_add_u32_e32 v18, v21, v8
	v_mov_b32_e32 v19, 0
	v_lshlrev_b64 v[18:19], 1, v[18:19]
	s_waitcnt lgkmcnt(0)
	v_mov_b32_e32 v20, s13
	v_add_co_u32_e64 v18, s[6:7], s12, v18
	v_addc_co_u32_e64 v19, s[6:7], v20, v19, s[6:7]
	global_store_short v[18:19], v17, off
.LBB156_26:
	s_or_b64 exec, exec, s[8:9]
	v_add3_u32 v17, v1, s15, 16
	v_cmp_gt_u32_e64 s[6:7], s10, v17
	s_and_b64 exec, exec, s[6:7]
	s_cbranch_execz .LBB156_62
; %bb.27:
	v_mul_lo_u32 v17, v17, s14
	s_and_saveexec_b64 s[8:9], vcc
	s_cbranch_execnz .LBB156_66
; %bb.28:
	s_or_b64 exec, exec, s[8:9]
	s_and_saveexec_b64 s[8:9], s[0:1]
	s_cbranch_execnz .LBB156_67
.LBB156_29:
	s_or_b64 exec, exec, s[8:9]
	s_and_saveexec_b64 s[8:9], s[2:3]
	s_cbranch_execnz .LBB156_68
.LBB156_30:
	s_or_b64 exec, exec, s[8:9]
	s_and_saveexec_b64 s[8:9], s[4:5]
	s_cbranch_execz .LBB156_32
.LBB156_31:
	v_add_u32_e32 v17, v17, v8
	v_mov_b32_e32 v18, 0
	v_lshlrev_b64 v[17:18], 1, v[17:18]
	s_waitcnt lgkmcnt(0)
	v_mov_b32_e32 v19, s13
	v_add_co_u32_e64 v17, s[6:7], s12, v17
	v_addc_co_u32_e64 v18, s[6:7], v19, v18, s[6:7]
	global_store_short_d16_hi v[17:18], v13, off
.LBB156_32:
	s_or_b64 exec, exec, s[8:9]
	v_add3_u32 v17, v1, s15, 24
	v_cmp_gt_u32_e64 s[6:7], s10, v17
	s_and_b64 exec, exec, s[6:7]
	s_cbranch_execz .LBB156_62
; %bb.33:
	v_mul_lo_u32 v17, v17, s14
	s_and_saveexec_b64 s[8:9], vcc
	s_cbranch_execnz .LBB156_69
; %bb.34:
	s_or_b64 exec, exec, s[8:9]
	s_and_saveexec_b64 s[8:9], s[0:1]
	s_cbranch_execnz .LBB156_70
.LBB156_35:
	s_or_b64 exec, exec, s[8:9]
	s_and_saveexec_b64 s[8:9], s[2:3]
	s_cbranch_execnz .LBB156_71
.LBB156_36:
	s_or_b64 exec, exec, s[8:9]
	s_and_saveexec_b64 s[8:9], s[4:5]
	s_cbranch_execz .LBB156_38
.LBB156_37:
	v_add_u32_e32 v14, v17, v8
	v_mov_b32_e32 v15, 0
	v_lshlrev_b64 v[14:15], 1, v[14:15]
	s_waitcnt lgkmcnt(0)
	v_mov_b32_e32 v16, s13
	v_add_co_u32_e64 v14, s[6:7], s12, v14
	v_addc_co_u32_e64 v15, s[6:7], v16, v15, s[6:7]
	global_store_short v[14:15], v13, off
.LBB156_38:
	s_or_b64 exec, exec, s[8:9]
	v_add3_u32 v13, v1, s15, 32
	v_cmp_gt_u32_e64 s[6:7], s10, v13
	s_and_b64 exec, exec, s[6:7]
	s_cbranch_execz .LBB156_62
; %bb.39:
	v_mul_lo_u32 v13, v13, s14
	s_and_saveexec_b64 s[8:9], vcc
	s_cbranch_execnz .LBB156_72
; %bb.40:
	s_or_b64 exec, exec, s[8:9]
	s_and_saveexec_b64 s[8:9], s[0:1]
	s_cbranch_execnz .LBB156_73
.LBB156_41:
	s_or_b64 exec, exec, s[8:9]
	s_and_saveexec_b64 s[8:9], s[2:3]
	s_cbranch_execnz .LBB156_74
.LBB156_42:
	s_or_b64 exec, exec, s[8:9]
	s_and_saveexec_b64 s[8:9], s[4:5]
	s_cbranch_execz .LBB156_44
.LBB156_43:
	v_add_u32_e32 v13, v13, v8
	v_mov_b32_e32 v14, 0
	v_lshlrev_b64 v[13:14], 1, v[13:14]
	s_waitcnt lgkmcnt(0)
	v_mov_b32_e32 v15, s13
	v_add_co_u32_e64 v13, s[6:7], s12, v13
	v_addc_co_u32_e64 v14, s[6:7], v15, v14, s[6:7]
	global_store_short_d16_hi v[13:14], v9, off
.LBB156_44:
	s_or_b64 exec, exec, s[8:9]
	v_add3_u32 v13, v1, s15, 40
	v_cmp_gt_u32_e64 s[6:7], s10, v13
	s_and_b64 exec, exec, s[6:7]
	s_cbranch_execz .LBB156_62
; %bb.45:
	v_mul_lo_u32 v13, v13, s14
	s_and_saveexec_b64 s[8:9], vcc
	s_cbranch_execnz .LBB156_75
; %bb.46:
	s_or_b64 exec, exec, s[8:9]
	s_and_saveexec_b64 s[8:9], s[0:1]
	s_cbranch_execnz .LBB156_76
.LBB156_47:
	s_or_b64 exec, exec, s[8:9]
	s_and_saveexec_b64 s[8:9], s[2:3]
	s_cbranch_execnz .LBB156_77
.LBB156_48:
	s_or_b64 exec, exec, s[8:9]
	s_and_saveexec_b64 s[8:9], s[4:5]
	s_cbranch_execz .LBB156_50
.LBB156_49:
	v_add_u32_e32 v10, v13, v8
	v_mov_b32_e32 v11, 0
	v_lshlrev_b64 v[10:11], 1, v[10:11]
	s_waitcnt lgkmcnt(0)
	v_mov_b32_e32 v12, s13
	v_add_co_u32_e64 v10, s[6:7], s12, v10
	v_addc_co_u32_e64 v11, s[6:7], v12, v11, s[6:7]
	global_store_short v[10:11], v9, off
.LBB156_50:
	s_or_b64 exec, exec, s[8:9]
	v_add3_u32 v9, v1, s15, 48
	v_cmp_gt_u32_e64 s[6:7], s10, v9
	s_and_b64 exec, exec, s[6:7]
	s_cbranch_execz .LBB156_62
; %bb.51:
	v_mul_lo_u32 v9, v9, s14
	s_and_saveexec_b64 s[8:9], vcc
	s_cbranch_execnz .LBB156_78
; %bb.52:
	s_or_b64 exec, exec, s[8:9]
	s_and_saveexec_b64 s[8:9], s[0:1]
	s_cbranch_execnz .LBB156_79
.LBB156_53:
	s_or_b64 exec, exec, s[8:9]
	s_and_saveexec_b64 s[8:9], s[2:3]
	s_cbranch_execnz .LBB156_80
.LBB156_54:
	s_or_b64 exec, exec, s[8:9]
	s_and_saveexec_b64 s[8:9], s[4:5]
	s_cbranch_execz .LBB156_56
.LBB156_55:
	v_add_u32_e32 v9, v9, v8
	v_mov_b32_e32 v10, 0
	v_lshlrev_b64 v[9:10], 1, v[9:10]
	s_waitcnt lgkmcnt(0)
	v_mov_b32_e32 v11, s13
	v_add_co_u32_e64 v9, s[6:7], s12, v9
	v_addc_co_u32_e64 v10, s[6:7], v11, v10, s[6:7]
	global_store_short_d16_hi v[9:10], v2, off
.LBB156_56:
	s_or_b64 exec, exec, s[8:9]
	v_add3_u32 v1, v1, s15, 56
	v_cmp_gt_u32_e64 s[6:7], s10, v1
	s_and_b64 exec, exec, s[6:7]
	s_cbranch_execz .LBB156_62
; %bb.57:
	v_mul_lo_u32 v1, v1, s14
	s_and_saveexec_b64 s[6:7], vcc
	s_cbranch_execnz .LBB156_81
; %bb.58:
	s_or_b64 exec, exec, s[6:7]
	s_and_saveexec_b64 s[6:7], s[0:1]
	s_cbranch_execnz .LBB156_82
.LBB156_59:
	s_or_b64 exec, exec, s[6:7]
	s_and_saveexec_b64 s[0:1], s[2:3]
	s_cbranch_execnz .LBB156_83
.LBB156_60:
	s_or_b64 exec, exec, s[0:1]
	s_and_b64 exec, exec, s[4:5]
	s_cbranch_execz .LBB156_62
.LBB156_61:
	v_add_u32_e32 v0, v1, v8
	v_mov_b32_e32 v1, 0
	v_lshlrev_b64 v[0:1], 1, v[0:1]
	s_waitcnt lgkmcnt(0)
	v_mov_b32_e32 v3, s13
	v_add_co_u32_e32 v0, vcc, s12, v0
	v_addc_co_u32_e32 v1, vcc, v3, v1, vcc
	global_store_short v[0:1], v2, off
.LBB156_62:
	s_endpgm
.LBB156_63:
	v_add_u32_e32 v22, v21, v0
	v_mov_b32_e32 v23, 0
	v_lshlrev_b64 v[22:23], 1, v[22:23]
	s_waitcnt lgkmcnt(0)
	v_mov_b32_e32 v24, s13
	v_add_co_u32_e64 v22, s[6:7], s12, v22
	v_addc_co_u32_e64 v23, s[6:7], v24, v23, s[6:7]
	global_store_short v[22:23], v20, off
	s_or_b64 exec, exec, s[8:9]
	s_and_saveexec_b64 s[8:9], s[0:1]
	s_cbranch_execz .LBB156_23
.LBB156_64:
	v_add_u32_e32 v22, v21, v6
	v_mov_b32_e32 v23, 0
	v_lshlrev_b64 v[22:23], 1, v[22:23]
	s_waitcnt lgkmcnt(0)
	v_mov_b32_e32 v20, s13
	v_add_co_u32_e64 v22, s[6:7], s12, v22
	v_addc_co_u32_e64 v23, s[6:7], v20, v23, s[6:7]
	global_store_short v[22:23], v19, off
	s_or_b64 exec, exec, s[8:9]
	s_and_saveexec_b64 s[8:9], s[2:3]
	s_cbranch_execz .LBB156_24
.LBB156_65:
	v_add_u32_e32 v19, v21, v7
	v_mov_b32_e32 v20, 0
	v_lshlrev_b64 v[19:20], 1, v[19:20]
	s_waitcnt lgkmcnt(0)
	v_mov_b32_e32 v22, s13
	v_add_co_u32_e64 v19, s[6:7], s12, v19
	v_addc_co_u32_e64 v20, s[6:7], v22, v20, s[6:7]
	global_store_short v[19:20], v18, off
	s_or_b64 exec, exec, s[8:9]
	s_and_saveexec_b64 s[8:9], s[4:5]
	s_cbranch_execnz .LBB156_25
	s_branch .LBB156_26
.LBB156_66:
	v_add_u32_e32 v18, v17, v0
	v_mov_b32_e32 v19, 0
	v_lshlrev_b64 v[18:19], 1, v[18:19]
	s_waitcnt lgkmcnt(0)
	v_mov_b32_e32 v20, s13
	v_add_co_u32_e64 v18, s[6:7], s12, v18
	v_addc_co_u32_e64 v19, s[6:7], v20, v19, s[6:7]
	global_store_short_d16_hi v[18:19], v16, off
	s_or_b64 exec, exec, s[8:9]
	s_and_saveexec_b64 s[8:9], s[0:1]
	s_cbranch_execz .LBB156_29
.LBB156_67:
	v_add_u32_e32 v18, v17, v6
	v_mov_b32_e32 v19, 0
	v_lshlrev_b64 v[18:19], 1, v[18:19]
	s_waitcnt lgkmcnt(0)
	v_mov_b32_e32 v20, s13
	v_add_co_u32_e64 v18, s[6:7], s12, v18
	v_addc_co_u32_e64 v19, s[6:7], v20, v19, s[6:7]
	global_store_short_d16_hi v[18:19], v15, off
	s_or_b64 exec, exec, s[8:9]
	s_and_saveexec_b64 s[8:9], s[2:3]
	s_cbranch_execz .LBB156_30
.LBB156_68:
	v_add_u32_e32 v18, v17, v7
	v_mov_b32_e32 v19, 0
	v_lshlrev_b64 v[18:19], 1, v[18:19]
	s_waitcnt lgkmcnt(0)
	v_mov_b32_e32 v20, s13
	v_add_co_u32_e64 v18, s[6:7], s12, v18
	v_addc_co_u32_e64 v19, s[6:7], v20, v19, s[6:7]
	global_store_short_d16_hi v[18:19], v14, off
	s_or_b64 exec, exec, s[8:9]
	s_and_saveexec_b64 s[8:9], s[4:5]
	s_cbranch_execnz .LBB156_31
	s_branch .LBB156_32
.LBB156_69:
	v_add_u32_e32 v18, v17, v0
	v_mov_b32_e32 v19, 0
	v_lshlrev_b64 v[18:19], 1, v[18:19]
	s_waitcnt lgkmcnt(0)
	v_mov_b32_e32 v20, s13
	v_add_co_u32_e64 v18, s[6:7], s12, v18
	v_addc_co_u32_e64 v19, s[6:7], v20, v19, s[6:7]
	global_store_short v[18:19], v16, off
	s_or_b64 exec, exec, s[8:9]
	s_and_saveexec_b64 s[8:9], s[0:1]
	s_cbranch_execz .LBB156_35
.LBB156_70:
	v_add_u32_e32 v18, v17, v6
	v_mov_b32_e32 v19, 0
	v_lshlrev_b64 v[18:19], 1, v[18:19]
	s_waitcnt lgkmcnt(0)
	v_mov_b32_e32 v16, s13
	v_add_co_u32_e64 v18, s[6:7], s12, v18
	v_addc_co_u32_e64 v19, s[6:7], v16, v19, s[6:7]
	global_store_short v[18:19], v15, off
	s_or_b64 exec, exec, s[8:9]
	s_and_saveexec_b64 s[8:9], s[2:3]
	s_cbranch_execz .LBB156_36
.LBB156_71:
	v_add_u32_e32 v15, v17, v7
	v_mov_b32_e32 v16, 0
	v_lshlrev_b64 v[15:16], 1, v[15:16]
	s_waitcnt lgkmcnt(0)
	v_mov_b32_e32 v18, s13
	v_add_co_u32_e64 v15, s[6:7], s12, v15
	v_addc_co_u32_e64 v16, s[6:7], v18, v16, s[6:7]
	global_store_short v[15:16], v14, off
	s_or_b64 exec, exec, s[8:9]
	s_and_saveexec_b64 s[8:9], s[4:5]
	s_cbranch_execnz .LBB156_37
	s_branch .LBB156_38
.LBB156_72:
	v_add_u32_e32 v14, v13, v0
	v_mov_b32_e32 v15, 0
	v_lshlrev_b64 v[14:15], 1, v[14:15]
	s_waitcnt lgkmcnt(0)
	v_mov_b32_e32 v16, s13
	v_add_co_u32_e64 v14, s[6:7], s12, v14
	v_addc_co_u32_e64 v15, s[6:7], v16, v15, s[6:7]
	global_store_short_d16_hi v[14:15], v12, off
	s_or_b64 exec, exec, s[8:9]
	s_and_saveexec_b64 s[8:9], s[0:1]
	s_cbranch_execz .LBB156_41
.LBB156_73:
	v_add_u32_e32 v14, v13, v6
	v_mov_b32_e32 v15, 0
	v_lshlrev_b64 v[14:15], 1, v[14:15]
	s_waitcnt lgkmcnt(0)
	v_mov_b32_e32 v16, s13
	v_add_co_u32_e64 v14, s[6:7], s12, v14
	v_addc_co_u32_e64 v15, s[6:7], v16, v15, s[6:7]
	global_store_short_d16_hi v[14:15], v11, off
	s_or_b64 exec, exec, s[8:9]
	s_and_saveexec_b64 s[8:9], s[2:3]
	s_cbranch_execz .LBB156_42
.LBB156_74:
	v_add_u32_e32 v14, v13, v7
	v_mov_b32_e32 v15, 0
	v_lshlrev_b64 v[14:15], 1, v[14:15]
	s_waitcnt lgkmcnt(0)
	v_mov_b32_e32 v16, s13
	v_add_co_u32_e64 v14, s[6:7], s12, v14
	v_addc_co_u32_e64 v15, s[6:7], v16, v15, s[6:7]
	global_store_short_d16_hi v[14:15], v10, off
	s_or_b64 exec, exec, s[8:9]
	s_and_saveexec_b64 s[8:9], s[4:5]
	s_cbranch_execnz .LBB156_43
	s_branch .LBB156_44
.LBB156_75:
	v_add_u32_e32 v14, v13, v0
	v_mov_b32_e32 v15, 0
	v_lshlrev_b64 v[14:15], 1, v[14:15]
	s_waitcnt lgkmcnt(0)
	v_mov_b32_e32 v16, s13
	v_add_co_u32_e64 v14, s[6:7], s12, v14
	v_addc_co_u32_e64 v15, s[6:7], v16, v15, s[6:7]
	global_store_short v[14:15], v12, off
	s_or_b64 exec, exec, s[8:9]
	s_and_saveexec_b64 s[8:9], s[0:1]
	s_cbranch_execz .LBB156_47
.LBB156_76:
	v_add_u32_e32 v14, v13, v6
	v_mov_b32_e32 v15, 0
	v_lshlrev_b64 v[14:15], 1, v[14:15]
	s_waitcnt lgkmcnt(0)
	v_mov_b32_e32 v12, s13
	v_add_co_u32_e64 v14, s[6:7], s12, v14
	v_addc_co_u32_e64 v15, s[6:7], v12, v15, s[6:7]
	global_store_short v[14:15], v11, off
	s_or_b64 exec, exec, s[8:9]
	s_and_saveexec_b64 s[8:9], s[2:3]
	s_cbranch_execz .LBB156_48
.LBB156_77:
	v_add_u32_e32 v11, v13, v7
	v_mov_b32_e32 v12, 0
	v_lshlrev_b64 v[11:12], 1, v[11:12]
	s_waitcnt lgkmcnt(0)
	v_mov_b32_e32 v14, s13
	v_add_co_u32_e64 v11, s[6:7], s12, v11
	v_addc_co_u32_e64 v12, s[6:7], v14, v12, s[6:7]
	global_store_short v[11:12], v10, off
	s_or_b64 exec, exec, s[8:9]
	s_and_saveexec_b64 s[8:9], s[4:5]
	s_cbranch_execnz .LBB156_49
	s_branch .LBB156_50
.LBB156_78:
	v_add_u32_e32 v10, v9, v0
	v_mov_b32_e32 v11, 0
	v_lshlrev_b64 v[10:11], 1, v[10:11]
	s_waitcnt lgkmcnt(0)
	v_mov_b32_e32 v12, s13
	v_add_co_u32_e64 v10, s[6:7], s12, v10
	v_addc_co_u32_e64 v11, s[6:7], v12, v11, s[6:7]
	global_store_short_d16_hi v[10:11], v5, off
	s_or_b64 exec, exec, s[8:9]
	s_and_saveexec_b64 s[8:9], s[0:1]
	s_cbranch_execz .LBB156_53
.LBB156_79:
	v_add_u32_e32 v10, v9, v6
	v_mov_b32_e32 v11, 0
	v_lshlrev_b64 v[10:11], 1, v[10:11]
	s_waitcnt lgkmcnt(0)
	v_mov_b32_e32 v12, s13
	v_add_co_u32_e64 v10, s[6:7], s12, v10
	v_addc_co_u32_e64 v11, s[6:7], v12, v11, s[6:7]
	global_store_short_d16_hi v[10:11], v4, off
	s_or_b64 exec, exec, s[8:9]
	s_and_saveexec_b64 s[8:9], s[2:3]
	s_cbranch_execz .LBB156_54
.LBB156_80:
	v_add_u32_e32 v10, v9, v7
	v_mov_b32_e32 v11, 0
	v_lshlrev_b64 v[10:11], 1, v[10:11]
	s_waitcnt lgkmcnt(0)
	v_mov_b32_e32 v12, s13
	v_add_co_u32_e64 v10, s[6:7], s12, v10
	v_addc_co_u32_e64 v11, s[6:7], v12, v11, s[6:7]
	global_store_short_d16_hi v[10:11], v3, off
	s_or_b64 exec, exec, s[8:9]
	s_and_saveexec_b64 s[8:9], s[4:5]
	s_cbranch_execnz .LBB156_55
	s_branch .LBB156_56
.LBB156_81:
	v_add_u32_e32 v9, v1, v0
	v_mov_b32_e32 v10, 0
	v_lshlrev_b64 v[9:10], 1, v[9:10]
	s_waitcnt lgkmcnt(0)
	v_mov_b32_e32 v0, s13
	v_add_co_u32_e32 v9, vcc, s12, v9
	v_addc_co_u32_e32 v10, vcc, v0, v10, vcc
	global_store_short v[9:10], v5, off
	s_or_b64 exec, exec, s[6:7]
	s_and_saveexec_b64 s[6:7], s[0:1]
	s_cbranch_execz .LBB156_59
.LBB156_82:
	v_add_u32_e32 v5, v1, v6
	v_mov_b32_e32 v6, 0
	v_lshlrev_b64 v[5:6], 1, v[5:6]
	s_waitcnt lgkmcnt(0)
	v_mov_b32_e32 v0, s13
	v_add_co_u32_e32 v5, vcc, s12, v5
	v_addc_co_u32_e32 v6, vcc, v0, v6, vcc
	global_store_short v[5:6], v4, off
	s_or_b64 exec, exec, s[6:7]
	s_and_saveexec_b64 s[0:1], s[2:3]
	s_cbranch_execz .LBB156_60
.LBB156_83:
	v_add_u32_e32 v4, v1, v7
	v_mov_b32_e32 v5, 0
	v_lshlrev_b64 v[4:5], 1, v[4:5]
	s_waitcnt lgkmcnt(0)
	v_mov_b32_e32 v0, s13
	v_add_co_u32_e32 v4, vcc, s12, v4
	v_addc_co_u32_e32 v5, vcc, v0, v5, vcc
	global_store_short v[4:5], v3, off
	s_or_b64 exec, exec, s[0:1]
	s_and_b64 exec, exec, s[4:5]
	s_cbranch_execnz .LBB156_61
	s_branch .LBB156_62
	.section	.rodata,"a",@progbits
	.p2align	6, 0x0
	.amdhsa_kernel _ZL12mul_mat_q6_KIN3c104HalfELb1EEvPKvS3_PT_iiiii
		.amdhsa_group_segment_fixed_size 45136
		.amdhsa_private_segment_fixed_size 16
		.amdhsa_kernarg_size 44
		.amdhsa_user_sgpr_count 6
		.amdhsa_user_sgpr_private_segment_buffer 1
		.amdhsa_user_sgpr_dispatch_ptr 0
		.amdhsa_user_sgpr_queue_ptr 0
		.amdhsa_user_sgpr_kernarg_segment_ptr 1
		.amdhsa_user_sgpr_dispatch_id 0
		.amdhsa_user_sgpr_flat_scratch_init 0
		.amdhsa_user_sgpr_private_segment_size 0
		.amdhsa_uses_dynamic_stack 0
		.amdhsa_system_sgpr_private_segment_wavefront_offset 1
		.amdhsa_system_sgpr_workgroup_id_x 1
		.amdhsa_system_sgpr_workgroup_id_y 1
		.amdhsa_system_sgpr_workgroup_id_z 0
		.amdhsa_system_sgpr_workgroup_info 0
		.amdhsa_system_vgpr_workitem_id 1
		.amdhsa_next_free_vgpr 256
		.amdhsa_next_free_sgpr 98
		.amdhsa_reserve_vcc 1
		.amdhsa_reserve_flat_scratch 0
		.amdhsa_float_round_mode_32 0
		.amdhsa_float_round_mode_16_64 0
		.amdhsa_float_denorm_mode_32 3
		.amdhsa_float_denorm_mode_16_64 3
		.amdhsa_dx10_clamp 1
		.amdhsa_ieee_mode 1
		.amdhsa_fp16_overflow 0
		.amdhsa_exception_fp_ieee_invalid_op 0
		.amdhsa_exception_fp_denorm_src 0
		.amdhsa_exception_fp_ieee_div_zero 0
		.amdhsa_exception_fp_ieee_overflow 0
		.amdhsa_exception_fp_ieee_underflow 0
		.amdhsa_exception_fp_ieee_inexact 0
		.amdhsa_exception_int_div_zero 0
	.end_amdhsa_kernel
	.section	.text._ZL12mul_mat_q6_KIN3c104HalfELb1EEvPKvS3_PT_iiiii,"axG",@progbits,_ZL12mul_mat_q6_KIN3c104HalfELb1EEvPKvS3_PT_iiiii,comdat
.Lfunc_end156:
	.size	_ZL12mul_mat_q6_KIN3c104HalfELb1EEvPKvS3_PT_iiiii, .Lfunc_end156-_ZL12mul_mat_q6_KIN3c104HalfELb1EEvPKvS3_PT_iiiii
                                        ; -- End function
	.set _ZL12mul_mat_q6_KIN3c104HalfELb1EEvPKvS3_PT_iiiii.num_vgpr, 256
	.set _ZL12mul_mat_q6_KIN3c104HalfELb1EEvPKvS3_PT_iiiii.num_agpr, 0
	.set _ZL12mul_mat_q6_KIN3c104HalfELb1EEvPKvS3_PT_iiiii.numbered_sgpr, 28
	.set _ZL12mul_mat_q6_KIN3c104HalfELb1EEvPKvS3_PT_iiiii.num_named_barrier, 0
	.set _ZL12mul_mat_q6_KIN3c104HalfELb1EEvPKvS3_PT_iiiii.private_seg_size, 16
	.set _ZL12mul_mat_q6_KIN3c104HalfELb1EEvPKvS3_PT_iiiii.uses_vcc, 1
	.set _ZL12mul_mat_q6_KIN3c104HalfELb1EEvPKvS3_PT_iiiii.uses_flat_scratch, 0
	.set _ZL12mul_mat_q6_KIN3c104HalfELb1EEvPKvS3_PT_iiiii.has_dyn_sized_stack, 0
	.set _ZL12mul_mat_q6_KIN3c104HalfELb1EEvPKvS3_PT_iiiii.has_recursion, 0
	.set _ZL12mul_mat_q6_KIN3c104HalfELb1EEvPKvS3_PT_iiiii.has_indirect_call, 0
	.section	.AMDGPU.csdata,"",@progbits
; Kernel info:
; codeLenInByte = 23500
; TotalNumSgprs: 32
; NumVgprs: 256
; ScratchSize: 16
; MemoryBound: 0
; FloatMode: 240
; IeeeMode: 1
; LDSByteSize: 45136 bytes/workgroup (compile time only)
; SGPRBlocks: 12
; VGPRBlocks: 63
; NumSGPRsForWavesPerEU: 102
; NumVGPRsForWavesPerEU: 256
; Occupancy: 1
; WaveLimiterHint : 0
; COMPUTE_PGM_RSRC2:SCRATCH_EN: 1
; COMPUTE_PGM_RSRC2:USER_SGPR: 6
; COMPUTE_PGM_RSRC2:TRAP_HANDLER: 0
; COMPUTE_PGM_RSRC2:TGID_X_EN: 1
; COMPUTE_PGM_RSRC2:TGID_Y_EN: 1
; COMPUTE_PGM_RSRC2:TGID_Z_EN: 0
; COMPUTE_PGM_RSRC2:TIDIG_COMP_CNT: 1
	.section	.text._ZL12mul_mat_q4_0IN3c108BFloat16ELb0EEvPKvS3_PT_iiiii,"axG",@progbits,_ZL12mul_mat_q4_0IN3c108BFloat16ELb0EEvPKvS3_PT_iiiii,comdat
	.globl	_ZL12mul_mat_q4_0IN3c108BFloat16ELb0EEvPKvS3_PT_iiiii ; -- Begin function _ZL12mul_mat_q4_0IN3c108BFloat16ELb0EEvPKvS3_PT_iiiii
	.p2align	8
	.type	_ZL12mul_mat_q4_0IN3c108BFloat16ELb0EEvPKvS3_PT_iiiii,@function
_ZL12mul_mat_q4_0IN3c108BFloat16ELb0EEvPKvS3_PT_iiiii: ; @_ZL12mul_mat_q4_0IN3c108BFloat16ELb0EEvPKvS3_PT_iiiii
; %bb.0:
	s_mov_b64 s[22:23], s[2:3]
	s_mov_b64 s[20:21], s[0:1]
	s_add_u32 s20, s20, s8
	s_load_dword s14, s[4:5], 0x18
	s_load_dwordx4 s[8:11], s[4:5], 0x20
	s_addc_u32 s21, s21, 0
	v_mov_b32_e32 v38, v1
	s_waitcnt lgkmcnt(0)
	s_lshl_b32 s11, s7, 6
	s_cmp_gt_i32 s14, 31
	v_add_u32_e32 v12, s11, v38
	s_cbranch_scc1 .LBB157_2
; %bb.1:
	v_add_u32_e32 v1, s11, v38
	s_mov_b64 s[0:1], 0
	s_branch .LBB157_3
.LBB157_2:
	s_mov_b64 s[0:1], -1
                                        ; implicit-def: $vgpr1
.LBB157_3:
	s_load_dwordx2 s[12:13], s[4:5], 0x10
	s_lshl_b32 s6, s6, 7
	v_mov_b32_e32 v15, 0
	s_andn2_b64 vcc, exec, s[0:1]
	v_mov_b32_e32 v19, 0
	v_mov_b32_e32 v23, 0
	;; [unrolled: 1-line block ×31, first 2 shown]
	s_cbranch_vccnz .LBB157_14
; %bb.4:
	s_load_dwordx4 s[0:3], s[4:5], 0x0
	s_ashr_i32 s4, s14, 31
	s_lshr_b32 s4, s4, 27
	s_ashr_i32 s5, s9, 31
	s_add_i32 s14, s14, s4
	s_lshr_b32 s5, s5, 27
	s_ashr_i32 s4, s14, 5
	s_add_i32 s5, s9, s5
	s_ashr_i32 s16, s5, 5
	s_mul_i32 s5, s4, s6
	v_mul_lo_u32 v47, s4, v38
	s_mul_hi_i32 s7, s5, 18
	s_mul_i32 s5, s5, 18
	s_waitcnt lgkmcnt(0)
	s_add_u32 s5, s0, s5
	s_addc_u32 s7, s1, s7
	s_lshl_b32 s1, s4, 3
	v_add_u32_e32 v49, s1, v47
	v_add_u32_e32 v50, s1, v49
	;; [unrolled: 1-line block ×13, first 2 shown]
	v_lshrrev_b32_e32 v1, 3, v0
	v_add_u32_e32 v63, s1, v62
	v_and_b32_e32 v101, 7, v0
	v_lshl_add_u32 v1, v38, 2, v1
	v_add_u32_e32 v64, s1, v63
	v_and_b32_e32 v2, 0x7fc, v1
	v_lshlrev_b32_e32 v4, 2, v101
	s_movk_i32 s1, 0x6200
	v_add3_u32 v13, v2, v4, s1
	v_add_u32_e32 v2, 32, v1
	v_mul_lo_u32 v67, s4, v1
	v_lshlrev_b32_e32 v14, 5, v1
	v_and_b32_e32 v5, 0xffc, v2
	v_lshlrev_b32_e32 v16, 5, v2
	v_add_u32_e32 v2, 64, v1
	v_add_u32_e32 v1, 0x60, v1
	v_lshlrev_b32_e32 v3, 2, v0
	s_movk_i32 s0, 0x84
	v_add3_u32 v15, v5, v4, s1
	v_and_b32_e32 v5, 0xffc, v2
	v_lshlrev_b32_e32 v18, 5, v2
	v_and_b32_e32 v2, 0xffc, v1
	v_lshrrev_b32_e32 v100, 2, v0
	v_and_b32_e32 v46, 12, v3
	v_mad_u32_u24 v48, v38, s0, v3
	v_add3_u32 v17, v5, v4, s1
	v_add3_u32 v19, v2, v4, s1
	s_add_i32 s1, s8, -1
	v_and_b32_e32 v4, 31, v0
	v_and_b32_e32 v21, 28, v3
	v_mov_b32_e32 v3, 0x4200
	v_lshlrev_b32_e32 v20, 5, v1
	v_cvt_f64_i32_e32 v[1:2], s1
	v_lshl_or_b32 v25, v4, 2, v3
	v_lshl_add_u32 v3, v38, 3, v100
	v_cvt_f64_u32_e32 v[4:5], v12
	v_and_b32_e32 v10, 63, v3
	v_or_b32_e32 v6, s11, v10
	v_min_i32_e32 v11, s1, v6
	v_add_u32_e32 v6, 8, v12
	v_cvt_f64_u32_e32 v[6:7], v6
	v_min_f64 v[4:5], v[4:5], v[1:2]
	v_add_u32_e32 v8, 16, v12
	v_cvt_f64_u32_e32 v[8:9], v8
	v_min_f64 v[6:7], v[6:7], v[1:2]
	s_andn2_b32 s14, s14, 31
	v_add_u32_e32 v69, s14, v67
	v_add_u32_e32 v70, s14, v69
	v_and_b32_e32 v3, 3, v0
	v_add_u32_e32 v71, s14, v70
	v_mad_u64_u32 v[22:23], s[14:15], v11, s16, v[3:4]
	v_min_f64 v[8:9], v[8:9], v[1:2]
	v_cvt_i32_f64_e32 v4, v[4:5]
	v_lshlrev_b32_e32 v3, 2, v3
	v_lshl_or_b32 v3, v10, 4, v3
	v_add_u32_e32 v3, 0x7280, v3
	buffer_store_dword v22, off, s[20:23], 0 offset:52 ; 4-byte Folded Spill
	s_nop 0
	buffer_store_dword v23, off, s[20:23], 0 offset:56 ; 4-byte Folded Spill
	buffer_store_dword v3, off, s[20:23], 0 ; 4-byte Folded Spill
	v_cvt_i32_f64_e32 v3, v[6:7]
	v_mul_lo_u32 v4, s16, v4
	v_add_u32_e32 v7, 40, v12
	v_add_u32_e32 v5, 32, v12
	v_mul_lo_u32 v3, s16, v3
	buffer_store_dword v4, off, s[20:23], 0 offset:4 ; 4-byte Folded Spill
	v_cvt_i32_f64_e32 v4, v[8:9]
	v_cvt_f64_u32_e32 v[7:8], v7
	buffer_store_dword v3, off, s[20:23], 0 offset:8 ; 4-byte Folded Spill
	v_add_u32_e32 v9, 48, v12
	v_mul_lo_u32 v3, s16, v4
	v_min_f64 v[7:8], v[7:8], v[1:2]
	v_cvt_f64_u32_e32 v[9:10], v9
	v_add_u32_e32 v11, 56, v12
	buffer_store_dword v3, off, s[20:23], 0 offset:12 ; 4-byte Folded Spill
	v_add_u32_e32 v3, 24, v12
	v_cvt_f64_u32_e32 v[3:4], v3
	v_cvt_f64_u32_e32 v[5:6], v5
	buffer_store_dword v12, off, s[20:23], 0 offset:108 ; 4-byte Folded Spill
	v_cvt_f64_u32_e32 v[11:12], v11
	v_min_f64 v[3:4], v[3:4], v[1:2]
	v_cvt_i32_f64_e32 v7, v[7:8]
	v_min_f64 v[5:6], v[5:6], v[1:2]
	v_add_u32_e32 v8, 0x60, v0
	v_and_b32_e32 v8, 0x1fc, v8
	v_lshlrev_b32_e32 v26, 7, v38
	v_add_u32_e32 v22, 0x400, v26
	v_add_u32_e32 v23, 0x800, v26
	v_cvt_i32_f64_e32 v24, v[3:4]
	v_min_f64 v[3:4], v[9:10], v[1:2]
	v_min_f64 v[1:2], v[11:12], v[1:2]
	v_add_co_u32_e32 v11, vcc, s2, v21
	v_cvt_i32_f64_e32 v5, v[5:6]
	v_mul_lo_u32 v6, s16, v24
	v_mov_b32_e32 v40, 0
	s_add_i32 s9, s4, 3
	v_cvt_i32_f64_e32 v3, v[3:4]
	v_mul_lo_u32 v4, s16, v7
	v_add_u32_e32 v7, 64, v0
	v_cvt_i32_f64_e32 v1, v[1:2]
	v_and_b32_e32 v7, 0x1fc, v7
	buffer_store_dword v4, off, s[20:23], 0 offset:24 ; 4-byte Folded Spill
	v_add_u32_e32 v4, 32, v0
	v_lshrrev_b32_e32 v9, 3, v4
	buffer_store_dword v9, off, s[20:23], 0 offset:80 ; 4-byte Folded Spill
	v_mov_b32_e32 v9, s3
	v_addc_co_u32_e32 v12, vcc, 0, v9, vcc
	v_lshlrev_b32_e32 v9, 5, v0
	v_add_u32_e32 v8, v9, v8
	v_add_u32_e32 v10, 0x6e00, v8
	;; [unrolled: 1-line block ×3, first 2 shown]
	v_and_b32_e32 v4, 0x1fc, v4
	buffer_store_dword v10, off, s[20:23], 0 offset:64 ; 4-byte Folded Spill
	v_add_u32_e32 v10, 0x6a00, v7
	v_add_u32_e32 v4, v9, v4
	buffer_store_dword v10, off, s[20:23], 0 offset:68 ; 4-byte Folded Spill
	v_add_u32_e32 v10, 0x6600, v4
	v_mul_lo_u32 v5, s16, v5
	v_mul_lo_u32 v3, s16, v3
	;; [unrolled: 1-line block ×3, first 2 shown]
	buffer_store_dword v10, off, s[20:23], 0 offset:72 ; 4-byte Folded Spill
	v_and_b32_e32 v10, 0xfc, v0
	v_add_u32_e32 v9, v9, v10
	v_add_u32_e32 v10, 0x6200, v9
	;; [unrolled: 1-line block ×3, first 2 shown]
	buffer_store_dword v10, off, s[20:23], 0 offset:76 ; 4-byte Folded Spill
	v_mov_b32_e32 v10, 0x7280
	buffer_store_dword v4, off, s[20:23], 0 offset:96 ; 4-byte Folded Spill
	v_add_u32_e32 v4, 0x6210, v9
	buffer_store_dword v6, off, s[20:23], 0 offset:16 ; 4-byte Folded Spill
	v_add_u32_e32 v6, 0xc00, v26
	;; [unrolled: 2-line block ×3, first 2 shown]
	v_add_u32_e32 v2, 0x1400, v26
	buffer_store_dword v3, off, s[20:23], 0 offset:28 ; 4-byte Folded Spill
	v_add_u32_e32 v3, 0x1800, v26
	buffer_store_dword v1, off, s[20:23], 0 offset:32 ; 4-byte Folded Spill
	v_add_u32_e32 v1, 0x1c00, v26
	v_lshl_add_u32 v89, v38, 4, v10
	v_add_u32_e32 v10, 0x4200, v26
	buffer_store_dword v4, off, s[20:23], 0 offset:100 ; 4-byte Folded Spill
	v_add_u32_e32 v4, v25, v22
	buffer_store_dword v26, off, s[20:23], 0 offset:60 ; 4-byte Folded Spill
	buffer_store_dword v10, off, s[20:23], 0 offset:36 ; 4-byte Folded Spill
	v_mad_u32_u24 v10, v0, s0, 64
	v_add_u32_e32 v8, 0x6e10, v8
	v_add_u32_e32 v7, 0x6a10, v7
	s_mov_b32 s14, 0
	v_add_u32_e32 v96, v13, v14
	v_add_u32_e32 v97, v15, v16
	;; [unrolled: 1-line block ×4, first 2 shown]
	buffer_store_dword v4, off, s[20:23], 0 offset:40 ; 4-byte Folded Spill
	v_add_u32_e32 v4, v25, v23
	v_add_u32_e32 v102, v25, v6
	;; [unrolled: 1-line block ×5, first 2 shown]
	buffer_store_dword v25, off, s[20:23], 0 offset:48 ; 4-byte Folded Spill
	v_add_u32_e32 v106, v25, v1
	v_mov_b32_e32 v44, 0
	v_mov_b32_e32 v39, 0
	;; [unrolled: 1-line block ×31, first 2 shown]
	buffer_store_dword v38, off, s[20:23], 0 offset:104 ; 4-byte Folded Spill
	buffer_store_dword v10, off, s[20:23], 0 offset:84 ; 4-byte Folded Spill
	;; [unrolled: 1-line block ×5, first 2 shown]
	s_branch .LBB157_6
.LBB157_5:                              ;   in Loop: Header=BB157_6 Depth=1
	s_add_i32 s14, s14, 8
	s_add_i32 s9, s9, -8
	s_cmp_ge_i32 s14, s4
	s_cbranch_scc1 .LBB157_13
.LBB157_6:                              ; =>This Loop Header: Depth=1
                                        ;     Child Loop BB157_8 Depth 2
                                        ;     Child Loop BB157_11 Depth 2
	s_mul_i32 s0, s14, 18
	s_mul_hi_u32 s1, s14, 18
	s_add_u32 s0, s5, s0
	s_addc_u32 s1, s7, s1
	v_mad_u64_u32 v[2:3], s[16:17], v100, 18, s[0:1]
	v_mad_u64_u32 v[84:85], s[0:1], v101, 18, s[0:1]
	;; [unrolled: 1-line block ×4, first 2 shown]
	v_add_co_u32_e32 v4, vcc, v4, v46
	v_mad_u64_u32 v[8:9], s[16:17], v50, 18, v[2:3]
	v_addc_co_u32_e32 v5, vcc, 0, v5, vcc
	v_add_co_u32_e32 v6, vcc, v6, v46
	v_addc_co_u32_e32 v7, vcc, 0, v7, vcc
	v_mad_u64_u32 v[13:14], s[16:17], v51, 18, v[2:3]
	v_add_co_u32_e32 v65, vcc, v8, v46
	v_addc_co_u32_e32 v66, vcc, 0, v9, vcc
	v_mad_u64_u32 v[8:9], s[16:17], v52, 18, v[2:3]
	;; [unrolled: 3-line block ×4, first 2 shown]
	v_add_co_u32_e32 v74, vcc, v74, v46
	v_mad_u64_u32 v[78:79], s[16:17], v55, 18, v[2:3]
	v_addc_co_u32_e32 v75, vcc, 0, v75, vcc
	v_add_co_u32_e32 v80, vcc, v8, v46
	v_addc_co_u32_e32 v81, vcc, 0, v9, vcc
	v_mad_u64_u32 v[82:83], s[16:17], v56, 18, v[2:3]
	v_add_co_u32_e32 v78, vcc, v78, v46
	v_addc_co_u32_e32 v79, vcc, 0, v79, vcc
	global_load_dword v10, v[4:5], off offset:2
	global_load_dword v9, v[6:7], off offset:2
	;; [unrolled: 1-line block ×3, first 2 shown]
	s_nop 0
	global_load_dword v7, v[13:14], off offset:2
	global_load_dword v6, v[76:77], off offset:2
	;; [unrolled: 1-line block ×5, first 2 shown]
	v_mad_u64_u32 v[65:66], s[16:17], v58, 18, v[2:3]
	v_add_co_u32_e32 v13, vcc, v82, v46
	v_mad_u64_u32 v[74:75], s[16:17], v59, 18, v[2:3]
	v_addc_co_u32_e32 v14, vcc, 0, v83, vcc
	v_add_co_u32_e32 v65, vcc, v65, v46
	v_mad_u64_u32 v[76:77], s[16:17], v60, 18, v[2:3]
	v_addc_co_u32_e32 v66, vcc, 0, v66, vcc
	;; [unrolled: 3-line block ×6, first 2 shown]
	v_add_co_u32_e32 v82, vcc, v82, v46
	global_load_dword v13, v[13:14], off offset:2
	v_addc_co_u32_e32 v83, vcc, 0, v83, vcc
	v_add_co_u32_e32 v2, vcc, v2, v46
	v_addc_co_u32_e32 v3, vcc, 0, v3, vcc
	v_mad_u64_u32 v[86:87], s[0:1], v67, 18, v[84:85]
	global_load_dword v14, v[65:66], off offset:2
	global_load_dword v38, v[74:75], off offset:2
	;; [unrolled: 1-line block ×4, first 2 shown]
	s_nop 0
	global_load_dword v76, v[80:81], off offset:2
	global_load_dword v77, v[82:83], off offset:2
	;; [unrolled: 1-line block ×3, first 2 shown]
	global_load_ushort v79, v[86:87], off
	v_mad_u64_u32 v[2:3], s[0:1], v69, 18, v[84:85]
	v_mad_u64_u32 v[65:66], s[0:1], v70, 18, v[84:85]
	;; [unrolled: 1-line block ×3, first 2 shown]
	global_load_ushort v2, v[2:3], off
	s_nop 0
	global_load_ushort v3, v[65:66], off
	s_nop 0
	global_load_ushort v65, v[74:75], off
	s_cmp_gt_u32 s9, 3
	s_waitcnt vmcnt(19)
	ds_write_b32 v48, v10
	v_add_u32_e32 v10, 0x420, v48
	s_waitcnt vmcnt(18)
	ds_write_b32 v10, v9
	v_add_u32_e32 v9, 0x840, v48
	;; [unrolled: 3-line block ×15, first 2 shown]
	s_waitcnt vmcnt(3)
	v_cvt_f32_f16_e32 v4, v79
	ds_write_b32 v1, v78
	s_waitcnt vmcnt(2)
	v_cvt_f32_f16_e32 v1, v2
	s_waitcnt vmcnt(1)
	v_cvt_f32_f16_e32 v2, v3
	;; [unrolled: 2-line block ×3, first 2 shown]
	ds_write_b32 v96, v4
	ds_write_b32 v97, v1
	;; [unrolled: 1-line block ×4, first 2 shown]
	s_cbranch_scc0 .LBB157_5
; %bb.7:                                ;   in Loop: Header=BB157_6 Depth=1
	buffer_load_dword v1, off, s[20:23], 0 offset:52 ; 4-byte Folded Reload
	buffer_load_dword v2, off, s[20:23], 0 offset:56 ; 4-byte Folded Reload
	v_mov_b32_e32 v110, v89
	v_mul_u32_u24_e32 v115, 0x84, v0
	buffer_load_dword v3, off, s[20:23], 0 offset:8 ; 4-byte Folded Reload
	buffer_load_dword v5, off, s[20:23], 0 offset:12 ; 4-byte Folded Reload
	buffer_load_dword v7, off, s[20:23], 0 offset:16 ; 4-byte Folded Reload
	buffer_load_dword v9, off, s[20:23], 0 offset:20 ; 4-byte Folded Reload
	buffer_load_dword v13, off, s[20:23], 0 offset:24 ; 4-byte Folded Reload
	buffer_load_dword v45, off, s[20:23], 0 offset:28 ; 4-byte Folded Reload
	s_waitcnt vmcnt(7)
	v_add_u32_e32 v107, s14, v1
	v_lshrrev_b32_e32 v1, 3, v0
	v_add_u32_e32 v38, s14, v1
	buffer_load_dword v1, off, s[20:23], 0 offset:4 ; 4-byte Folded Reload
	v_mad_u64_u32 v[74:75], s[0:1], v107, 36, s[2:3]
	s_waitcnt vmcnt(6)
	v_add_u32_e32 v3, v38, v3
	s_waitcnt vmcnt(5)
	v_add_u32_e32 v5, v38, v5
	;; [unrolled: 2-line block ×4, first 2 shown]
	v_add_u32_e32 v9, v38, v9
	v_add_u32_e32 v13, v38, v13
	v_mad_i64_i32 v[65:66], s[0:1], v45, 36, v[11:12]
	buffer_load_dword v45, off, s[20:23], 0 offset:32 ; 4-byte Folded Reload
	v_mad_i64_i32 v[3:4], s[0:1], v3, 36, v[11:12]
	v_mad_i64_i32 v[5:6], s[0:1], v5, 36, v[11:12]
	;; [unrolled: 1-line block ×5, first 2 shown]
	s_waitcnt vmcnt(1)
	v_add_u32_e32 v1, v38, v1
	v_mad_i64_i32 v[1:2], s[0:1], v1, 36, v[11:12]
	s_waitcnt vmcnt(0)
	v_add_u32_e32 v38, v38, v45
	v_mad_i64_i32 v[76:77], s[0:1], v38, 36, v[11:12]
	global_load_dword v38, v[74:75], off
	s_nop 0
	global_load_dword v1, v[1:2], off offset:4
	s_nop 0
	global_load_dword v2, v[3:4], off offset:4
	;; [unrolled: 2-line block ×3, first 2 shown]
	global_load_dword v4, v[7:8], off offset:4
	s_nop 0
	global_load_dword v5, v[9:10], off offset:4
	global_load_dword v6, v[13:14], off offset:4
	;; [unrolled: 1-line block ×4, first 2 shown]
	s_nop 0
	buffer_load_dword v9, off, s[20:23], 0 offset:48 ; 4-byte Folded Reload
	buffer_load_dword v10, off, s[20:23], 0 offset:60 ; 4-byte Folded Reload
	;; [unrolled: 1-line block ×7, first 2 shown]
	s_mov_b32 s0, -4
	s_waitcnt vmcnt(5)
	v_add_u32_e32 v108, v9, v10
	buffer_load_dword v9, off, s[20:23], 0  ; 4-byte Folded Reload
	s_waitcnt vmcnt(0)
	ds_write_b32 v9, v38
	ds_write_b32 v108, v1
	buffer_load_dword v1, off, s[20:23], 0 offset:40 ; 4-byte Folded Reload
	s_waitcnt vmcnt(0)
	ds_write_b32 v1, v2
	buffer_load_dword v1, off, s[20:23], 0 offset:44 ; 4-byte Folded Reload
	s_waitcnt vmcnt(0)
	ds_write_b32 v1, v3
	ds_write_b32 v102, v4
	ds_write_b32 v103, v5
	ds_write_b32 v104, v6
	ds_write_b32 v105, v7
	ds_write_b32 v106, v8
	s_waitcnt lgkmcnt(0)
	s_barrier
.LBB157_8:                              ;   Parent Loop BB157_6 Depth=1
                                        ; =>  This Inner Loop Header: Depth=2
	ds_read_b128 v[2:5], v109
	ds_read_b128 v[6:9], v109 offset:16
	ds_read2_b32 v[13:14], v110 offset1:32
	ds_read_b32 v116, v111
	ds_read2_b32 v[65:66], v115 offset1:1
	s_add_i32 s0, s0, 4
	v_add_u32_e32 v111, 4, v111
	s_cmp_lt_u32 s0, 12
	s_waitcnt lgkmcnt(2)
	v_cvt_f32_f16_sdwa v1, v13 dst_sel:DWORD dst_unused:UNUSED_PAD src0_sel:WORD_1
	s_waitcnt lgkmcnt(0)
	v_and_b32_e32 v117, 0xf0f0f0f, v65
	v_and_b32_e32 v119, 0xf0f0f0f, v66
	v_lshrrev_b32_e32 v10, 4, v66
	v_mul_f32_e32 v80, 0x41000000, v1
	v_lshrrev_b32_e32 v1, 4, v65
	ds_read2_b32 v[65:66], v115 offset0:2 offset1:3
	v_and_b32_e32 v118, 0xf0f0f0f, v1
	v_dot4_i32_i8 v1, v117, v2, 0
	v_dot4_i32_i8 v1, v118, v6, v1
	v_and_b32_e32 v120, 0xf0f0f0f, v10
	v_dot4_i32_i8 v1, v119, v3, v1
	v_dot4_i32_i8 v1, v120, v7, v1
	s_waitcnt lgkmcnt(0)
	v_and_b32_e32 v121, 0xf0f0f0f, v65
	v_lshrrev_b32_e32 v10, 4, v65
	v_and_b32_e32 v122, 0xf0f0f0f, v10
	v_dot4_i32_i8 v1, v121, v4, v1
	v_dot4_i32_i8 v1, v122, v8, v1
	v_and_b32_e32 v123, 0xf0f0f0f, v66
	v_lshrrev_b32_e32 v10, 4, v66
	v_and_b32_e32 v124, 0xf0f0f0f, v10
	v_dot4_i32_i8 v1, v123, v5, v1
	v_dot4_i32_i8 v1, v124, v9, v1
	v_cvt_f32_i32_e32 v1, v1
	v_fma_mix_f32 v1, v13, v1, -v80 op_sel_hi:[1,0,0]
	v_fmac_f32_e32 v40, v116, v1
	v_add_u32_e32 v1, 0x1080, v115
	ds_read_b32 v125, v112
	ds_read2_b32 v[74:75], v1 offset1:1
	v_add_u32_e32 v112, 4, v112
	s_waitcnt lgkmcnt(0)
	v_lshrrev_b32_e32 v10, 4, v75
	v_and_b32_e32 v84, 0xf0f0f0f, v10
	v_add_u32_e32 v10, 0x1088, v115
	v_and_b32_e32 v126, 0xf0f0f0f, v74
	v_lshrrev_b32_e32 v1, 4, v74
	v_and_b32_e32 v66, 0xf0f0f0f, v75
	ds_read2_b32 v[74:75], v10 offset1:1
	v_and_b32_e32 v127, 0xf0f0f0f, v1
	v_dot4_i32_i8 v1, v126, v2, 0
	v_dot4_i32_i8 v1, v127, v6, v1
	;; [unrolled: 1-line block ×4, first 2 shown]
	s_waitcnt lgkmcnt(0)
	v_and_b32_e32 v91, 0xf0f0f0f, v74
	v_lshrrev_b32_e32 v10, 4, v74
	v_and_b32_e32 v92, 0xf0f0f0f, v10
	v_dot4_i32_i8 v1, v91, v4, v1
	v_dot4_i32_i8 v1, v92, v8, v1
	v_and_b32_e32 v93, 0xf0f0f0f, v75
	v_lshrrev_b32_e32 v10, 4, v75
	v_and_b32_e32 v94, 0xf0f0f0f, v10
	v_dot4_i32_i8 v1, v93, v5, v1
	v_dot4_i32_i8 v1, v94, v9, v1
	v_cvt_f32_i32_e32 v1, v1
	v_fma_mix_f32 v1, v13, v1, -v80 op_sel_hi:[1,0,0]
	v_fmac_f32_e32 v73, v125, v1
	v_add_u32_e32 v1, 0x2100, v115
	ds_read_b32 v95, v113
	ds_read2_b32 v[74:75], v1 offset1:1
	v_add_u32_e32 v113, 4, v113
	s_waitcnt lgkmcnt(0)
	v_and_b32_e32 v38, 0xf0f0f0f, v74
	v_lshrrev_b32_e32 v1, 4, v74
	v_and_b32_e32 v76, 0xf0f0f0f, v1
	v_dot4_i32_i8 v1, v38, v2, 0
	v_dot4_i32_i8 v10, v76, v6, v1
	v_and_b32_e32 v1, 0xf0f0f0f, v75
	v_lshrrev_b32_e32 v45, 4, v75
	v_and_b32_e32 v90, 0xf0f0f0f, v45
	v_dot4_i32_i8 v10, v1, v3, v10
	v_dot4_i32_i8 v45, v90, v7, v10
	v_add_u32_e32 v10, 0x2108, v115
	ds_read2_b32 v[74:75], v10 offset1:1
	s_waitcnt lgkmcnt(0)
	v_and_b32_e32 v65, 0xf0f0f0f, v74
	v_lshrrev_b32_e32 v10, 4, v74
	v_and_b32_e32 v10, 0xf0f0f0f, v10
	v_dot4_i32_i8 v45, v65, v4, v45
	v_dot4_i32_i8 v45, v10, v8, v45
	v_and_b32_e32 v85, 0xf0f0f0f, v75
	v_lshrrev_b32_e32 v72, 4, v75
	v_and_b32_e32 v86, 0xf0f0f0f, v72
	v_dot4_i32_i8 v45, v85, v5, v45
	v_dot4_i32_i8 v45, v86, v9, v45
	v_cvt_f32_i32_e32 v45, v45
	v_add_u32_e32 v72, 0x3180, v115
	v_fma_mix_f32 v45, v13, v45, -v80 op_sel_hi:[1,0,0]
	v_fmac_f32_e32 v68, v95, v45
	ds_read_b32 v45, v114
	ds_read2_b32 v[74:75], v72 offset1:1
	v_add_u32_e32 v114, 4, v114
	s_waitcnt lgkmcnt(0)
	v_and_b32_e32 v77, 0xf0f0f0f, v74
	v_lshrrev_b32_e32 v72, 4, v74
	v_and_b32_e32 v78, 0xf0f0f0f, v72
	v_dot4_i32_i8 v2, v77, v2, 0
	v_dot4_i32_i8 v2, v78, v6, v2
	v_and_b32_e32 v74, 0xf0f0f0f, v75
	v_lshrrev_b32_e32 v6, 4, v75
	v_and_b32_e32 v87, 0xf0f0f0f, v6
	v_dot4_i32_i8 v2, v74, v3, v2
	v_dot4_i32_i8 v6, v87, v7, v2
	v_add_u32_e32 v2, 0x3188, v115
	ds_read2_b32 v[2:3], v2 offset1:1
	v_add_u32_e32 v115, 16, v115
	s_waitcnt lgkmcnt(0)
	v_and_b32_e32 v79, 0xf0f0f0f, v2
	v_lshrrev_b32_e32 v2, 4, v2
	v_and_b32_e32 v75, 0xf0f0f0f, v2
	v_dot4_i32_i8 v2, v79, v4, v6
	v_dot4_i32_i8 v2, v75, v8, v2
	v_and_b32_e32 v88, 0xf0f0f0f, v3
	v_lshrrev_b32_e32 v3, 4, v3
	v_and_b32_e32 v72, 0xf0f0f0f, v3
	v_dot4_i32_i8 v2, v88, v5, v2
	v_dot4_i32_i8 v2, v72, v9, v2
	v_cvt_f32_i32_e32 v2, v2
	v_fma_mix_f32 v2, v13, v2, -v80 op_sel_hi:[1,0,0]
	v_fmac_f32_e32 v57, v45, v2
	ds_read_b128 v[2:5], v109 offset:1024
	ds_read_b128 v[6:9], v109 offset:1040
	v_cvt_f32_f16_sdwa v13, v14 dst_sel:DWORD dst_unused:UNUSED_PAD src0_sel:WORD_1
	s_waitcnt lgkmcnt(1)
	v_dot4_i32_i8 v80, v117, v2, 0
	s_waitcnt lgkmcnt(0)
	v_dot4_i32_i8 v80, v118, v6, v80
	v_dot4_i32_i8 v80, v119, v3, v80
	;; [unrolled: 1-line block ×7, first 2 shown]
	v_cvt_f32_i32_e32 v80, v80
	v_mul_f32_e32 v13, 0x41000000, v13
	v_fma_mix_f32 v80, v80, v14, -v13 op_sel_hi:[0,1,0]
	v_fmac_f32_e32 v44, v116, v80
	v_dot4_i32_i8 v80, v126, v2, 0
	v_dot4_i32_i8 v80, v127, v6, v80
	;; [unrolled: 1-line block ×8, first 2 shown]
	v_cvt_f32_i32_e32 v80, v80
	v_fma_mix_f32 v80, v80, v14, -v13 op_sel_hi:[0,1,0]
	v_fmac_f32_e32 v43, v125, v80
	v_dot4_i32_i8 v80, v38, v2, 0
	v_dot4_i32_i8 v2, v77, v2, 0
	;; [unrolled: 1-line block ×16, first 2 shown]
	v_cvt_f32_i32_e32 v80, v80
	v_cvt_f32_i32_e32 v2, v2
	v_fma_mix_f32 v80, v80, v14, -v13 op_sel_hi:[0,1,0]
	v_fma_mix_f32 v2, v2, v14, -v13 op_sel_hi:[0,1,0]
	v_fmac_f32_e32 v42, v95, v80
	v_fmac_f32_e32 v41, v45, v2
	ds_read_b128 v[4:7], v109 offset:2048
	ds_read_b128 v[80:83], v109 offset:2064
	ds_read2_b32 v[2:3], v110 offset0:64 offset1:96
	s_waitcnt lgkmcnt(2)
	v_dot4_i32_i8 v9, v117, v4, 0
	s_waitcnt lgkmcnt(1)
	v_dot4_i32_i8 v9, v118, v80, v9
	v_dot4_i32_i8 v9, v119, v5, v9
	;; [unrolled: 1-line block ×6, first 2 shown]
	s_waitcnt lgkmcnt(0)
	v_cvt_f32_f16_sdwa v8, v2 dst_sel:DWORD dst_unused:UNUSED_PAD src0_sel:WORD_1
	v_dot4_i32_i8 v9, v124, v83, v9
	v_cvt_f32_i32_e32 v9, v9
	v_mul_f32_e32 v8, 0x41000000, v8
	v_fma_mix_f32 v9, v9, v2, -v8 op_sel_hi:[0,1,0]
	v_fmac_f32_e32 v39, v116, v9
	v_dot4_i32_i8 v9, v126, v4, 0
	v_dot4_i32_i8 v9, v127, v80, v9
	;; [unrolled: 1-line block ×8, first 2 shown]
	v_cvt_f32_i32_e32 v9, v9
	v_fma_mix_f32 v9, v9, v2, -v8 op_sel_hi:[0,1,0]
	v_fmac_f32_e32 v37, v125, v9
	v_dot4_i32_i8 v9, v38, v4, 0
	v_dot4_i32_i8 v4, v77, v4, 0
	;; [unrolled: 1-line block ×16, first 2 shown]
	v_cvt_f32_i32_e32 v9, v9
	v_cvt_f32_i32_e32 v4, v4
	v_fma_mix_f32 v9, v9, v2, -v8 op_sel_hi:[0,1,0]
	v_fma_mix_f32 v2, v4, v2, -v8 op_sel_hi:[0,1,0]
	ds_read_b128 v[4:7], v109 offset:3072
	ds_read_b128 v[80:83], v109 offset:3088
	v_fmac_f32_e32 v35, v45, v2
	v_cvt_f32_f16_sdwa v2, v3 dst_sel:DWORD dst_unused:UNUSED_PAD src0_sel:WORD_1
	v_fmac_f32_e32 v36, v95, v9
	s_waitcnt lgkmcnt(1)
	v_dot4_i32_i8 v8, v117, v4, 0
	s_waitcnt lgkmcnt(0)
	v_dot4_i32_i8 v8, v118, v80, v8
	v_dot4_i32_i8 v8, v119, v5, v8
	;; [unrolled: 1-line block ×7, first 2 shown]
	v_cvt_f32_i32_e32 v8, v8
	v_mul_f32_e32 v2, 0x41000000, v2
	v_fma_mix_f32 v8, v8, v3, -v2 op_sel_hi:[0,1,0]
	v_fmac_f32_e32 v34, v116, v8
	v_dot4_i32_i8 v8, v126, v4, 0
	v_dot4_i32_i8 v8, v127, v80, v8
	;; [unrolled: 1-line block ×8, first 2 shown]
	v_cvt_f32_i32_e32 v8, v8
	v_fma_mix_f32 v8, v8, v3, -v2 op_sel_hi:[0,1,0]
	v_fmac_f32_e32 v33, v125, v8
	v_dot4_i32_i8 v8, v38, v4, 0
	v_dot4_i32_i8 v4, v77, v4, 0
	;; [unrolled: 1-line block ×16, first 2 shown]
	v_cvt_f32_i32_e32 v8, v8
	v_cvt_f32_i32_e32 v4, v4
	v_fma_mix_f32 v8, v8, v3, -v2 op_sel_hi:[0,1,0]
	v_fma_mix_f32 v2, v4, v3, -v2 op_sel_hi:[0,1,0]
	v_fmac_f32_e32 v32, v95, v8
	v_fmac_f32_e32 v31, v45, v2
	ds_read_b128 v[2:5], v109 offset:4096
	ds_read_b128 v[6:9], v109 offset:4112
	ds_read2_b32 v[13:14], v110 offset0:128 offset1:160
	s_waitcnt lgkmcnt(2)
	v_dot4_i32_i8 v81, v117, v2, 0
	s_waitcnt lgkmcnt(1)
	v_dot4_i32_i8 v81, v118, v6, v81
	v_dot4_i32_i8 v81, v119, v3, v81
	;; [unrolled: 1-line block ×6, first 2 shown]
	s_waitcnt lgkmcnt(0)
	v_cvt_f32_f16_sdwa v80, v13 dst_sel:DWORD dst_unused:UNUSED_PAD src0_sel:WORD_1
	v_dot4_i32_i8 v81, v124, v9, v81
	v_cvt_f32_i32_e32 v81, v81
	v_mul_f32_e32 v80, 0x41000000, v80
	v_fma_mix_f32 v81, v81, v13, -v80 op_sel_hi:[0,1,0]
	v_fmac_f32_e32 v30, v116, v81
	v_dot4_i32_i8 v81, v126, v2, 0
	v_dot4_i32_i8 v81, v127, v6, v81
	;; [unrolled: 1-line block ×8, first 2 shown]
	v_cvt_f32_i32_e32 v81, v81
	v_fma_mix_f32 v81, v81, v13, -v80 op_sel_hi:[0,1,0]
	v_fmac_f32_e32 v29, v125, v81
	v_dot4_i32_i8 v81, v38, v2, 0
	v_dot4_i32_i8 v2, v77, v2, 0
	;; [unrolled: 1-line block ×12, first 2 shown]
	v_cvt_f32_i32_e32 v2, v2
	v_dot4_i32_i8 v81, v65, v4, v81
	v_dot4_i32_i8 v81, v10, v8, v81
	;; [unrolled: 1-line block ×4, first 2 shown]
	v_fma_mix_f32 v2, v2, v13, -v80 op_sel_hi:[0,1,0]
	v_cvt_f32_i32_e32 v81, v81
	v_fmac_f32_e32 v27, v45, v2
	ds_read_b128 v[2:5], v109 offset:5120
	ds_read_b128 v[6:9], v109 offset:5136
	v_fma_mix_f32 v81, v81, v13, -v80 op_sel_hi:[0,1,0]
	v_cvt_f32_f16_sdwa v13, v14 dst_sel:DWORD dst_unused:UNUSED_PAD src0_sel:WORD_1
	s_waitcnt lgkmcnt(1)
	v_dot4_i32_i8 v80, v117, v2, 0
	s_waitcnt lgkmcnt(0)
	v_dot4_i32_i8 v80, v118, v6, v80
	v_dot4_i32_i8 v80, v119, v3, v80
	;; [unrolled: 1-line block ×7, first 2 shown]
	v_cvt_f32_i32_e32 v80, v80
	v_mul_f32_e32 v13, 0x41000000, v13
	v_fmac_f32_e32 v28, v95, v81
	v_fma_mix_f32 v80, v80, v14, -v13 op_sel_hi:[0,1,0]
	v_fmac_f32_e32 v26, v116, v80
	v_dot4_i32_i8 v80, v126, v2, 0
	v_dot4_i32_i8 v80, v127, v6, v80
	;; [unrolled: 1-line block ×8, first 2 shown]
	v_cvt_f32_i32_e32 v80, v80
	v_fma_mix_f32 v80, v80, v14, -v13 op_sel_hi:[0,1,0]
	v_fmac_f32_e32 v25, v125, v80
	v_dot4_i32_i8 v80, v38, v2, 0
	v_dot4_i32_i8 v2, v77, v2, 0
	;; [unrolled: 1-line block ×16, first 2 shown]
	v_cvt_f32_i32_e32 v80, v80
	v_cvt_f32_i32_e32 v2, v2
	v_fma_mix_f32 v80, v80, v14, -v13 op_sel_hi:[0,1,0]
	v_fma_mix_f32 v2, v2, v14, -v13 op_sel_hi:[0,1,0]
	v_fmac_f32_e32 v24, v95, v80
	v_fmac_f32_e32 v23, v45, v2
	ds_read_b128 v[4:7], v109 offset:6144
	ds_read_b128 v[80:83], v109 offset:6160
	ds_read2_b32 v[2:3], v110 offset0:192 offset1:224
	v_add_u32_e32 v110, 4, v110
	s_waitcnt lgkmcnt(2)
	v_dot4_i32_i8 v9, v117, v4, 0
	s_waitcnt lgkmcnt(1)
	v_dot4_i32_i8 v9, v118, v80, v9
	v_dot4_i32_i8 v9, v119, v5, v9
	v_dot4_i32_i8 v9, v120, v81, v9
	v_dot4_i32_i8 v9, v121, v6, v9
	v_dot4_i32_i8 v9, v122, v82, v9
	v_dot4_i32_i8 v9, v123, v7, v9
	s_waitcnt lgkmcnt(0)
	v_cvt_f32_f16_sdwa v8, v2 dst_sel:DWORD dst_unused:UNUSED_PAD src0_sel:WORD_1
	v_dot4_i32_i8 v9, v124, v83, v9
	v_cvt_f32_i32_e32 v9, v9
	v_mul_f32_e32 v8, 0x41000000, v8
	v_fma_mix_f32 v9, v9, v2, -v8 op_sel_hi:[0,1,0]
	v_fmac_f32_e32 v22, v116, v9
	v_dot4_i32_i8 v9, v126, v4, 0
	v_dot4_i32_i8 v9, v127, v80, v9
	;; [unrolled: 1-line block ×8, first 2 shown]
	v_cvt_f32_i32_e32 v9, v9
	v_fma_mix_f32 v9, v9, v2, -v8 op_sel_hi:[0,1,0]
	v_fmac_f32_e32 v21, v125, v9
	v_dot4_i32_i8 v9, v38, v4, 0
	v_dot4_i32_i8 v4, v77, v4, 0
	;; [unrolled: 1-line block ×16, first 2 shown]
	v_cvt_f32_i32_e32 v9, v9
	v_cvt_f32_i32_e32 v4, v4
	v_fma_mix_f32 v9, v9, v2, -v8 op_sel_hi:[0,1,0]
	v_fma_mix_f32 v2, v4, v2, -v8 op_sel_hi:[0,1,0]
	ds_read_b128 v[4:7], v109 offset:7168
	ds_read_b128 v[80:83], v109 offset:7184
	v_fmac_f32_e32 v19, v45, v2
	v_cvt_f32_f16_sdwa v2, v3 dst_sel:DWORD dst_unused:UNUSED_PAD src0_sel:WORD_1
	v_fmac_f32_e32 v20, v95, v9
	s_waitcnt lgkmcnt(1)
	v_dot4_i32_i8 v8, v117, v4, 0
	s_waitcnt lgkmcnt(0)
	v_dot4_i32_i8 v8, v118, v80, v8
	v_dot4_i32_i8 v8, v119, v5, v8
	;; [unrolled: 1-line block ×7, first 2 shown]
	v_cvt_f32_i32_e32 v8, v8
	v_mul_f32_e32 v2, 0x41000000, v2
	v_add_u32_e32 v109, 32, v109
	v_fma_mix_f32 v8, v8, v3, -v2 op_sel_hi:[0,1,0]
	v_fmac_f32_e32 v18, v116, v8
	v_dot4_i32_i8 v8, v126, v4, 0
	v_dot4_i32_i8 v8, v127, v80, v8
	v_dot4_i32_i8 v8, v66, v5, v8
	v_dot4_i32_i8 v8, v84, v81, v8
	v_dot4_i32_i8 v8, v91, v6, v8
	v_dot4_i32_i8 v8, v92, v82, v8
	v_dot4_i32_i8 v8, v93, v7, v8
	v_dot4_i32_i8 v8, v94, v83, v8
	v_cvt_f32_i32_e32 v8, v8
	v_fma_mix_f32 v8, v8, v3, -v2 op_sel_hi:[0,1,0]
	v_fmac_f32_e32 v17, v125, v8
	v_dot4_i32_i8 v8, v38, v4, 0
	v_dot4_i32_i8 v8, v76, v80, v8
	v_dot4_i32_i8 v1, v1, v5, v8
	v_dot4_i32_i8 v1, v90, v81, v1
	v_dot4_i32_i8 v1, v65, v6, v1
	v_dot4_i32_i8 v1, v10, v82, v1
	v_dot4_i32_i8 v1, v85, v7, v1
	v_dot4_i32_i8 v1, v86, v83, v1
	v_cvt_f32_i32_e32 v1, v1
	;; [unrolled: 11-line block ×3, first 2 shown]
	v_fma_mix_f32 v1, v1, v3, -v2 op_sel_hi:[0,1,0]
	v_fmac_f32_e32 v15, v45, v1
	s_cbranch_scc1 .LBB157_8
; %bb.9:                                ;   in Loop: Header=BB157_6 Depth=1
	s_and_b32 s0, s9, -4
	s_cmp_eq_u32 s0, 4
	s_barrier
	s_cbranch_scc1 .LBB157_5
; %bb.10:                               ;   in Loop: Header=BB157_6 Depth=1
	buffer_load_dword v1, off, s[20:23], 0 offset:80 ; 4-byte Folded Reload
	buffer_load_dword v3, off, s[20:23], 0 offset:8 ; 4-byte Folded Reload
	;; [unrolled: 1-line block ×7, first 2 shown]
	s_waitcnt vmcnt(6)
	v_add_u32_e32 v38, s14, v1
	buffer_load_dword v1, off, s[20:23], 0 offset:4 ; 4-byte Folded Reload
	s_waitcnt vmcnt(6)
	v_add_u32_e32 v3, v38, v3
	s_waitcnt vmcnt(5)
	v_add_u32_e32 v5, v38, v5
	;; [unrolled: 2-line block ×5, first 2 shown]
	v_add_u32_e32 v13, v38, v13
	v_mad_i64_i32 v[65:66], s[0:1], v45, 36, v[11:12]
	v_add_u32_e32 v45, 4, v107
	v_mad_i64_i32 v[3:4], s[0:1], v3, 36, v[11:12]
	v_mad_i64_i32 v[5:6], s[0:1], v5, 36, v[11:12]
	;; [unrolled: 1-line block ×5, first 2 shown]
	v_mov_b32_e32 v107, v89
	v_mad_u64_u32 v[74:75], s[0:1], v45, 36, s[2:3]
	buffer_load_dword v45, off, s[20:23], 0 offset:32 ; 4-byte Folded Reload
	s_waitcnt vmcnt(1)
	v_add_u32_e32 v1, v38, v1
	v_mad_i64_i32 v[1:2], s[0:1], v1, 36, v[11:12]
	s_waitcnt vmcnt(0)
	v_add_u32_e32 v38, v38, v45
	v_mad_i64_i32 v[76:77], s[0:1], v38, 36, v[11:12]
	global_load_dword v38, v[74:75], off
	s_nop 0
	global_load_dword v1, v[1:2], off offset:4
	s_nop 0
	global_load_dword v2, v[3:4], off offset:4
	;; [unrolled: 2-line block ×3, first 2 shown]
	global_load_dword v4, v[7:8], off offset:4
	s_nop 0
	global_load_dword v5, v[9:10], off offset:4
	global_load_dword v6, v[13:14], off offset:4
	;; [unrolled: 1-line block ×4, first 2 shown]
	buffer_load_dword v109, off, s[20:23], 0 offset:36 ; 4-byte Folded Reload
	buffer_load_dword v110, off, s[20:23], 0 offset:100 ; 4-byte Folded Reload
	;; [unrolled: 1-line block ×5, first 2 shown]
	buffer_load_dword v9, off, s[20:23], 0  ; 4-byte Folded Reload
	s_mov_b32 s0, 12
	s_waitcnt vmcnt(0)
	ds_write_b32 v9, v38
	ds_write_b32 v108, v1
	buffer_load_dword v1, off, s[20:23], 0 offset:40 ; 4-byte Folded Reload
	s_waitcnt vmcnt(0)
	ds_write_b32 v1, v2
	buffer_load_dword v1, off, s[20:23], 0 offset:44 ; 4-byte Folded Reload
	s_waitcnt vmcnt(0)
	ds_write_b32 v1, v3
	ds_write_b32 v102, v4
	;; [unrolled: 1-line block ×6, first 2 shown]
	s_waitcnt lgkmcnt(0)
	s_barrier
	buffer_load_dword v108, off, s[20:23], 0 offset:84 ; 4-byte Folded Reload
.LBB157_11:                             ;   Parent Loop BB157_6 Depth=1
                                        ; =>  This Inner Loop Header: Depth=2
	ds_read_b128 v[2:5], v109
	ds_read_b128 v[6:9], v109 offset:16
	ds_read2_b32 v[13:14], v107 offset1:32
	ds_read_b32 v114, v110
	s_waitcnt vmcnt(0)
	ds_read2_b32 v[65:66], v108 offset1:1
	s_add_i32 s0, s0, 4
	v_add_u32_e32 v110, 4, v110
	s_cmp_lt_u32 s0, 28
	s_waitcnt lgkmcnt(2)
	v_cvt_f32_f16_sdwa v1, v13 dst_sel:DWORD dst_unused:UNUSED_PAD src0_sel:WORD_1
	s_waitcnt lgkmcnt(0)
	v_and_b32_e32 v115, 0xf0f0f0f, v65
	v_and_b32_e32 v117, 0xf0f0f0f, v66
	v_lshrrev_b32_e32 v10, 4, v66
	v_mul_f32_e32 v80, 0x41000000, v1
	v_lshrrev_b32_e32 v1, 4, v65
	ds_read2_b32 v[65:66], v108 offset0:2 offset1:3
	v_and_b32_e32 v116, 0xf0f0f0f, v1
	v_dot4_i32_i8 v1, v115, v2, 0
	v_dot4_i32_i8 v1, v116, v6, v1
	v_and_b32_e32 v118, 0xf0f0f0f, v10
	v_dot4_i32_i8 v1, v117, v3, v1
	v_dot4_i32_i8 v1, v118, v7, v1
	s_waitcnt lgkmcnt(0)
	v_and_b32_e32 v119, 0xf0f0f0f, v65
	v_lshrrev_b32_e32 v10, 4, v65
	v_and_b32_e32 v120, 0xf0f0f0f, v10
	v_dot4_i32_i8 v1, v119, v4, v1
	v_dot4_i32_i8 v1, v120, v8, v1
	v_and_b32_e32 v121, 0xf0f0f0f, v66
	v_lshrrev_b32_e32 v10, 4, v66
	v_and_b32_e32 v122, 0xf0f0f0f, v10
	v_dot4_i32_i8 v1, v121, v5, v1
	v_dot4_i32_i8 v1, v122, v9, v1
	v_cvt_f32_i32_e32 v1, v1
	v_fma_mix_f32 v1, v13, v1, -v80 op_sel_hi:[1,0,0]
	v_fmac_f32_e32 v40, v114, v1
	v_add_u32_e32 v1, 0x1080, v108
	ds_read_b32 v123, v111
	ds_read2_b32 v[74:75], v1 offset1:1
	v_add_u32_e32 v111, 4, v111
	s_waitcnt lgkmcnt(0)
	v_lshrrev_b32_e32 v10, 4, v75
	v_and_b32_e32 v84, 0xf0f0f0f, v10
	v_add_u32_e32 v10, 0x1088, v108
	v_and_b32_e32 v124, 0xf0f0f0f, v74
	v_lshrrev_b32_e32 v1, 4, v74
	v_and_b32_e32 v66, 0xf0f0f0f, v75
	ds_read2_b32 v[74:75], v10 offset1:1
	v_and_b32_e32 v125, 0xf0f0f0f, v1
	v_dot4_i32_i8 v1, v124, v2, 0
	v_dot4_i32_i8 v1, v125, v6, v1
	;; [unrolled: 1-line block ×4, first 2 shown]
	s_waitcnt lgkmcnt(0)
	v_and_b32_e32 v91, 0xf0f0f0f, v74
	v_lshrrev_b32_e32 v10, 4, v74
	v_and_b32_e32 v92, 0xf0f0f0f, v10
	v_dot4_i32_i8 v1, v91, v4, v1
	v_dot4_i32_i8 v1, v92, v8, v1
	v_and_b32_e32 v93, 0xf0f0f0f, v75
	v_lshrrev_b32_e32 v10, 4, v75
	v_and_b32_e32 v94, 0xf0f0f0f, v10
	v_dot4_i32_i8 v1, v93, v5, v1
	v_dot4_i32_i8 v1, v94, v9, v1
	v_cvt_f32_i32_e32 v1, v1
	v_fma_mix_f32 v1, v13, v1, -v80 op_sel_hi:[1,0,0]
	v_fmac_f32_e32 v73, v123, v1
	v_add_u32_e32 v1, 0x2100, v108
	ds_read_b32 v95, v112
	ds_read2_b32 v[74:75], v1 offset1:1
	v_add_u32_e32 v112, 4, v112
	s_waitcnt lgkmcnt(0)
	v_and_b32_e32 v38, 0xf0f0f0f, v74
	v_lshrrev_b32_e32 v1, 4, v74
	v_and_b32_e32 v76, 0xf0f0f0f, v1
	v_dot4_i32_i8 v1, v38, v2, 0
	v_dot4_i32_i8 v10, v76, v6, v1
	v_and_b32_e32 v1, 0xf0f0f0f, v75
	v_lshrrev_b32_e32 v45, 4, v75
	v_and_b32_e32 v45, 0xf0f0f0f, v45
	v_dot4_i32_i8 v10, v1, v3, v10
	v_dot4_i32_i8 v72, v45, v7, v10
	v_add_u32_e32 v10, 0x2108, v108
	ds_read2_b32 v[74:75], v10 offset1:1
	s_waitcnt lgkmcnt(0)
	v_and_b32_e32 v65, 0xf0f0f0f, v74
	v_lshrrev_b32_e32 v10, 4, v74
	v_and_b32_e32 v10, 0xf0f0f0f, v10
	v_dot4_i32_i8 v72, v65, v4, v72
	v_dot4_i32_i8 v72, v10, v8, v72
	v_and_b32_e32 v85, 0xf0f0f0f, v75
	v_lshrrev_b32_e32 v74, 4, v75
	v_and_b32_e32 v86, 0xf0f0f0f, v74
	v_dot4_i32_i8 v72, v85, v5, v72
	v_dot4_i32_i8 v72, v86, v9, v72
	v_cvt_f32_i32_e32 v72, v72
	v_fma_mix_f32 v72, v13, v72, -v80 op_sel_hi:[1,0,0]
	v_fmac_f32_e32 v68, v95, v72
	v_add_u32_e32 v72, 0x3180, v108
	ds_read_b32 v90, v113
	ds_read2_b32 v[74:75], v72 offset1:1
	v_add_u32_e32 v113, 4, v113
	s_waitcnt lgkmcnt(0)
	v_and_b32_e32 v77, 0xf0f0f0f, v74
	v_lshrrev_b32_e32 v72, 4, v74
	v_and_b32_e32 v78, 0xf0f0f0f, v72
	v_dot4_i32_i8 v2, v77, v2, 0
	v_dot4_i32_i8 v2, v78, v6, v2
	v_and_b32_e32 v74, 0xf0f0f0f, v75
	v_lshrrev_b32_e32 v6, 4, v75
	v_and_b32_e32 v87, 0xf0f0f0f, v6
	v_dot4_i32_i8 v2, v74, v3, v2
	v_dot4_i32_i8 v6, v87, v7, v2
	v_add_u32_e32 v2, 0x3188, v108
	ds_read2_b32 v[2:3], v2 offset1:1
	v_add_u32_e32 v108, 16, v108
	s_waitcnt lgkmcnt(0)
	v_and_b32_e32 v79, 0xf0f0f0f, v2
	v_lshrrev_b32_e32 v2, 4, v2
	v_and_b32_e32 v75, 0xf0f0f0f, v2
	v_dot4_i32_i8 v2, v79, v4, v6
	v_dot4_i32_i8 v2, v75, v8, v2
	v_and_b32_e32 v88, 0xf0f0f0f, v3
	v_lshrrev_b32_e32 v3, 4, v3
	v_and_b32_e32 v72, 0xf0f0f0f, v3
	v_dot4_i32_i8 v2, v88, v5, v2
	v_dot4_i32_i8 v2, v72, v9, v2
	v_cvt_f32_i32_e32 v2, v2
	v_fma_mix_f32 v2, v13, v2, -v80 op_sel_hi:[1,0,0]
	v_fmac_f32_e32 v57, v90, v2
	ds_read_b128 v[2:5], v109 offset:1024
	ds_read_b128 v[6:9], v109 offset:1040
	v_cvt_f32_f16_sdwa v13, v14 dst_sel:DWORD dst_unused:UNUSED_PAD src0_sel:WORD_1
	s_waitcnt lgkmcnt(1)
	v_dot4_i32_i8 v80, v115, v2, 0
	s_waitcnt lgkmcnt(0)
	v_dot4_i32_i8 v80, v116, v6, v80
	v_dot4_i32_i8 v80, v117, v3, v80
	;; [unrolled: 1-line block ×7, first 2 shown]
	v_cvt_f32_i32_e32 v80, v80
	v_mul_f32_e32 v13, 0x41000000, v13
	v_fma_mix_f32 v80, v80, v14, -v13 op_sel_hi:[0,1,0]
	v_fmac_f32_e32 v44, v114, v80
	v_dot4_i32_i8 v80, v124, v2, 0
	v_dot4_i32_i8 v80, v125, v6, v80
	;; [unrolled: 1-line block ×8, first 2 shown]
	v_cvt_f32_i32_e32 v80, v80
	v_fma_mix_f32 v80, v80, v14, -v13 op_sel_hi:[0,1,0]
	v_fmac_f32_e32 v43, v123, v80
	v_dot4_i32_i8 v80, v38, v2, 0
	v_dot4_i32_i8 v2, v77, v2, 0
	;; [unrolled: 1-line block ×16, first 2 shown]
	v_cvt_f32_i32_e32 v80, v80
	v_cvt_f32_i32_e32 v2, v2
	v_fma_mix_f32 v80, v80, v14, -v13 op_sel_hi:[0,1,0]
	v_fma_mix_f32 v2, v2, v14, -v13 op_sel_hi:[0,1,0]
	v_fmac_f32_e32 v42, v95, v80
	v_fmac_f32_e32 v41, v90, v2
	ds_read_b128 v[4:7], v109 offset:2048
	ds_read_b128 v[80:83], v109 offset:2064
	ds_read2_b32 v[2:3], v107 offset0:64 offset1:96
	s_waitcnt lgkmcnt(2)
	v_dot4_i32_i8 v9, v115, v4, 0
	s_waitcnt lgkmcnt(1)
	v_dot4_i32_i8 v9, v116, v80, v9
	v_dot4_i32_i8 v9, v117, v5, v9
	;; [unrolled: 1-line block ×6, first 2 shown]
	s_waitcnt lgkmcnt(0)
	v_cvt_f32_f16_sdwa v8, v2 dst_sel:DWORD dst_unused:UNUSED_PAD src0_sel:WORD_1
	v_dot4_i32_i8 v9, v122, v83, v9
	v_cvt_f32_i32_e32 v9, v9
	v_mul_f32_e32 v8, 0x41000000, v8
	v_fma_mix_f32 v9, v9, v2, -v8 op_sel_hi:[0,1,0]
	v_fmac_f32_e32 v39, v114, v9
	v_dot4_i32_i8 v9, v124, v4, 0
	v_dot4_i32_i8 v9, v125, v80, v9
	;; [unrolled: 1-line block ×8, first 2 shown]
	v_cvt_f32_i32_e32 v9, v9
	v_fma_mix_f32 v9, v9, v2, -v8 op_sel_hi:[0,1,0]
	v_fmac_f32_e32 v37, v123, v9
	v_dot4_i32_i8 v9, v38, v4, 0
	v_dot4_i32_i8 v4, v77, v4, 0
	;; [unrolled: 1-line block ×16, first 2 shown]
	v_cvt_f32_i32_e32 v9, v9
	v_cvt_f32_i32_e32 v4, v4
	v_fma_mix_f32 v9, v9, v2, -v8 op_sel_hi:[0,1,0]
	v_fma_mix_f32 v2, v4, v2, -v8 op_sel_hi:[0,1,0]
	ds_read_b128 v[4:7], v109 offset:3072
	ds_read_b128 v[80:83], v109 offset:3088
	v_fmac_f32_e32 v35, v90, v2
	v_cvt_f32_f16_sdwa v2, v3 dst_sel:DWORD dst_unused:UNUSED_PAD src0_sel:WORD_1
	v_fmac_f32_e32 v36, v95, v9
	s_waitcnt lgkmcnt(1)
	v_dot4_i32_i8 v8, v115, v4, 0
	s_waitcnt lgkmcnt(0)
	v_dot4_i32_i8 v8, v116, v80, v8
	v_dot4_i32_i8 v8, v117, v5, v8
	;; [unrolled: 1-line block ×7, first 2 shown]
	v_cvt_f32_i32_e32 v8, v8
	v_mul_f32_e32 v2, 0x41000000, v2
	v_fma_mix_f32 v8, v8, v3, -v2 op_sel_hi:[0,1,0]
	v_fmac_f32_e32 v34, v114, v8
	v_dot4_i32_i8 v8, v124, v4, 0
	v_dot4_i32_i8 v8, v125, v80, v8
	v_dot4_i32_i8 v8, v66, v5, v8
	v_dot4_i32_i8 v8, v84, v81, v8
	v_dot4_i32_i8 v8, v91, v6, v8
	v_dot4_i32_i8 v8, v92, v82, v8
	v_dot4_i32_i8 v8, v93, v7, v8
	v_dot4_i32_i8 v8, v94, v83, v8
	v_cvt_f32_i32_e32 v8, v8
	v_fma_mix_f32 v8, v8, v3, -v2 op_sel_hi:[0,1,0]
	v_fmac_f32_e32 v33, v123, v8
	v_dot4_i32_i8 v8, v38, v4, 0
	v_dot4_i32_i8 v4, v77, v4, 0
	;; [unrolled: 1-line block ×16, first 2 shown]
	v_cvt_f32_i32_e32 v8, v8
	v_cvt_f32_i32_e32 v4, v4
	v_fma_mix_f32 v8, v8, v3, -v2 op_sel_hi:[0,1,0]
	v_fma_mix_f32 v2, v4, v3, -v2 op_sel_hi:[0,1,0]
	v_fmac_f32_e32 v32, v95, v8
	v_fmac_f32_e32 v31, v90, v2
	ds_read_b128 v[2:5], v109 offset:4096
	ds_read_b128 v[6:9], v109 offset:4112
	ds_read2_b32 v[13:14], v107 offset0:128 offset1:160
	s_waitcnt lgkmcnt(2)
	v_dot4_i32_i8 v81, v115, v2, 0
	s_waitcnt lgkmcnt(1)
	v_dot4_i32_i8 v81, v116, v6, v81
	v_dot4_i32_i8 v81, v117, v3, v81
	;; [unrolled: 1-line block ×6, first 2 shown]
	s_waitcnt lgkmcnt(0)
	v_cvt_f32_f16_sdwa v80, v13 dst_sel:DWORD dst_unused:UNUSED_PAD src0_sel:WORD_1
	v_dot4_i32_i8 v81, v122, v9, v81
	v_cvt_f32_i32_e32 v81, v81
	v_mul_f32_e32 v80, 0x41000000, v80
	v_fma_mix_f32 v81, v81, v13, -v80 op_sel_hi:[0,1,0]
	v_fmac_f32_e32 v30, v114, v81
	v_dot4_i32_i8 v81, v124, v2, 0
	v_dot4_i32_i8 v81, v125, v6, v81
	;; [unrolled: 1-line block ×8, first 2 shown]
	v_cvt_f32_i32_e32 v81, v81
	v_fma_mix_f32 v81, v81, v13, -v80 op_sel_hi:[0,1,0]
	v_fmac_f32_e32 v29, v123, v81
	v_dot4_i32_i8 v81, v38, v2, 0
	v_dot4_i32_i8 v2, v77, v2, 0
	;; [unrolled: 1-line block ×12, first 2 shown]
	v_cvt_f32_i32_e32 v2, v2
	v_dot4_i32_i8 v81, v65, v4, v81
	v_dot4_i32_i8 v81, v10, v8, v81
	;; [unrolled: 1-line block ×4, first 2 shown]
	v_fma_mix_f32 v2, v2, v13, -v80 op_sel_hi:[0,1,0]
	v_cvt_f32_i32_e32 v81, v81
	v_fmac_f32_e32 v27, v90, v2
	ds_read_b128 v[2:5], v109 offset:5120
	ds_read_b128 v[6:9], v109 offset:5136
	v_fma_mix_f32 v81, v81, v13, -v80 op_sel_hi:[0,1,0]
	v_cvt_f32_f16_sdwa v13, v14 dst_sel:DWORD dst_unused:UNUSED_PAD src0_sel:WORD_1
	s_waitcnt lgkmcnt(1)
	v_dot4_i32_i8 v80, v115, v2, 0
	s_waitcnt lgkmcnt(0)
	v_dot4_i32_i8 v80, v116, v6, v80
	v_dot4_i32_i8 v80, v117, v3, v80
	;; [unrolled: 1-line block ×7, first 2 shown]
	v_cvt_f32_i32_e32 v80, v80
	v_mul_f32_e32 v13, 0x41000000, v13
	v_fmac_f32_e32 v28, v95, v81
	v_fma_mix_f32 v80, v80, v14, -v13 op_sel_hi:[0,1,0]
	v_fmac_f32_e32 v26, v114, v80
	v_dot4_i32_i8 v80, v124, v2, 0
	v_dot4_i32_i8 v80, v125, v6, v80
	;; [unrolled: 1-line block ×8, first 2 shown]
	v_cvt_f32_i32_e32 v80, v80
	v_fma_mix_f32 v80, v80, v14, -v13 op_sel_hi:[0,1,0]
	v_fmac_f32_e32 v25, v123, v80
	v_dot4_i32_i8 v80, v38, v2, 0
	v_dot4_i32_i8 v2, v77, v2, 0
	;; [unrolled: 1-line block ×16, first 2 shown]
	v_cvt_f32_i32_e32 v80, v80
	v_cvt_f32_i32_e32 v2, v2
	v_fma_mix_f32 v80, v80, v14, -v13 op_sel_hi:[0,1,0]
	v_fma_mix_f32 v2, v2, v14, -v13 op_sel_hi:[0,1,0]
	v_fmac_f32_e32 v24, v95, v80
	v_fmac_f32_e32 v23, v90, v2
	ds_read_b128 v[4:7], v109 offset:6144
	ds_read_b128 v[80:83], v109 offset:6160
	ds_read2_b32 v[2:3], v107 offset0:192 offset1:224
	v_add_u32_e32 v107, 4, v107
	s_waitcnt lgkmcnt(2)
	v_dot4_i32_i8 v9, v115, v4, 0
	s_waitcnt lgkmcnt(1)
	v_dot4_i32_i8 v9, v116, v80, v9
	v_dot4_i32_i8 v9, v117, v5, v9
	;; [unrolled: 1-line block ×6, first 2 shown]
	s_waitcnt lgkmcnt(0)
	v_cvt_f32_f16_sdwa v8, v2 dst_sel:DWORD dst_unused:UNUSED_PAD src0_sel:WORD_1
	v_dot4_i32_i8 v9, v122, v83, v9
	v_cvt_f32_i32_e32 v9, v9
	v_mul_f32_e32 v8, 0x41000000, v8
	v_fma_mix_f32 v9, v9, v2, -v8 op_sel_hi:[0,1,0]
	v_fmac_f32_e32 v22, v114, v9
	v_dot4_i32_i8 v9, v124, v4, 0
	v_dot4_i32_i8 v9, v125, v80, v9
	;; [unrolled: 1-line block ×8, first 2 shown]
	v_cvt_f32_i32_e32 v9, v9
	v_fma_mix_f32 v9, v9, v2, -v8 op_sel_hi:[0,1,0]
	v_fmac_f32_e32 v21, v123, v9
	v_dot4_i32_i8 v9, v38, v4, 0
	v_dot4_i32_i8 v4, v77, v4, 0
	;; [unrolled: 1-line block ×16, first 2 shown]
	v_cvt_f32_i32_e32 v9, v9
	v_cvt_f32_i32_e32 v4, v4
	v_fma_mix_f32 v9, v9, v2, -v8 op_sel_hi:[0,1,0]
	v_fma_mix_f32 v2, v4, v2, -v8 op_sel_hi:[0,1,0]
	ds_read_b128 v[4:7], v109 offset:7168
	ds_read_b128 v[80:83], v109 offset:7184
	v_fmac_f32_e32 v19, v90, v2
	v_cvt_f32_f16_sdwa v2, v3 dst_sel:DWORD dst_unused:UNUSED_PAD src0_sel:WORD_1
	v_fmac_f32_e32 v20, v95, v9
	s_waitcnt lgkmcnt(1)
	v_dot4_i32_i8 v8, v115, v4, 0
	s_waitcnt lgkmcnt(0)
	v_dot4_i32_i8 v8, v116, v80, v8
	v_dot4_i32_i8 v8, v117, v5, v8
	;; [unrolled: 1-line block ×7, first 2 shown]
	v_cvt_f32_i32_e32 v8, v8
	v_mul_f32_e32 v2, 0x41000000, v2
	v_add_u32_e32 v109, 32, v109
	v_fma_mix_f32 v8, v8, v3, -v2 op_sel_hi:[0,1,0]
	v_fmac_f32_e32 v18, v114, v8
	v_dot4_i32_i8 v8, v124, v4, 0
	v_dot4_i32_i8 v8, v125, v80, v8
	v_dot4_i32_i8 v8, v66, v5, v8
	v_dot4_i32_i8 v8, v84, v81, v8
	v_dot4_i32_i8 v8, v91, v6, v8
	v_dot4_i32_i8 v8, v92, v82, v8
	v_dot4_i32_i8 v8, v93, v7, v8
	v_dot4_i32_i8 v8, v94, v83, v8
	v_cvt_f32_i32_e32 v8, v8
	v_fma_mix_f32 v8, v8, v3, -v2 op_sel_hi:[0,1,0]
	v_fmac_f32_e32 v17, v123, v8
	v_dot4_i32_i8 v8, v38, v4, 0
	v_dot4_i32_i8 v8, v76, v80, v8
	v_dot4_i32_i8 v1, v1, v5, v8
	v_dot4_i32_i8 v1, v45, v81, v1
	v_dot4_i32_i8 v1, v65, v6, v1
	v_dot4_i32_i8 v1, v10, v82, v1
	v_dot4_i32_i8 v1, v85, v7, v1
	v_dot4_i32_i8 v1, v86, v83, v1
	v_cvt_f32_i32_e32 v1, v1
	v_fma_mix_f32 v1, v1, v3, -v2 op_sel_hi:[0,1,0]
	v_fmac_f32_e32 v16, v95, v1
	v_dot4_i32_i8 v1, v77, v4, 0
	v_dot4_i32_i8 v1, v78, v80, v1
	v_dot4_i32_i8 v1, v74, v5, v1
	v_dot4_i32_i8 v1, v87, v81, v1
	v_dot4_i32_i8 v1, v79, v6, v1
	v_dot4_i32_i8 v1, v75, v82, v1
	v_dot4_i32_i8 v1, v88, v7, v1
	v_dot4_i32_i8 v1, v72, v83, v1
	v_cvt_f32_i32_e32 v1, v1
	v_fma_mix_f32 v1, v1, v3, -v2 op_sel_hi:[0,1,0]
	v_fmac_f32_e32 v15, v90, v1
	s_cbranch_scc1 .LBB157_11
; %bb.12:                               ;   in Loop: Header=BB157_6 Depth=1
	s_barrier
	s_branch .LBB157_5
.LBB157_13:
	buffer_load_dword v1, off, s[20:23], 0 offset:108 ; 4-byte Folded Reload
	buffer_load_dword v38, off, s[20:23], 0 offset:104 ; 4-byte Folded Reload
.LBB157_14:
	s_waitcnt vmcnt(1)
	v_cmp_gt_u32_e32 vcc, s8, v1
	s_and_saveexec_b64 s[0:1], vcc
	s_cbranch_execz .LBB157_65
; %bb.15:
	v_mul_lo_u32 v4, v1, s10
	v_add_u32_e32 v0, s6, v0
	v_cmp_gt_u32_e64 s[0:1], s10, v0
	s_and_saveexec_b64 s[2:3], s[0:1]
	s_cbranch_execz .LBB157_17
; %bb.16:
	v_bfe_u32 v1, v40, 16, 1
	s_movk_i32 s4, 0x7fff
	v_add3_u32 v1, v40, v1, s4
	v_cmp_o_f32_e32 vcc, v40, v40
	v_mov_b32_e32 v2, 0x7fc0
	v_cndmask_b32_sdwa v3, v2, v1, vcc dst_sel:DWORD dst_unused:UNUSED_PAD src0_sel:DWORD src1_sel:WORD_1
	v_add_u32_e32 v1, v0, v4
	v_mov_b32_e32 v2, 0
	v_lshlrev_b64 v[1:2], 1, v[1:2]
	s_waitcnt lgkmcnt(0)
	v_mov_b32_e32 v5, s13
	v_add_co_u32_e32 v1, vcc, s12, v1
	v_addc_co_u32_e32 v2, vcc, v5, v2, vcc
	global_store_short v[1:2], v3, off
.LBB157_17:
	s_or_b64 exec, exec, s[2:3]
	v_add_u32_e32 v1, 32, v0
	v_cmp_gt_u32_e64 s[2:3], s10, v1
	s_and_saveexec_b64 s[4:5], s[2:3]
	s_cbranch_execz .LBB157_19
; %bb.18:
	v_bfe_u32 v2, v73, 16, 1
	s_movk_i32 s6, 0x7fff
	v_add3_u32 v2, v73, v2, s6
	v_cmp_o_f32_e32 vcc, v73, v73
	v_mov_b32_e32 v3, 0x7fc0
	v_cndmask_b32_sdwa v5, v3, v2, vcc dst_sel:DWORD dst_unused:UNUSED_PAD src0_sel:DWORD src1_sel:WORD_1
	v_add_u32_e32 v2, v1, v4
	v_mov_b32_e32 v3, 0
	v_lshlrev_b64 v[2:3], 1, v[2:3]
	s_waitcnt lgkmcnt(0)
	v_mov_b32_e32 v6, s13
	v_add_co_u32_e32 v2, vcc, s12, v2
	v_addc_co_u32_e32 v3, vcc, v6, v3, vcc
	global_store_short v[2:3], v5, off
.LBB157_19:
	s_or_b64 exec, exec, s[4:5]
	;; [unrolled: 21-line block ×4, first 2 shown]
	s_waitcnt vmcnt(0)
	v_add3_u32 v4, v38, s11, 8
	v_cmp_gt_u32_e32 vcc, s8, v4
	s_and_b64 exec, exec, vcc
	s_cbranch_execz .LBB157_65
; %bb.24:
	v_mul_lo_u32 v4, v4, s10
	s_and_saveexec_b64 s[14:15], s[0:1]
	s_cbranch_execnz .LBB157_66
; %bb.25:
	s_or_b64 exec, exec, s[14:15]
	s_and_saveexec_b64 s[14:15], s[2:3]
	s_cbranch_execnz .LBB157_67
.LBB157_26:
	s_or_b64 exec, exec, s[14:15]
	s_and_saveexec_b64 s[14:15], s[4:5]
	s_cbranch_execnz .LBB157_68
.LBB157_27:
	s_or_b64 exec, exec, s[14:15]
	s_and_saveexec_b64 s[14:15], s[6:7]
	s_cbranch_execz .LBB157_29
.LBB157_28:
	v_bfe_u32 v5, v41, 16, 1
	s_movk_i32 s9, 0x7fff
	v_add3_u32 v5, v41, v5, s9
	v_cmp_o_f32_e32 vcc, v41, v41
	v_mov_b32_e32 v6, 0x7fc0
	v_cndmask_b32_sdwa v6, v6, v5, vcc dst_sel:DWORD dst_unused:UNUSED_PAD src0_sel:DWORD src1_sel:WORD_1
	v_add_u32_e32 v4, v4, v3
	v_mov_b32_e32 v5, 0
	v_lshlrev_b64 v[4:5], 1, v[4:5]
	s_waitcnt lgkmcnt(0)
	v_mov_b32_e32 v7, s13
	v_add_co_u32_e32 v4, vcc, s12, v4
	v_addc_co_u32_e32 v5, vcc, v7, v5, vcc
	global_store_short v[4:5], v6, off
.LBB157_29:
	s_or_b64 exec, exec, s[14:15]
	v_add3_u32 v4, v38, s11, 16
	v_cmp_gt_u32_e32 vcc, s8, v4
	s_and_b64 exec, exec, vcc
	s_cbranch_execz .LBB157_65
; %bb.30:
	v_mul_lo_u32 v4, v4, s10
	s_and_saveexec_b64 s[14:15], s[0:1]
	s_cbranch_execnz .LBB157_69
; %bb.31:
	s_or_b64 exec, exec, s[14:15]
	s_and_saveexec_b64 s[14:15], s[2:3]
	s_cbranch_execnz .LBB157_70
.LBB157_32:
	s_or_b64 exec, exec, s[14:15]
	s_and_saveexec_b64 s[14:15], s[4:5]
	s_cbranch_execnz .LBB157_71
.LBB157_33:
	s_or_b64 exec, exec, s[14:15]
	s_and_saveexec_b64 s[14:15], s[6:7]
	s_cbranch_execz .LBB157_35
.LBB157_34:
	v_bfe_u32 v5, v35, 16, 1
	s_movk_i32 s9, 0x7fff
	v_add3_u32 v5, v35, v5, s9
	v_cmp_o_f32_e32 vcc, v35, v35
	v_mov_b32_e32 v6, 0x7fc0
	v_cndmask_b32_sdwa v6, v6, v5, vcc dst_sel:DWORD dst_unused:UNUSED_PAD src0_sel:DWORD src1_sel:WORD_1
	v_add_u32_e32 v4, v4, v3
	v_mov_b32_e32 v5, 0
	v_lshlrev_b64 v[4:5], 1, v[4:5]
	s_waitcnt lgkmcnt(0)
	v_mov_b32_e32 v7, s13
	v_add_co_u32_e32 v4, vcc, s12, v4
	v_addc_co_u32_e32 v5, vcc, v7, v5, vcc
	global_store_short v[4:5], v6, off
.LBB157_35:
	s_or_b64 exec, exec, s[14:15]
	v_add3_u32 v4, v38, s11, 24
	v_cmp_gt_u32_e32 vcc, s8, v4
	s_and_b64 exec, exec, vcc
	s_cbranch_execz .LBB157_65
; %bb.36:
	v_mul_lo_u32 v4, v4, s10
	s_and_saveexec_b64 s[14:15], s[0:1]
	s_cbranch_execnz .LBB157_72
; %bb.37:
	s_or_b64 exec, exec, s[14:15]
	s_and_saveexec_b64 s[14:15], s[2:3]
	s_cbranch_execnz .LBB157_73
.LBB157_38:
	s_or_b64 exec, exec, s[14:15]
	s_and_saveexec_b64 s[14:15], s[4:5]
	s_cbranch_execnz .LBB157_74
.LBB157_39:
	s_or_b64 exec, exec, s[14:15]
	s_and_saveexec_b64 s[14:15], s[6:7]
	s_cbranch_execz .LBB157_41
.LBB157_40:
	v_bfe_u32 v5, v31, 16, 1
	s_movk_i32 s9, 0x7fff
	v_add3_u32 v5, v31, v5, s9
	v_cmp_o_f32_e32 vcc, v31, v31
	v_mov_b32_e32 v6, 0x7fc0
	v_cndmask_b32_sdwa v6, v6, v5, vcc dst_sel:DWORD dst_unused:UNUSED_PAD src0_sel:DWORD src1_sel:WORD_1
	v_add_u32_e32 v4, v4, v3
	v_mov_b32_e32 v5, 0
	v_lshlrev_b64 v[4:5], 1, v[4:5]
	s_waitcnt lgkmcnt(0)
	v_mov_b32_e32 v7, s13
	v_add_co_u32_e32 v4, vcc, s12, v4
	v_addc_co_u32_e32 v5, vcc, v7, v5, vcc
	global_store_short v[4:5], v6, off
.LBB157_41:
	s_or_b64 exec, exec, s[14:15]
	v_add3_u32 v4, v38, s11, 32
	v_cmp_gt_u32_e32 vcc, s8, v4
	s_and_b64 exec, exec, vcc
	s_cbranch_execz .LBB157_65
; %bb.42:
	v_mul_lo_u32 v4, v4, s10
	s_and_saveexec_b64 s[14:15], s[0:1]
	s_cbranch_execnz .LBB157_75
; %bb.43:
	s_or_b64 exec, exec, s[14:15]
	s_and_saveexec_b64 s[14:15], s[2:3]
	s_cbranch_execnz .LBB157_76
.LBB157_44:
	s_or_b64 exec, exec, s[14:15]
	s_and_saveexec_b64 s[14:15], s[4:5]
	s_cbranch_execnz .LBB157_77
.LBB157_45:
	s_or_b64 exec, exec, s[14:15]
	s_and_saveexec_b64 s[14:15], s[6:7]
	s_cbranch_execz .LBB157_47
.LBB157_46:
	v_bfe_u32 v5, v27, 16, 1
	s_movk_i32 s9, 0x7fff
	v_add3_u32 v5, v27, v5, s9
	v_cmp_o_f32_e32 vcc, v27, v27
	v_mov_b32_e32 v6, 0x7fc0
	v_cndmask_b32_sdwa v6, v6, v5, vcc dst_sel:DWORD dst_unused:UNUSED_PAD src0_sel:DWORD src1_sel:WORD_1
	v_add_u32_e32 v4, v4, v3
	v_mov_b32_e32 v5, 0
	v_lshlrev_b64 v[4:5], 1, v[4:5]
	s_waitcnt lgkmcnt(0)
	v_mov_b32_e32 v7, s13
	v_add_co_u32_e32 v4, vcc, s12, v4
	v_addc_co_u32_e32 v5, vcc, v7, v5, vcc
	global_store_short v[4:5], v6, off
.LBB157_47:
	s_or_b64 exec, exec, s[14:15]
	v_add3_u32 v4, v38, s11, 40
	v_cmp_gt_u32_e32 vcc, s8, v4
	s_and_b64 exec, exec, vcc
	s_cbranch_execz .LBB157_65
; %bb.48:
	v_mul_lo_u32 v4, v4, s10
	s_and_saveexec_b64 s[14:15], s[0:1]
	s_cbranch_execnz .LBB157_78
; %bb.49:
	s_or_b64 exec, exec, s[14:15]
	s_and_saveexec_b64 s[14:15], s[2:3]
	s_cbranch_execnz .LBB157_79
.LBB157_50:
	s_or_b64 exec, exec, s[14:15]
	s_and_saveexec_b64 s[14:15], s[4:5]
	s_cbranch_execnz .LBB157_80
.LBB157_51:
	s_or_b64 exec, exec, s[14:15]
	s_and_saveexec_b64 s[14:15], s[6:7]
	s_cbranch_execz .LBB157_53
.LBB157_52:
	v_bfe_u32 v5, v23, 16, 1
	s_movk_i32 s9, 0x7fff
	v_add3_u32 v5, v23, v5, s9
	v_cmp_o_f32_e32 vcc, v23, v23
	v_mov_b32_e32 v6, 0x7fc0
	v_cndmask_b32_sdwa v6, v6, v5, vcc dst_sel:DWORD dst_unused:UNUSED_PAD src0_sel:DWORD src1_sel:WORD_1
	v_add_u32_e32 v4, v4, v3
	v_mov_b32_e32 v5, 0
	v_lshlrev_b64 v[4:5], 1, v[4:5]
	s_waitcnt lgkmcnt(0)
	v_mov_b32_e32 v7, s13
	v_add_co_u32_e32 v4, vcc, s12, v4
	v_addc_co_u32_e32 v5, vcc, v7, v5, vcc
	global_store_short v[4:5], v6, off
.LBB157_53:
	s_or_b64 exec, exec, s[14:15]
	v_add3_u32 v4, v38, s11, 48
	v_cmp_gt_u32_e32 vcc, s8, v4
	s_and_b64 exec, exec, vcc
	s_cbranch_execz .LBB157_65
; %bb.54:
	v_mul_lo_u32 v4, v4, s10
	s_and_saveexec_b64 s[14:15], s[0:1]
	s_cbranch_execnz .LBB157_81
; %bb.55:
	s_or_b64 exec, exec, s[14:15]
	s_and_saveexec_b64 s[14:15], s[2:3]
	s_cbranch_execnz .LBB157_82
.LBB157_56:
	s_or_b64 exec, exec, s[14:15]
	s_and_saveexec_b64 s[14:15], s[4:5]
	s_cbranch_execnz .LBB157_83
.LBB157_57:
	s_or_b64 exec, exec, s[14:15]
	s_and_saveexec_b64 s[14:15], s[6:7]
	s_cbranch_execz .LBB157_59
.LBB157_58:
	v_bfe_u32 v5, v19, 16, 1
	s_movk_i32 s9, 0x7fff
	v_add3_u32 v5, v19, v5, s9
	v_cmp_o_f32_e32 vcc, v19, v19
	v_mov_b32_e32 v6, 0x7fc0
	v_cndmask_b32_sdwa v6, v6, v5, vcc dst_sel:DWORD dst_unused:UNUSED_PAD src0_sel:DWORD src1_sel:WORD_1
	v_add_u32_e32 v4, v4, v3
	v_mov_b32_e32 v5, 0
	v_lshlrev_b64 v[4:5], 1, v[4:5]
	s_waitcnt lgkmcnt(0)
	v_mov_b32_e32 v7, s13
	v_add_co_u32_e32 v4, vcc, s12, v4
	v_addc_co_u32_e32 v5, vcc, v7, v5, vcc
	global_store_short v[4:5], v6, off
.LBB157_59:
	s_or_b64 exec, exec, s[14:15]
	v_add3_u32 v4, v38, s11, 56
	v_cmp_gt_u32_e32 vcc, s8, v4
	s_and_b64 exec, exec, vcc
	s_cbranch_execz .LBB157_65
; %bb.60:
	v_mul_lo_u32 v4, v4, s10
	s_and_saveexec_b64 s[8:9], s[0:1]
	s_cbranch_execnz .LBB157_84
; %bb.61:
	s_or_b64 exec, exec, s[8:9]
	s_and_saveexec_b64 s[0:1], s[2:3]
	s_cbranch_execnz .LBB157_85
.LBB157_62:
	s_or_b64 exec, exec, s[0:1]
	s_and_saveexec_b64 s[0:1], s[4:5]
	s_cbranch_execnz .LBB157_86
.LBB157_63:
	s_or_b64 exec, exec, s[0:1]
	s_and_b64 exec, exec, s[6:7]
	s_cbranch_execz .LBB157_65
.LBB157_64:
	v_bfe_u32 v0, v15, 16, 1
	s_movk_i32 s0, 0x7fff
	v_add3_u32 v0, v15, v0, s0
	v_cmp_o_f32_e32 vcc, v15, v15
	v_mov_b32_e32 v1, 0x7fc0
	v_cndmask_b32_sdwa v2, v1, v0, vcc dst_sel:DWORD dst_unused:UNUSED_PAD src0_sel:DWORD src1_sel:WORD_1
	v_add_u32_e32 v0, v4, v3
	v_mov_b32_e32 v1, 0
	v_lshlrev_b64 v[0:1], 1, v[0:1]
	s_waitcnt lgkmcnt(0)
	v_mov_b32_e32 v3, s13
	v_add_co_u32_e32 v0, vcc, s12, v0
	v_addc_co_u32_e32 v1, vcc, v3, v1, vcc
	global_store_short v[0:1], v2, off
.LBB157_65:
	s_endpgm
.LBB157_66:
	v_bfe_u32 v5, v44, 16, 1
	s_movk_i32 s9, 0x7fff
	v_add3_u32 v5, v44, v5, s9
	v_cmp_o_f32_e32 vcc, v44, v44
	v_mov_b32_e32 v6, 0x7fc0
	v_cndmask_b32_sdwa v7, v6, v5, vcc dst_sel:DWORD dst_unused:UNUSED_PAD src0_sel:DWORD src1_sel:WORD_1
	v_add_u32_e32 v5, v4, v0
	v_mov_b32_e32 v6, 0
	v_lshlrev_b64 v[5:6], 1, v[5:6]
	s_waitcnt lgkmcnt(0)
	v_mov_b32_e32 v8, s13
	v_add_co_u32_e32 v5, vcc, s12, v5
	v_addc_co_u32_e32 v6, vcc, v8, v6, vcc
	global_store_short v[5:6], v7, off
	s_or_b64 exec, exec, s[14:15]
	s_and_saveexec_b64 s[14:15], s[2:3]
	s_cbranch_execz .LBB157_26
.LBB157_67:
	v_bfe_u32 v5, v43, 16, 1
	s_movk_i32 s9, 0x7fff
	v_add3_u32 v5, v43, v5, s9
	v_cmp_o_f32_e32 vcc, v43, v43
	v_mov_b32_e32 v6, 0x7fc0
	v_cndmask_b32_sdwa v7, v6, v5, vcc dst_sel:DWORD dst_unused:UNUSED_PAD src0_sel:DWORD src1_sel:WORD_1
	v_add_u32_e32 v5, v4, v1
	v_mov_b32_e32 v6, 0
	v_lshlrev_b64 v[5:6], 1, v[5:6]
	s_waitcnt lgkmcnt(0)
	v_mov_b32_e32 v8, s13
	v_add_co_u32_e32 v5, vcc, s12, v5
	v_addc_co_u32_e32 v6, vcc, v8, v6, vcc
	global_store_short v[5:6], v7, off
	s_or_b64 exec, exec, s[14:15]
	s_and_saveexec_b64 s[14:15], s[4:5]
	s_cbranch_execz .LBB157_27
.LBB157_68:
	v_bfe_u32 v5, v42, 16, 1
	s_movk_i32 s9, 0x7fff
	v_add3_u32 v5, v42, v5, s9
	v_cmp_o_f32_e32 vcc, v42, v42
	v_mov_b32_e32 v6, 0x7fc0
	v_cndmask_b32_sdwa v7, v6, v5, vcc dst_sel:DWORD dst_unused:UNUSED_PAD src0_sel:DWORD src1_sel:WORD_1
	v_add_u32_e32 v5, v4, v2
	v_mov_b32_e32 v6, 0
	v_lshlrev_b64 v[5:6], 1, v[5:6]
	s_waitcnt lgkmcnt(0)
	v_mov_b32_e32 v8, s13
	v_add_co_u32_e32 v5, vcc, s12, v5
	v_addc_co_u32_e32 v6, vcc, v8, v6, vcc
	global_store_short v[5:6], v7, off
	s_or_b64 exec, exec, s[14:15]
	s_and_saveexec_b64 s[14:15], s[6:7]
	s_cbranch_execnz .LBB157_28
	s_branch .LBB157_29
.LBB157_69:
	v_bfe_u32 v5, v39, 16, 1
	s_movk_i32 s9, 0x7fff
	v_add3_u32 v5, v39, v5, s9
	v_cmp_o_f32_e32 vcc, v39, v39
	v_mov_b32_e32 v6, 0x7fc0
	v_cndmask_b32_sdwa v7, v6, v5, vcc dst_sel:DWORD dst_unused:UNUSED_PAD src0_sel:DWORD src1_sel:WORD_1
	v_add_u32_e32 v5, v4, v0
	v_mov_b32_e32 v6, 0
	v_lshlrev_b64 v[5:6], 1, v[5:6]
	s_waitcnt lgkmcnt(0)
	v_mov_b32_e32 v8, s13
	v_add_co_u32_e32 v5, vcc, s12, v5
	v_addc_co_u32_e32 v6, vcc, v8, v6, vcc
	global_store_short v[5:6], v7, off
	s_or_b64 exec, exec, s[14:15]
	s_and_saveexec_b64 s[14:15], s[2:3]
	s_cbranch_execz .LBB157_32
.LBB157_70:
	v_bfe_u32 v5, v37, 16, 1
	s_movk_i32 s9, 0x7fff
	v_add3_u32 v5, v37, v5, s9
	v_cmp_o_f32_e32 vcc, v37, v37
	v_mov_b32_e32 v6, 0x7fc0
	v_cndmask_b32_sdwa v7, v6, v5, vcc dst_sel:DWORD dst_unused:UNUSED_PAD src0_sel:DWORD src1_sel:WORD_1
	v_add_u32_e32 v5, v4, v1
	v_mov_b32_e32 v6, 0
	v_lshlrev_b64 v[5:6], 1, v[5:6]
	s_waitcnt lgkmcnt(0)
	v_mov_b32_e32 v8, s13
	v_add_co_u32_e32 v5, vcc, s12, v5
	v_addc_co_u32_e32 v6, vcc, v8, v6, vcc
	global_store_short v[5:6], v7, off
	s_or_b64 exec, exec, s[14:15]
	s_and_saveexec_b64 s[14:15], s[4:5]
	s_cbranch_execz .LBB157_33
.LBB157_71:
	v_bfe_u32 v5, v36, 16, 1
	s_movk_i32 s9, 0x7fff
	v_add3_u32 v5, v36, v5, s9
	v_cmp_o_f32_e32 vcc, v36, v36
	v_mov_b32_e32 v6, 0x7fc0
	v_cndmask_b32_sdwa v7, v6, v5, vcc dst_sel:DWORD dst_unused:UNUSED_PAD src0_sel:DWORD src1_sel:WORD_1
	v_add_u32_e32 v5, v4, v2
	v_mov_b32_e32 v6, 0
	v_lshlrev_b64 v[5:6], 1, v[5:6]
	s_waitcnt lgkmcnt(0)
	v_mov_b32_e32 v8, s13
	v_add_co_u32_e32 v5, vcc, s12, v5
	v_addc_co_u32_e32 v6, vcc, v8, v6, vcc
	global_store_short v[5:6], v7, off
	s_or_b64 exec, exec, s[14:15]
	s_and_saveexec_b64 s[14:15], s[6:7]
	s_cbranch_execnz .LBB157_34
	s_branch .LBB157_35
.LBB157_72:
	v_bfe_u32 v5, v34, 16, 1
	s_movk_i32 s9, 0x7fff
	v_add3_u32 v5, v34, v5, s9
	v_cmp_o_f32_e32 vcc, v34, v34
	v_mov_b32_e32 v6, 0x7fc0
	v_cndmask_b32_sdwa v7, v6, v5, vcc dst_sel:DWORD dst_unused:UNUSED_PAD src0_sel:DWORD src1_sel:WORD_1
	v_add_u32_e32 v5, v4, v0
	v_mov_b32_e32 v6, 0
	v_lshlrev_b64 v[5:6], 1, v[5:6]
	s_waitcnt lgkmcnt(0)
	v_mov_b32_e32 v8, s13
	v_add_co_u32_e32 v5, vcc, s12, v5
	v_addc_co_u32_e32 v6, vcc, v8, v6, vcc
	global_store_short v[5:6], v7, off
	s_or_b64 exec, exec, s[14:15]
	s_and_saveexec_b64 s[14:15], s[2:3]
	s_cbranch_execz .LBB157_38
.LBB157_73:
	v_bfe_u32 v5, v33, 16, 1
	s_movk_i32 s9, 0x7fff
	v_add3_u32 v5, v33, v5, s9
	v_cmp_o_f32_e32 vcc, v33, v33
	v_mov_b32_e32 v6, 0x7fc0
	v_cndmask_b32_sdwa v7, v6, v5, vcc dst_sel:DWORD dst_unused:UNUSED_PAD src0_sel:DWORD src1_sel:WORD_1
	v_add_u32_e32 v5, v4, v1
	v_mov_b32_e32 v6, 0
	v_lshlrev_b64 v[5:6], 1, v[5:6]
	s_waitcnt lgkmcnt(0)
	v_mov_b32_e32 v8, s13
	v_add_co_u32_e32 v5, vcc, s12, v5
	v_addc_co_u32_e32 v6, vcc, v8, v6, vcc
	global_store_short v[5:6], v7, off
	s_or_b64 exec, exec, s[14:15]
	s_and_saveexec_b64 s[14:15], s[4:5]
	s_cbranch_execz .LBB157_39
.LBB157_74:
	v_bfe_u32 v5, v32, 16, 1
	s_movk_i32 s9, 0x7fff
	v_add3_u32 v5, v32, v5, s9
	v_cmp_o_f32_e32 vcc, v32, v32
	v_mov_b32_e32 v6, 0x7fc0
	v_cndmask_b32_sdwa v7, v6, v5, vcc dst_sel:DWORD dst_unused:UNUSED_PAD src0_sel:DWORD src1_sel:WORD_1
	v_add_u32_e32 v5, v4, v2
	v_mov_b32_e32 v6, 0
	v_lshlrev_b64 v[5:6], 1, v[5:6]
	s_waitcnt lgkmcnt(0)
	v_mov_b32_e32 v8, s13
	v_add_co_u32_e32 v5, vcc, s12, v5
	v_addc_co_u32_e32 v6, vcc, v8, v6, vcc
	global_store_short v[5:6], v7, off
	s_or_b64 exec, exec, s[14:15]
	s_and_saveexec_b64 s[14:15], s[6:7]
	s_cbranch_execnz .LBB157_40
	s_branch .LBB157_41
.LBB157_75:
	v_bfe_u32 v5, v30, 16, 1
	s_movk_i32 s9, 0x7fff
	v_add3_u32 v5, v30, v5, s9
	v_cmp_o_f32_e32 vcc, v30, v30
	v_mov_b32_e32 v6, 0x7fc0
	v_cndmask_b32_sdwa v7, v6, v5, vcc dst_sel:DWORD dst_unused:UNUSED_PAD src0_sel:DWORD src1_sel:WORD_1
	v_add_u32_e32 v5, v4, v0
	v_mov_b32_e32 v6, 0
	v_lshlrev_b64 v[5:6], 1, v[5:6]
	s_waitcnt lgkmcnt(0)
	v_mov_b32_e32 v8, s13
	v_add_co_u32_e32 v5, vcc, s12, v5
	v_addc_co_u32_e32 v6, vcc, v8, v6, vcc
	global_store_short v[5:6], v7, off
	s_or_b64 exec, exec, s[14:15]
	s_and_saveexec_b64 s[14:15], s[2:3]
	s_cbranch_execz .LBB157_44
.LBB157_76:
	v_bfe_u32 v5, v29, 16, 1
	s_movk_i32 s9, 0x7fff
	v_add3_u32 v5, v29, v5, s9
	v_cmp_o_f32_e32 vcc, v29, v29
	v_mov_b32_e32 v6, 0x7fc0
	v_cndmask_b32_sdwa v7, v6, v5, vcc dst_sel:DWORD dst_unused:UNUSED_PAD src0_sel:DWORD src1_sel:WORD_1
	v_add_u32_e32 v5, v4, v1
	v_mov_b32_e32 v6, 0
	v_lshlrev_b64 v[5:6], 1, v[5:6]
	s_waitcnt lgkmcnt(0)
	v_mov_b32_e32 v8, s13
	v_add_co_u32_e32 v5, vcc, s12, v5
	v_addc_co_u32_e32 v6, vcc, v8, v6, vcc
	global_store_short v[5:6], v7, off
	s_or_b64 exec, exec, s[14:15]
	s_and_saveexec_b64 s[14:15], s[4:5]
	s_cbranch_execz .LBB157_45
.LBB157_77:
	v_bfe_u32 v5, v28, 16, 1
	s_movk_i32 s9, 0x7fff
	v_add3_u32 v5, v28, v5, s9
	v_cmp_o_f32_e32 vcc, v28, v28
	v_mov_b32_e32 v6, 0x7fc0
	v_cndmask_b32_sdwa v7, v6, v5, vcc dst_sel:DWORD dst_unused:UNUSED_PAD src0_sel:DWORD src1_sel:WORD_1
	v_add_u32_e32 v5, v4, v2
	v_mov_b32_e32 v6, 0
	v_lshlrev_b64 v[5:6], 1, v[5:6]
	s_waitcnt lgkmcnt(0)
	v_mov_b32_e32 v8, s13
	v_add_co_u32_e32 v5, vcc, s12, v5
	v_addc_co_u32_e32 v6, vcc, v8, v6, vcc
	global_store_short v[5:6], v7, off
	s_or_b64 exec, exec, s[14:15]
	s_and_saveexec_b64 s[14:15], s[6:7]
	s_cbranch_execnz .LBB157_46
	s_branch .LBB157_47
.LBB157_78:
	v_bfe_u32 v5, v26, 16, 1
	s_movk_i32 s9, 0x7fff
	v_add3_u32 v5, v26, v5, s9
	v_cmp_o_f32_e32 vcc, v26, v26
	v_mov_b32_e32 v6, 0x7fc0
	v_cndmask_b32_sdwa v7, v6, v5, vcc dst_sel:DWORD dst_unused:UNUSED_PAD src0_sel:DWORD src1_sel:WORD_1
	v_add_u32_e32 v5, v4, v0
	v_mov_b32_e32 v6, 0
	v_lshlrev_b64 v[5:6], 1, v[5:6]
	s_waitcnt lgkmcnt(0)
	v_mov_b32_e32 v8, s13
	v_add_co_u32_e32 v5, vcc, s12, v5
	v_addc_co_u32_e32 v6, vcc, v8, v6, vcc
	global_store_short v[5:6], v7, off
	s_or_b64 exec, exec, s[14:15]
	s_and_saveexec_b64 s[14:15], s[2:3]
	s_cbranch_execz .LBB157_50
.LBB157_79:
	v_bfe_u32 v5, v25, 16, 1
	s_movk_i32 s9, 0x7fff
	v_add3_u32 v5, v25, v5, s9
	v_cmp_o_f32_e32 vcc, v25, v25
	v_mov_b32_e32 v6, 0x7fc0
	v_cndmask_b32_sdwa v7, v6, v5, vcc dst_sel:DWORD dst_unused:UNUSED_PAD src0_sel:DWORD src1_sel:WORD_1
	v_add_u32_e32 v5, v4, v1
	v_mov_b32_e32 v6, 0
	v_lshlrev_b64 v[5:6], 1, v[5:6]
	s_waitcnt lgkmcnt(0)
	v_mov_b32_e32 v8, s13
	v_add_co_u32_e32 v5, vcc, s12, v5
	v_addc_co_u32_e32 v6, vcc, v8, v6, vcc
	global_store_short v[5:6], v7, off
	s_or_b64 exec, exec, s[14:15]
	s_and_saveexec_b64 s[14:15], s[4:5]
	s_cbranch_execz .LBB157_51
.LBB157_80:
	v_bfe_u32 v5, v24, 16, 1
	s_movk_i32 s9, 0x7fff
	v_add3_u32 v5, v24, v5, s9
	v_cmp_o_f32_e32 vcc, v24, v24
	v_mov_b32_e32 v6, 0x7fc0
	v_cndmask_b32_sdwa v7, v6, v5, vcc dst_sel:DWORD dst_unused:UNUSED_PAD src0_sel:DWORD src1_sel:WORD_1
	v_add_u32_e32 v5, v4, v2
	v_mov_b32_e32 v6, 0
	v_lshlrev_b64 v[5:6], 1, v[5:6]
	s_waitcnt lgkmcnt(0)
	v_mov_b32_e32 v8, s13
	v_add_co_u32_e32 v5, vcc, s12, v5
	v_addc_co_u32_e32 v6, vcc, v8, v6, vcc
	global_store_short v[5:6], v7, off
	s_or_b64 exec, exec, s[14:15]
	s_and_saveexec_b64 s[14:15], s[6:7]
	s_cbranch_execnz .LBB157_52
	s_branch .LBB157_53
.LBB157_81:
	v_bfe_u32 v5, v22, 16, 1
	s_movk_i32 s9, 0x7fff
	v_add3_u32 v5, v22, v5, s9
	v_cmp_o_f32_e32 vcc, v22, v22
	v_mov_b32_e32 v6, 0x7fc0
	v_cndmask_b32_sdwa v7, v6, v5, vcc dst_sel:DWORD dst_unused:UNUSED_PAD src0_sel:DWORD src1_sel:WORD_1
	v_add_u32_e32 v5, v4, v0
	v_mov_b32_e32 v6, 0
	v_lshlrev_b64 v[5:6], 1, v[5:6]
	s_waitcnt lgkmcnt(0)
	v_mov_b32_e32 v8, s13
	v_add_co_u32_e32 v5, vcc, s12, v5
	v_addc_co_u32_e32 v6, vcc, v8, v6, vcc
	global_store_short v[5:6], v7, off
	s_or_b64 exec, exec, s[14:15]
	s_and_saveexec_b64 s[14:15], s[2:3]
	s_cbranch_execz .LBB157_56
.LBB157_82:
	v_bfe_u32 v5, v21, 16, 1
	s_movk_i32 s9, 0x7fff
	v_add3_u32 v5, v21, v5, s9
	v_cmp_o_f32_e32 vcc, v21, v21
	v_mov_b32_e32 v6, 0x7fc0
	v_cndmask_b32_sdwa v7, v6, v5, vcc dst_sel:DWORD dst_unused:UNUSED_PAD src0_sel:DWORD src1_sel:WORD_1
	v_add_u32_e32 v5, v4, v1
	v_mov_b32_e32 v6, 0
	v_lshlrev_b64 v[5:6], 1, v[5:6]
	s_waitcnt lgkmcnt(0)
	v_mov_b32_e32 v8, s13
	v_add_co_u32_e32 v5, vcc, s12, v5
	v_addc_co_u32_e32 v6, vcc, v8, v6, vcc
	global_store_short v[5:6], v7, off
	s_or_b64 exec, exec, s[14:15]
	s_and_saveexec_b64 s[14:15], s[4:5]
	s_cbranch_execz .LBB157_57
.LBB157_83:
	v_bfe_u32 v5, v20, 16, 1
	s_movk_i32 s9, 0x7fff
	v_add3_u32 v5, v20, v5, s9
	v_cmp_o_f32_e32 vcc, v20, v20
	v_mov_b32_e32 v6, 0x7fc0
	v_cndmask_b32_sdwa v7, v6, v5, vcc dst_sel:DWORD dst_unused:UNUSED_PAD src0_sel:DWORD src1_sel:WORD_1
	v_add_u32_e32 v5, v4, v2
	v_mov_b32_e32 v6, 0
	v_lshlrev_b64 v[5:6], 1, v[5:6]
	s_waitcnt lgkmcnt(0)
	v_mov_b32_e32 v8, s13
	v_add_co_u32_e32 v5, vcc, s12, v5
	v_addc_co_u32_e32 v6, vcc, v8, v6, vcc
	global_store_short v[5:6], v7, off
	s_or_b64 exec, exec, s[14:15]
	s_and_saveexec_b64 s[14:15], s[6:7]
	s_cbranch_execnz .LBB157_58
	s_branch .LBB157_59
.LBB157_84:
	v_bfe_u32 v5, v18, 16, 1
	s_movk_i32 s0, 0x7fff
	v_add3_u32 v5, v18, v5, s0
	v_cmp_o_f32_e32 vcc, v18, v18
	v_mov_b32_e32 v6, 0x7fc0
	v_cndmask_b32_sdwa v7, v6, v5, vcc dst_sel:DWORD dst_unused:UNUSED_PAD src0_sel:DWORD src1_sel:WORD_1
	v_add_u32_e32 v5, v4, v0
	v_mov_b32_e32 v6, 0
	v_lshlrev_b64 v[5:6], 1, v[5:6]
	s_waitcnt lgkmcnt(0)
	v_mov_b32_e32 v0, s13
	v_add_co_u32_e32 v5, vcc, s12, v5
	v_addc_co_u32_e32 v6, vcc, v0, v6, vcc
	global_store_short v[5:6], v7, off
	s_or_b64 exec, exec, s[8:9]
	s_and_saveexec_b64 s[0:1], s[2:3]
	s_cbranch_execz .LBB157_62
.LBB157_85:
	v_bfe_u32 v0, v17, 16, 1
	s_movk_i32 s2, 0x7fff
	v_add3_u32 v0, v17, v0, s2
	v_cmp_o_f32_e32 vcc, v17, v17
	v_mov_b32_e32 v5, 0x7fc0
	v_cndmask_b32_sdwa v5, v5, v0, vcc dst_sel:DWORD dst_unused:UNUSED_PAD src0_sel:DWORD src1_sel:WORD_1
	v_add_u32_e32 v0, v4, v1
	v_mov_b32_e32 v1, 0
	v_lshlrev_b64 v[0:1], 1, v[0:1]
	s_waitcnt lgkmcnt(0)
	v_mov_b32_e32 v6, s13
	v_add_co_u32_e32 v0, vcc, s12, v0
	v_addc_co_u32_e32 v1, vcc, v6, v1, vcc
	global_store_short v[0:1], v5, off
	s_or_b64 exec, exec, s[0:1]
	s_and_saveexec_b64 s[0:1], s[4:5]
	s_cbranch_execz .LBB157_63
.LBB157_86:
	v_bfe_u32 v0, v16, 16, 1
	s_movk_i32 s2, 0x7fff
	v_add3_u32 v0, v16, v0, s2
	v_cmp_o_f32_e32 vcc, v16, v16
	v_mov_b32_e32 v1, 0x7fc0
	v_cndmask_b32_sdwa v5, v1, v0, vcc dst_sel:DWORD dst_unused:UNUSED_PAD src0_sel:DWORD src1_sel:WORD_1
	v_add_u32_e32 v0, v4, v2
	v_mov_b32_e32 v1, 0
	v_lshlrev_b64 v[0:1], 1, v[0:1]
	s_waitcnt lgkmcnt(0)
	v_mov_b32_e32 v2, s13
	v_add_co_u32_e32 v0, vcc, s12, v0
	v_addc_co_u32_e32 v1, vcc, v2, v1, vcc
	global_store_short v[0:1], v5, off
	s_or_b64 exec, exec, s[0:1]
	s_and_b64 exec, exec, s[6:7]
	s_cbranch_execnz .LBB157_64
	s_branch .LBB157_65
	.section	.rodata,"a",@progbits
	.p2align	6, 0x0
	.amdhsa_kernel _ZL12mul_mat_q4_0IN3c108BFloat16ELb0EEvPKvS3_PT_iiiii
		.amdhsa_group_segment_fixed_size 30336
		.amdhsa_private_segment_fixed_size 116
		.amdhsa_kernarg_size 44
		.amdhsa_user_sgpr_count 6
		.amdhsa_user_sgpr_private_segment_buffer 1
		.amdhsa_user_sgpr_dispatch_ptr 0
		.amdhsa_user_sgpr_queue_ptr 0
		.amdhsa_user_sgpr_kernarg_segment_ptr 1
		.amdhsa_user_sgpr_dispatch_id 0
		.amdhsa_user_sgpr_flat_scratch_init 0
		.amdhsa_user_sgpr_private_segment_size 0
		.amdhsa_uses_dynamic_stack 0
		.amdhsa_system_sgpr_private_segment_wavefront_offset 1
		.amdhsa_system_sgpr_workgroup_id_x 1
		.amdhsa_system_sgpr_workgroup_id_y 1
		.amdhsa_system_sgpr_workgroup_id_z 0
		.amdhsa_system_sgpr_workgroup_info 0
		.amdhsa_system_vgpr_workitem_id 1
		.amdhsa_next_free_vgpr 128
		.amdhsa_next_free_sgpr 98
		.amdhsa_reserve_vcc 1
		.amdhsa_reserve_flat_scratch 0
		.amdhsa_float_round_mode_32 0
		.amdhsa_float_round_mode_16_64 0
		.amdhsa_float_denorm_mode_32 3
		.amdhsa_float_denorm_mode_16_64 3
		.amdhsa_dx10_clamp 1
		.amdhsa_ieee_mode 1
		.amdhsa_fp16_overflow 0
		.amdhsa_exception_fp_ieee_invalid_op 0
		.amdhsa_exception_fp_denorm_src 0
		.amdhsa_exception_fp_ieee_div_zero 0
		.amdhsa_exception_fp_ieee_overflow 0
		.amdhsa_exception_fp_ieee_underflow 0
		.amdhsa_exception_fp_ieee_inexact 0
		.amdhsa_exception_int_div_zero 0
	.end_amdhsa_kernel
	.section	.text._ZL12mul_mat_q4_0IN3c108BFloat16ELb0EEvPKvS3_PT_iiiii,"axG",@progbits,_ZL12mul_mat_q4_0IN3c108BFloat16ELb0EEvPKvS3_PT_iiiii,comdat
.Lfunc_end157:
	.size	_ZL12mul_mat_q4_0IN3c108BFloat16ELb0EEvPKvS3_PT_iiiii, .Lfunc_end157-_ZL12mul_mat_q4_0IN3c108BFloat16ELb0EEvPKvS3_PT_iiiii
                                        ; -- End function
	.set _ZL12mul_mat_q4_0IN3c108BFloat16ELb0EEvPKvS3_PT_iiiii.num_vgpr, 128
	.set _ZL12mul_mat_q4_0IN3c108BFloat16ELb0EEvPKvS3_PT_iiiii.num_agpr, 0
	.set _ZL12mul_mat_q4_0IN3c108BFloat16ELb0EEvPKvS3_PT_iiiii.numbered_sgpr, 24
	.set _ZL12mul_mat_q4_0IN3c108BFloat16ELb0EEvPKvS3_PT_iiiii.num_named_barrier, 0
	.set _ZL12mul_mat_q4_0IN3c108BFloat16ELb0EEvPKvS3_PT_iiiii.private_seg_size, 116
	.set _ZL12mul_mat_q4_0IN3c108BFloat16ELb0EEvPKvS3_PT_iiiii.uses_vcc, 1
	.set _ZL12mul_mat_q4_0IN3c108BFloat16ELb0EEvPKvS3_PT_iiiii.uses_flat_scratch, 0
	.set _ZL12mul_mat_q4_0IN3c108BFloat16ELb0EEvPKvS3_PT_iiiii.has_dyn_sized_stack, 0
	.set _ZL12mul_mat_q4_0IN3c108BFloat16ELb0EEvPKvS3_PT_iiiii.has_recursion, 0
	.set _ZL12mul_mat_q4_0IN3c108BFloat16ELb0EEvPKvS3_PT_iiiii.has_indirect_call, 0
	.section	.AMDGPU.csdata,"",@progbits
; Kernel info:
; codeLenInByte = 13816
; TotalNumSgprs: 28
; NumVgprs: 128
; ScratchSize: 116
; MemoryBound: 0
; FloatMode: 240
; IeeeMode: 1
; LDSByteSize: 30336 bytes/workgroup (compile time only)
; SGPRBlocks: 12
; VGPRBlocks: 31
; NumSGPRsForWavesPerEU: 102
; NumVGPRsForWavesPerEU: 128
; Occupancy: 2
; WaveLimiterHint : 0
; COMPUTE_PGM_RSRC2:SCRATCH_EN: 1
; COMPUTE_PGM_RSRC2:USER_SGPR: 6
; COMPUTE_PGM_RSRC2:TRAP_HANDLER: 0
; COMPUTE_PGM_RSRC2:TGID_X_EN: 1
; COMPUTE_PGM_RSRC2:TGID_Y_EN: 1
; COMPUTE_PGM_RSRC2:TGID_Z_EN: 0
; COMPUTE_PGM_RSRC2:TIDIG_COMP_CNT: 1
	.section	.text._ZL12mul_mat_q4_0IN3c108BFloat16ELb1EEvPKvS3_PT_iiiii,"axG",@progbits,_ZL12mul_mat_q4_0IN3c108BFloat16ELb1EEvPKvS3_PT_iiiii,comdat
	.globl	_ZL12mul_mat_q4_0IN3c108BFloat16ELb1EEvPKvS3_PT_iiiii ; -- Begin function _ZL12mul_mat_q4_0IN3c108BFloat16ELb1EEvPKvS3_PT_iiiii
	.p2align	8
	.type	_ZL12mul_mat_q4_0IN3c108BFloat16ELb1EEvPKvS3_PT_iiiii,@function
_ZL12mul_mat_q4_0IN3c108BFloat16ELb1EEvPKvS3_PT_iiiii: ; @_ZL12mul_mat_q4_0IN3c108BFloat16ELb1EEvPKvS3_PT_iiiii
; %bb.0:
	s_mov_b64 s[22:23], s[2:3]
	s_mov_b64 s[20:21], s[0:1]
	s_add_u32 s20, s20, s8
	s_addc_u32 s21, s21, 0
	buffer_store_dword v0, off, s[20:23], 0 offset:72 ; 4-byte Folded Spill
	s_load_dwordx4 s[8:11], s[4:5], 0x18
	s_load_dword s14, s[4:5], 0x28
	s_lshl_b32 s15, s7, 6
	v_add_u32_e32 v53, s15, v1
	buffer_store_dword v1, off, s[20:23], 0 offset:180 ; 4-byte Folded Spill
	s_waitcnt lgkmcnt(0)
	s_cmp_gt_i32 s8, 31
	s_cbranch_scc1 .LBB158_2
; %bb.1:
	buffer_load_dword v0, off, s[20:23], 0 offset:180 ; 4-byte Folded Reload
	s_mov_b64 s[0:1], 0
	s_waitcnt vmcnt(0)
	v_add_u32_e32 v0, s15, v0
	s_branch .LBB158_3
.LBB158_2:
	s_mov_b64 s[0:1], -1
                                        ; implicit-def: $vgpr0
.LBB158_3:
	s_load_dwordx2 s[12:13], s[4:5], 0x10
	s_lshl_b32 s6, s6, 7
	v_mov_b32_e32 v31, 0
	s_andn2_b64 vcc, exec, s[0:1]
	v_mov_b32_e32 v35, 0
	v_mov_b32_e32 v39, 0
	;; [unrolled: 1-line block ×31, first 2 shown]
	s_cbranch_vccnz .LBB158_15
; %bb.4:
	buffer_load_dword v41, off, s[20:23], 0 offset:72 ; 4-byte Folded Reload
	buffer_load_dword v2, off, s[20:23], 0 offset:180 ; 4-byte Folded Reload
	s_load_dwordx4 s[0:3], s[4:5], 0x0
	s_ashr_i32 s4, s8, 31
	s_lshr_b32 s4, s4, 27
	s_ashr_i32 s5, s11, 31
	s_add_i32 s4, s8, s4
	s_lshr_b32 s5, s5, 27
	s_ashr_i32 s4, s4, 5
	s_add_i32 s5, s11, s5
	s_ashr_i32 s11, s5, 5
	s_mul_i32 s5, s4, s6
	s_mul_hi_i32 s7, s5, 18
	s_mul_i32 s5, s5, 18
	s_waitcnt lgkmcnt(0)
	s_add_u32 s5, s0, s5
	s_addc_u32 s7, s1, s7
	s_not_b32 s0, s6
	s_add_i32 s1, s9, s0
	s_movk_i32 s0, 0x84
	v_add_u32_e32 v7, 16, v53
	v_cvt_f64_u32_e32 v[7:8], v7
	v_mov_b32_e32 v55, 0
	v_mov_b32_e32 v70, 0
	;; [unrolled: 1-line block ×17, first 2 shown]
	s_waitcnt vmcnt(1)
	v_lshlrev_b32_e32 v0, 2, v41
	s_waitcnt vmcnt(0)
	v_min_i32_e32 v1, s1, v2
	v_add_u32_e32 v9, 8, v2
	v_mul_lo_u32 v64, v1, s4
	v_mad_u64_u32 v[67:68], s[8:9], v1, s0, v[0:1]
	v_min_i32_e32 v1, s1, v9
	v_add_u32_e32 v10, 16, v2
	v_mul_lo_u32 v68, v1, s4
	v_mad_u64_u32 v[15:16], s[8:9], v1, s0, v[0:1]
	v_min_i32_e32 v1, s1, v10
	v_add_u32_e32 v13, 24, v2
	v_mul_lo_u32 v16, v1, s4
	v_mad_u64_u32 v[17:18], s[8:9], v1, s0, v[0:1]
	v_min_i32_e32 v1, s1, v13
	v_add_u32_e32 v14, 32, v2
	v_mov_b32_e32 v42, v2
	v_mul_lo_u32 v65, v1, s4
	v_mad_u64_u32 v[71:72], s[8:9], v1, s0, v[0:1]
	v_min_i32_e32 v1, s1, v14
	v_add_u32_e32 v27, 40, v42
	v_mul_lo_u32 v18, v1, s4
	v_mad_u64_u32 v[72:73], s[8:9], v1, s0, v[0:1]
	v_min_i32_e32 v1, s1, v27
	v_add_u32_e32 v28, 48, v42
	;; [unrolled: 4-line block ×3, first 2 shown]
	v_mul_lo_u32 v20, v1, s4
	v_mad_u64_u32 v[74:75], s[8:9], v1, s0, v[0:1]
	v_min_i32_e32 v1, s1, v29
	v_mul_lo_u32 v75, v1, s4
	v_mad_u64_u32 v[21:22], s[8:9], v1, s0, v[0:1]
	v_add_u32_e32 v1, 64, v42
	v_min_i32_e32 v1, s1, v1
	v_mul_lo_u32 v22, v1, s4
	v_mad_u64_u32 v[76:77], s[8:9], v1, s0, v[0:1]
	v_add_u32_e32 v1, 0x48, v42
	;; [unrolled: 4-line block ×8, first 2 shown]
	v_min_i32_e32 v1, s1, v1
	v_mul_lo_u32 v69, v1, s4
	v_mad_u64_u32 v[62:63], s[8:9], v1, s0, v[0:1]
	v_lshrrev_b32_e32 v1, 3, v41
	buffer_store_dword v1, off, s[20:23], 0 offset:92 ; 4-byte Folded Spill
	v_lshl_add_u32 v1, v42, 2, v1
	v_min_i32_e32 v2, s1, v1
	v_ashrrev_i32_e32 v3, 31, v2
	v_lshrrev_b32_e32 v3, 30, v3
	v_and_b32_e32 v114, 7, v41
	v_mul_lo_u32 v25, v2, s4
	v_add_u32_e32 v3, v2, v3
	v_lshlrev_b32_e32 v30, 5, v2
	v_add_u32_e32 v2, 32, v1
	v_and_b32_e32 v3, -4, v3
	v_lshlrev_b32_e32 v4, 2, v114
	s_movk_i32 s8, 0x6200
	v_min_i32_e32 v2, s1, v2
	v_add3_u32 v26, v3, v4, s8
	v_ashrrev_i32_e32 v3, 31, v2
	v_lshrrev_b32_e32 v3, 30, v3
	v_mul_lo_u32 v66, v2, s4
	v_add_u32_e32 v3, v2, v3
	v_lshlrev_b32_e32 v32, 5, v2
	v_add_u32_e32 v2, 64, v1
	v_and_b32_e32 v3, -4, v3
	v_min_i32_e32 v2, s1, v2
	v_add3_u32 v31, v3, v4, s8
	v_ashrrev_i32_e32 v3, 31, v2
	v_add_u32_e32 v1, 0x60, v1
	v_lshrrev_b32_e32 v3, 30, v3
	v_min_i32_e32 v1, s1, v1
	v_mul_lo_u32 v80, v2, s4
	v_add_u32_e32 v3, v2, v3
	v_lshlrev_b32_e32 v34, 5, v2
	v_ashrrev_i32_e32 v2, 31, v1
	v_lshrrev_b32_e32 v2, 30, v2
	v_and_b32_e32 v3, -4, v3
	v_add_u32_e32 v2, v1, v2
	v_lshrrev_b32_e32 v59, 2, v41
	v_and_b32_e32 v60, 12, v0
	v_add3_u32 v33, v3, v4, s8
	v_and_b32_e32 v2, -4, v2
	s_add_i32 s1, s10, -1
	v_and_b32_e32 v3, 31, v41
	v_and_b32_e32 v37, 28, v0
	v_mov_b32_e32 v0, 0x4200
	v_mul_lo_u32 v81, v1, s4
	v_add3_u32 v35, v2, v4, s8
	v_lshlrev_b32_e32 v36, 5, v1
	v_cvt_f64_i32_e32 v[1:2], s1
	v_lshl_or_b32 v43, v3, 2, v0
	v_lshl_add_u32 v0, v42, 3, v59
	v_cvt_f64_u32_e32 v[3:4], v53
	v_and_b32_e32 v11, 63, v0
	v_or_b32_e32 v5, s15, v11
	v_min_i32_e32 v12, s1, v5
	v_add_u32_e32 v5, 8, v53
	v_cvt_f64_u32_e32 v[5:6], v5
	v_min_f64 v[3:4], v[3:4], v[1:2]
	v_and_b32_e32 v0, 3, v41
	v_mad_u64_u32 v[38:39], s[8:9], v12, s11, v[0:1]
	v_min_f64 v[5:6], v[5:6], v[1:2]
	v_min_f64 v[7:8], v[7:8], v[1:2]
	v_lshlrev_b32_e32 v0, 2, v0
	v_lshl_or_b32 v0, v11, 4, v0
	v_cvt_i32_f64_e32 v3, v[3:4]
	v_add_u32_e32 v0, 0x7280, v0
	buffer_store_dword v38, off, s[20:23], 0 offset:112 ; 4-byte Folded Spill
	s_nop 0
	buffer_store_dword v39, off, s[20:23], 0 offset:116 ; 4-byte Folded Spill
	buffer_store_dword v0, off, s[20:23], 0 ; 4-byte Folded Spill
	v_cvt_i32_f64_e32 v0, v[5:6]
	v_mul_lo_u32 v3, s11, v3
	v_lshlrev_b32_e32 v38, 7, v9
	v_lshlrev_b32_e32 v39, 7, v10
	v_mul_lo_u32 v0, s11, v0
	buffer_store_dword v3, off, s[20:23], 0 offset:4 ; 4-byte Folded Spill
	v_cvt_i32_f64_e32 v3, v[7:8]
	v_lshlrev_b32_e32 v44, 7, v42
	buffer_store_dword v0, off, s[20:23], 0 offset:8 ; 4-byte Folded Spill
	buffer_store_dword v53, off, s[20:23], 0 offset:184 ; 4-byte Folded Spill
	v_mul_lo_u32 v0, s11, v3
	s_add_i32 s8, s4, 3
	s_mov_b32 s9, 0
	v_mov_b32_e32 v63, 0
	buffer_store_dword v0, off, s[20:23], 0 offset:12 ; 4-byte Folded Spill
	v_add_u32_e32 v0, 24, v53
	v_cvt_f64_u32_e32 v[3:4], v0
	v_add_u32_e32 v0, 32, v53
	v_cvt_f64_u32_e32 v[5:6], v0
	v_add_u32_e32 v0, 40, v53
	v_min_f64 v[3:4], v[3:4], v[1:2]
	v_cvt_f64_u32_e32 v[7:8], v0
	v_add_u32_e32 v0, 48, v53
	v_cvt_f64_u32_e32 v[9:10], v0
	v_min_f64 v[5:6], v[5:6], v[1:2]
	v_min_f64 v[7:8], v[7:8], v[1:2]
	v_add_u32_e32 v0, 56, v53
	v_cvt_f64_u32_e32 v[11:12], v0
	v_cvt_i32_f64_e32 v40, v[3:4]
	v_min_f64 v[3:4], v[9:10], v[1:2]
	v_min_f64 v[0:1], v[11:12], v[1:2]
	v_cvt_i32_f64_e32 v5, v[5:6]
	v_cvt_i32_f64_e32 v6, v[7:8]
	v_add_u32_e32 v7, 0x60, v41
	v_and_b32_e32 v7, 0x1fc, v7
	v_mul_lo_u32 v2, s11, v40
	v_cvt_i32_f64_e32 v3, v[3:4]
	v_mul_lo_u32 v4, s11, v6
	v_cvt_i32_f64_e32 v0, v[0:1]
	v_lshlrev_b32_e32 v1, 7, v27
	v_mul_lo_u32 v3, s11, v3
	buffer_store_dword v4, off, s[20:23], 0 offset:24 ; 4-byte Folded Spill
	v_add_u32_e32 v4, 32, v41
	v_lshrrev_b32_e32 v8, 3, v4
	buffer_store_dword v8, off, s[20:23], 0 offset:156 ; 4-byte Folded Spill
	v_mov_b32_e32 v8, s3
	v_add_co_u32_e32 v27, vcc, s2, v37
	buffer_store_dword v3, off, s[20:23], 0 offset:28 ; 4-byte Folded Spill
	v_lshlrev_b32_e32 v3, 7, v28
	v_add_u32_e32 v6, 64, v41
	v_addc_co_u32_e32 v28, vcc, 0, v8, vcc
	v_lshlrev_b32_e32 v8, 5, v41
	v_add_u32_e32 v7, v8, v7
	v_and_b32_e32 v6, 0x1fc, v6
	v_add_u32_e32 v9, 0x6e00, v7
	v_add_u32_e32 v6, v8, v6
	v_and_b32_e32 v4, 0x1fc, v4
	buffer_store_dword v9, off, s[20:23], 0 offset:124 ; 4-byte Folded Spill
	v_add_u32_e32 v9, 0x6a00, v6
	v_add_u32_e32 v4, v8, v4
	buffer_store_dword v9, off, s[20:23], 0 offset:128 ; 4-byte Folded Spill
	v_add_u32_e32 v9, 0x6600, v4
	buffer_store_dword v9, off, s[20:23], 0 offset:132 ; 4-byte Folded Spill
	v_and_b32_e32 v9, 0xfc, v41
	v_mul_lo_u32 v5, s11, v5
	v_mul_lo_u32 v0, s11, v0
	v_add_u32_e32 v8, v8, v9
	v_add_u32_e32 v9, 0x6200, v8
	buffer_store_dword v9, off, s[20:23], 0 offset:136 ; 4-byte Folded Spill
	v_mov_b32_e32 v9, 0x7280
	v_lshl_add_u32 v9, v42, 4, v9
	buffer_store_dword v2, off, s[20:23], 0 offset:16 ; 4-byte Folded Spill
	buffer_store_dword v5, off, s[20:23], 0 offset:20 ; 4-byte Folded Spill
	;; [unrolled: 1-line block ×5, first 2 shown]
	v_add_u32_e32 v9, 0x4200, v44
	v_lshlrev_b32_e32 v2, 7, v13
	buffer_store_dword v9, off, s[20:23], 0 offset:40 ; 4-byte Folded Spill
	v_mad_u32_u24 v9, v41, s0, 64
	v_lshlrev_b32_e32 v5, 7, v14
	buffer_store_dword v9, off, s[20:23], 0 offset:160 ; 4-byte Folded Spill
	v_add_u32_e32 v4, 0x6610, v4
	v_add_u32_e32 v9, v43, v38
	;; [unrolled: 1-line block ×4, first 2 shown]
	v_lshlrev_b32_e32 v0, 7, v29
	v_add_u32_e32 v7, 0x6e10, v7
	v_add_u32_e32 v6, 0x6a10, v6
	buffer_store_dword v4, off, s[20:23], 0 offset:172 ; 4-byte Folded Spill
	v_add_u32_e32 v4, 0x6210, v8
	buffer_store_dword v9, off, s[20:23], 0 offset:44 ; 4-byte Folded Spill
	;; [unrolled: 2-line block ×5, first 2 shown]
	buffer_store_dword v6, off, s[20:23], 0 offset:168 ; 4-byte Folded Spill
	buffer_store_dword v4, off, s[20:23], 0 offset:176 ; 4-byte Folded Spill
	v_add_u32_e32 v4, v26, v30
	v_add_u32_e32 v6, v31, v32
	;; [unrolled: 1-line block ×4, first 2 shown]
	buffer_store_dword v9, off, s[20:23], 0 offset:48 ; 4-byte Folded Spill
	buffer_store_dword v2, off, s[20:23], 0 offset:56 ; 4-byte Folded Spill
	;; [unrolled: 1-line block ×4, first 2 shown]
	v_add_u32_e32 v0, v43, v0
	v_mov_b32_e32 v42, 0
	v_mov_b32_e32 v38, 0
	;; [unrolled: 1-line block ×14, first 2 shown]
	buffer_store_dword v0, off, s[20:23], 0 offset:68 ; 4-byte Folded Spill
	buffer_store_dword v61, off, s[20:23], 0 offset:76 ; 4-byte Folded Spill
	s_nop 0
	buffer_store_dword v62, off, s[20:23], 0 offset:80 ; 4-byte Folded Spill
	buffer_store_dword v62, off, s[20:23], 0 offset:84 ; 4-byte Folded Spill
	s_nop 0
	buffer_store_dword v63, off, s[20:23], 0 offset:88 ; 4-byte Folded Spill
	buffer_store_dword v66, off, s[20:23], 0 offset:96 ; 4-byte Folded Spill
	;; [unrolled: 1-line block ×8, first 2 shown]
	s_branch .LBB158_7
.LBB158_5:                              ;   in Loop: Header=BB158_7 Depth=1
	v_mov_b32_e32 v59, v66
	buffer_load_dword v61, off, s[20:23], 0 offset:76 ; 4-byte Folded Reload
	buffer_load_dword v62, off, s[20:23], 0 offset:80 ; 4-byte Folded Reload
	;; [unrolled: 1-line block ×11, first 2 shown]
	s_waitcnt vmcnt(8)
	v_mov_b32_e32 v62, v0
.LBB158_6:                              ;   in Loop: Header=BB158_7 Depth=1
	s_add_i32 s9, s9, 8
	s_add_i32 s8, s8, -8
	s_cmp_ge_i32 s9, s4
	s_cbranch_scc1 .LBB158_14
.LBB158_7:                              ; =>This Loop Header: Depth=1
                                        ;     Child Loop BB158_9 Depth 2
                                        ;     Child Loop BB158_12 Depth 2
	s_mul_i32 s0, s9, 18
	s_mul_hi_u32 s1, s9, 18
	s_add_u32 s0, s5, s0
	s_addc_u32 s1, s7, s1
	v_mad_u64_u32 v[2:3], s[16:17], v59, 18, s[0:1]
	s_cmp_gt_u32 s8, 3
	s_waitcnt vmcnt(7)
	v_mad_i64_i32 v[0:1], s[16:17], v64, 18, v[2:3]
	v_add_co_u32_e32 v0, vcc, v0, v60
	v_addc_co_u32_e32 v1, vcc, 0, v1, vcc
	global_load_dword v0, v[0:1], off offset:2
	s_waitcnt vmcnt(0)
	ds_write_b32 v67, v0
	v_mad_i64_i32 v[0:1], s[16:17], v68, 18, v[2:3]
	v_add_co_u32_e32 v0, vcc, v0, v60
	v_addc_co_u32_e32 v1, vcc, 0, v1, vcc
	global_load_dword v0, v[0:1], off offset:2
	s_waitcnt vmcnt(0)
	ds_write_b32 v15, v0
	;; [unrolled: 6-line block ×16, first 2 shown]
	v_mad_u64_u32 v[0:1], s[0:1], v114, 18, s[0:1]
	v_mad_i64_i32 v[2:3], s[0:1], v25, 18, v[0:1]
	global_load_ushort v2, v[2:3], off
	s_waitcnt vmcnt(0)
	v_cvt_f32_f16_e32 v2, v2
	ds_write_b32 v4, v2
	v_mad_i64_i32 v[2:3], s[0:1], v66, 18, v[0:1]
	global_load_ushort v2, v[2:3], off
	s_waitcnt vmcnt(0)
	v_cvt_f32_f16_e32 v2, v2
	ds_write_b32 v6, v2
	v_mad_i64_i32 v[2:3], s[0:1], v80, 18, v[0:1]
	v_mad_i64_i32 v[0:1], s[0:1], v81, 18, v[0:1]
	global_load_ushort v2, v[2:3], off
	s_nop 0
	global_load_ushort v0, v[0:1], off
	s_waitcnt vmcnt(1)
	v_cvt_f32_f16_e32 v2, v2
	s_waitcnt vmcnt(0)
	v_cvt_f32_f16_e32 v0, v0
	ds_write_b32 v7, v2
	ds_write_b32 v8, v0
	s_cbranch_scc0 .LBB158_6
; %bb.8:                                ;   in Loop: Header=BB158_7 Depth=1
	buffer_load_dword v0, off, s[20:23], 0 offset:112 ; 4-byte Folded Reload
	buffer_load_dword v1, off, s[20:23], 0 offset:116 ; 4-byte Folded Reload
	v_mov_b32_e32 v66, v59
	s_waitcnt vmcnt(1)
	v_add_u32_e32 v122, s9, v0
	buffer_load_dword v0, off, s[20:23], 0 offset:92 ; 4-byte Folded Reload
	s_waitcnt vmcnt(0)
	v_add_u32_e32 v2, s9, v0
	buffer_load_dword v0, off, s[20:23], 0 offset:4 ; 4-byte Folded Reload
	s_waitcnt vmcnt(0)
	v_add_u32_e32 v0, v2, v0
	v_mad_i64_i32 v[0:1], s[0:1], v0, 36, v[27:28]
	global_load_dword v0, v[0:1], off offset:4
	s_nop 0
	buffer_load_dword v1, off, s[20:23], 0 offset:108 ; 4-byte Folded Reload
	buffer_load_dword v3, off, s[20:23], 0 offset:120 ; 4-byte Folded Reload
	s_waitcnt vmcnt(0)
	v_add_u32_e32 v123, v1, v3
	ds_write_b32 v123, v0
	buffer_load_dword v0, off, s[20:23], 0 offset:8 ; 4-byte Folded Reload
	s_waitcnt vmcnt(0)
	v_add_u32_e32 v0, v2, v0
	v_mad_i64_i32 v[0:1], s[0:1], v0, 36, v[27:28]
	global_load_dword v0, v[0:1], off offset:4
	s_nop 0
	buffer_load_dword v1, off, s[20:23], 0 offset:44 ; 4-byte Folded Reload
	s_waitcnt vmcnt(0)
	ds_write_b32 v1, v0
	buffer_load_dword v0, off, s[20:23], 0 offset:12 ; 4-byte Folded Reload
	s_waitcnt vmcnt(0)
	v_add_u32_e32 v0, v2, v0
	v_mad_i64_i32 v[0:1], s[0:1], v0, 36, v[27:28]
	global_load_dword v0, v[0:1], off offset:4
	s_nop 0
	buffer_load_dword v1, off, s[20:23], 0 offset:48 ; 4-byte Folded Reload
	s_waitcnt vmcnt(0)
	;; [unrolled: 9-line block ×7, first 2 shown]
	ds_write_b32 v1, v0
	v_mad_u64_u32 v[0:1], s[0:1], v122, 36, s[2:3]
	s_mov_b32 s0, -4
	global_load_dword v0, v[0:1], off
	s_nop 0
	buffer_load_dword v1, off, s[20:23], 0  ; 4-byte Folded Reload
	s_waitcnt vmcnt(0)
	ds_write_b32 v1, v0
	s_waitcnt lgkmcnt(0)
	s_barrier
	buffer_load_dword v124, off, s[20:23], 0 offset:40 ; 4-byte Folded Reload
	buffer_load_dword v125, off, s[20:23], 0 offset:36 ; 4-byte Folded Reload
	;; [unrolled: 1-line block ×7, first 2 shown]
	s_waitcnt vmcnt(0)
	v_mul_u32_u24_e32 v99, 0x84, v0
.LBB158_9:                              ;   Parent Loop BB158_7 Depth=1
                                        ; =>  This Inner Loop Header: Depth=2
	ds_read_b128 v[2:5], v124
	ds_read_b128 v[6:9], v124 offset:16
	ds_read2_b32 v[29:30], v125 offset1:32
	s_add_i32 s0, s0, 4
	s_cmp_lt_u32 s0, 12
	s_waitcnt lgkmcnt(0)
	v_cvt_f32_f16_sdwa v0, v29 dst_sel:DWORD dst_unused:UNUSED_PAD src0_sel:WORD_1
	v_mul_f32_e32 v62, 0x41000000, v0
	ds_read_b32 v106, v126
	ds_read2_b32 v[0:1], v99 offset1:1
	v_add_u32_e32 v126, 4, v126
	s_waitcnt lgkmcnt(0)
	v_and_b32_e32 v107, 0xf0f0f0f, v0
	v_lshrrev_b32_e32 v0, 4, v0
	v_and_b32_e32 v108, 0xf0f0f0f, v0
	v_dot4_i32_i8 v0, v107, v2, 0
	v_dot4_i32_i8 v0, v108, v6, v0
	v_and_b32_e32 v109, 0xf0f0f0f, v1
	v_lshrrev_b32_e32 v1, 4, v1
	v_and_b32_e32 v110, 0xf0f0f0f, v1
	v_dot4_i32_i8 v0, v109, v3, v0
	v_dot4_i32_i8 v10, v110, v7, v0
	ds_read2_b32 v[0:1], v99 offset0:2 offset1:3
	s_waitcnt lgkmcnt(0)
	v_and_b32_e32 v53, 0xf0f0f0f, v0
	v_lshrrev_b32_e32 v0, 4, v0
	v_and_b32_e32 v105, 0xf0f0f0f, v0
	v_dot4_i32_i8 v0, v53, v4, v10
	v_dot4_i32_i8 v0, v105, v8, v0
	v_and_b32_e32 v59, 0xf0f0f0f, v1
	v_lshrrev_b32_e32 v1, 4, v1
	v_and_b32_e32 v80, 0xf0f0f0f, v1
	v_dot4_i32_i8 v0, v59, v5, v0
	v_dot4_i32_i8 v0, v80, v9, v0
	v_cvt_f32_i32_e32 v0, v0
	v_fma_mix_f32 v0, v29, v0, -v62 op_sel_hi:[1,0,0]
	v_fmac_f32_e32 v55, v106, v0
	v_add_u32_e32 v0, 0x1080, v99
	ds_read_b32 v26, v127
	ds_read2_b32 v[0:1], v0 offset1:1
	v_add_u32_e32 v127, 4, v127
	s_waitcnt lgkmcnt(0)
	v_and_b32_e32 v102, 0xf0f0f0f, v1
	v_lshrrev_b32_e32 v1, 4, v1
	v_and_b32_e32 v103, 0xf0f0f0f, v1
	v_add_u32_e32 v1, 0x1088, v99
	ds_read2_b32 v[10:11], v1 offset1:1
	v_and_b32_e32 v91, 0xf0f0f0f, v0
	v_lshrrev_b32_e32 v0, 4, v0
	v_and_b32_e32 v81, 0xf0f0f0f, v0
	v_dot4_i32_i8 v0, v91, v2, 0
	v_dot4_i32_i8 v0, v81, v6, v0
	;; [unrolled: 1-line block ×4, first 2 shown]
	s_waitcnt lgkmcnt(0)
	v_and_b32_e32 v87, 0xf0f0f0f, v10
	v_lshrrev_b32_e32 v1, 4, v10
	v_and_b32_e32 v89, 0xf0f0f0f, v1
	v_dot4_i32_i8 v0, v87, v4, v0
	v_dot4_i32_i8 v0, v89, v8, v0
	v_and_b32_e32 v1, 0xf0f0f0f, v11
	v_lshrrev_b32_e32 v10, 4, v11
	v_and_b32_e32 v90, 0xf0f0f0f, v10
	v_dot4_i32_i8 v0, v1, v5, v0
	v_dot4_i32_i8 v0, v90, v9, v0
	v_cvt_f32_i32_e32 v0, v0
	v_fma_mix_f32 v0, v29, v0, -v62 op_sel_hi:[1,0,0]
	v_fmac_f32_e32 v88, v26, v0
	v_add_u32_e32 v0, 0x2100, v99
	ds_read_b32 v92, v101
	ds_read2_b32 v[10:11], v0 offset1:1
	v_add_u32_e32 v101, 4, v101
	s_waitcnt lgkmcnt(0)
	v_and_b32_e32 v93, 0xf0f0f0f, v10
	v_lshrrev_b32_e32 v0, 4, v10
	v_lshrrev_b32_e32 v10, 4, v11
	v_and_b32_e32 v96, 0xf0f0f0f, v10
	v_add_u32_e32 v10, 0x2108, v99
	v_and_b32_e32 v95, 0xf0f0f0f, v11
	ds_read2_b32 v[10:11], v10 offset1:1
	v_and_b32_e32 v94, 0xf0f0f0f, v0
	v_dot4_i32_i8 v0, v93, v2, 0
	v_dot4_i32_i8 v0, v94, v6, v0
	v_dot4_i32_i8 v0, v95, v3, v0
	v_dot4_i32_i8 v0, v96, v7, v0
	s_waitcnt lgkmcnt(0)
	v_and_b32_e32 v98, 0xf0f0f0f, v10
	v_lshrrev_b32_e32 v10, 4, v10
	v_and_b32_e32 v115, 0xf0f0f0f, v10
	v_dot4_i32_i8 v0, v98, v4, v0
	v_dot4_i32_i8 v0, v115, v8, v0
	v_and_b32_e32 v116, 0xf0f0f0f, v11
	v_lshrrev_b32_e32 v10, 4, v11
	v_and_b32_e32 v117, 0xf0f0f0f, v10
	v_dot4_i32_i8 v0, v116, v5, v0
	v_dot4_i32_i8 v0, v117, v9, v0
	v_cvt_f32_i32_e32 v0, v0
	v_fma_mix_f32 v0, v29, v0, -v62 op_sel_hi:[1,0,0]
	v_fmac_f32_e32 v84, v92, v0
	v_add_u32_e32 v0, 0x3180, v99
	ds_read_b32 v97, v100
	ds_read2_b32 v[10:11], v0 offset1:1
	v_add_u32_e32 v100, 4, v100
	s_waitcnt lgkmcnt(0)
	v_and_b32_e32 v61, 0xf0f0f0f, v10
	v_lshrrev_b32_e32 v0, 4, v10
	v_and_b32_e32 v0, 0xf0f0f0f, v0
	v_dot4_i32_i8 v2, v61, v2, 0
	v_dot4_i32_i8 v2, v0, v6, v2
	v_and_b32_e32 v121, 0xf0f0f0f, v11
	v_lshrrev_b32_e32 v6, 4, v11
	v_and_b32_e32 v118, 0xf0f0f0f, v6
	v_dot4_i32_i8 v2, v121, v3, v2
	v_dot4_i32_i8 v6, v118, v7, v2
	v_add_u32_e32 v2, 0x3188, v99
	ds_read2_b32 v[2:3], v2 offset1:1
	v_cvt_f32_f16_sdwa v11, v30 dst_sel:DWORD dst_unused:UNUSED_PAD src0_sel:WORD_1
	v_add_u32_e32 v99, 16, v99
	s_waitcnt lgkmcnt(0)
	v_and_b32_e32 v10, 0xf0f0f0f, v2
	v_lshrrev_b32_e32 v2, 4, v2
	v_and_b32_e32 v104, 0xf0f0f0f, v2
	v_dot4_i32_i8 v2, v10, v4, v6
	v_dot4_i32_i8 v2, v104, v8, v2
	v_and_b32_e32 v119, 0xf0f0f0f, v3
	v_lshrrev_b32_e32 v3, 4, v3
	v_and_b32_e32 v120, 0xf0f0f0f, v3
	v_dot4_i32_i8 v2, v119, v5, v2
	v_dot4_i32_i8 v2, v120, v9, v2
	v_cvt_f32_i32_e32 v2, v2
	v_mul_f32_e32 v11, 0x41000000, v11
	v_fma_mix_f32 v2, v29, v2, -v62 op_sel_hi:[1,0,0]
	v_fmac_f32_e32 v78, v97, v2
	ds_read_b128 v[2:5], v124 offset:1024
	ds_read_b128 v[6:9], v124 offset:1040
	s_waitcnt lgkmcnt(1)
	v_dot4_i32_i8 v12, v107, v2, 0
	s_waitcnt lgkmcnt(0)
	v_dot4_i32_i8 v12, v108, v6, v12
	v_dot4_i32_i8 v12, v109, v3, v12
	;; [unrolled: 1-line block ×7, first 2 shown]
	v_cvt_f32_i32_e32 v12, v12
	v_fma_mix_f32 v12, v12, v30, -v11 op_sel_hi:[0,1,0]
	v_fmac_f32_e32 v70, v106, v12
	v_dot4_i32_i8 v12, v91, v2, 0
	v_dot4_i32_i8 v12, v81, v6, v12
	;; [unrolled: 1-line block ×8, first 2 shown]
	v_cvt_f32_i32_e32 v12, v12
	v_fma_mix_f32 v12, v12, v30, -v11 op_sel_hi:[0,1,0]
	v_fmac_f32_e32 v63, v26, v12
	v_dot4_i32_i8 v12, v93, v2, 0
	v_dot4_i32_i8 v2, v61, v2, 0
	;; [unrolled: 1-line block ×16, first 2 shown]
	v_cvt_f32_i32_e32 v12, v12
	v_cvt_f32_i32_e32 v2, v2
	v_fma_mix_f32 v12, v12, v30, -v11 op_sel_hi:[0,1,0]
	v_fma_mix_f32 v2, v2, v30, -v11 op_sel_hi:[0,1,0]
	v_fmac_f32_e32 v58, v92, v12
	v_fmac_f32_e32 v57, v97, v2
	ds_read_b128 v[4:7], v124 offset:2048
	ds_read_b128 v[11:14], v124 offset:2064
	ds_read2_b32 v[2:3], v125 offset0:64 offset1:96
	s_waitcnt lgkmcnt(2)
	v_dot4_i32_i8 v9, v107, v4, 0
	s_waitcnt lgkmcnt(1)
	v_dot4_i32_i8 v9, v108, v11, v9
	v_dot4_i32_i8 v9, v109, v5, v9
	;; [unrolled: 1-line block ×6, first 2 shown]
	s_waitcnt lgkmcnt(0)
	v_cvt_f32_f16_sdwa v8, v2 dst_sel:DWORD dst_unused:UNUSED_PAD src0_sel:WORD_1
	v_dot4_i32_i8 v9, v80, v14, v9
	v_cvt_f32_i32_e32 v9, v9
	v_mul_f32_e32 v8, 0x41000000, v8
	v_fma_mix_f32 v9, v9, v2, -v8 op_sel_hi:[0,1,0]
	v_fmac_f32_e32 v56, v106, v9
	v_dot4_i32_i8 v9, v91, v4, 0
	v_dot4_i32_i8 v9, v81, v11, v9
	;; [unrolled: 1-line block ×8, first 2 shown]
	v_cvt_f32_i32_e32 v9, v9
	v_fma_mix_f32 v9, v9, v2, -v8 op_sel_hi:[0,1,0]
	v_fmac_f32_e32 v54, v26, v9
	v_dot4_i32_i8 v9, v93, v4, 0
	v_dot4_i32_i8 v4, v61, v4, 0
	;; [unrolled: 1-line block ×16, first 2 shown]
	v_cvt_f32_i32_e32 v9, v9
	v_cvt_f32_i32_e32 v4, v4
	v_fma_mix_f32 v9, v9, v2, -v8 op_sel_hi:[0,1,0]
	v_fma_mix_f32 v2, v4, v2, -v8 op_sel_hi:[0,1,0]
	ds_read_b128 v[4:7], v124 offset:3072
	ds_read_b128 v[11:14], v124 offset:3088
	v_fmac_f32_e32 v51, v97, v2
	v_cvt_f32_f16_sdwa v2, v3 dst_sel:DWORD dst_unused:UNUSED_PAD src0_sel:WORD_1
	v_fmac_f32_e32 v52, v92, v9
	s_waitcnt lgkmcnt(1)
	v_dot4_i32_i8 v8, v107, v4, 0
	s_waitcnt lgkmcnt(0)
	v_dot4_i32_i8 v8, v108, v11, v8
	v_dot4_i32_i8 v8, v109, v5, v8
	;; [unrolled: 1-line block ×7, first 2 shown]
	v_cvt_f32_i32_e32 v8, v8
	v_mul_f32_e32 v2, 0x41000000, v2
	v_fma_mix_f32 v8, v8, v3, -v2 op_sel_hi:[0,1,0]
	v_fmac_f32_e32 v50, v106, v8
	v_dot4_i32_i8 v8, v91, v4, 0
	v_dot4_i32_i8 v8, v81, v11, v8
	;; [unrolled: 1-line block ×8, first 2 shown]
	v_cvt_f32_i32_e32 v8, v8
	v_fma_mix_f32 v8, v8, v3, -v2 op_sel_hi:[0,1,0]
	v_fmac_f32_e32 v49, v26, v8
	v_dot4_i32_i8 v8, v93, v4, 0
	v_dot4_i32_i8 v4, v61, v4, 0
	;; [unrolled: 1-line block ×16, first 2 shown]
	v_cvt_f32_i32_e32 v8, v8
	v_cvt_f32_i32_e32 v4, v4
	v_fma_mix_f32 v8, v8, v3, -v2 op_sel_hi:[0,1,0]
	v_fma_mix_f32 v2, v4, v3, -v2 op_sel_hi:[0,1,0]
	v_fmac_f32_e32 v48, v92, v8
	v_fmac_f32_e32 v47, v97, v2
	ds_read_b128 v[2:5], v124 offset:4096
	ds_read_b128 v[6:9], v124 offset:4112
	ds_read2_b32 v[29:30], v125 offset0:128 offset1:160
	s_waitcnt lgkmcnt(2)
	v_dot4_i32_i8 v12, v107, v2, 0
	s_waitcnt lgkmcnt(1)
	v_dot4_i32_i8 v12, v108, v6, v12
	v_dot4_i32_i8 v12, v109, v3, v12
	;; [unrolled: 1-line block ×6, first 2 shown]
	s_waitcnt lgkmcnt(0)
	v_cvt_f32_f16_sdwa v11, v29 dst_sel:DWORD dst_unused:UNUSED_PAD src0_sel:WORD_1
	v_dot4_i32_i8 v12, v80, v9, v12
	v_cvt_f32_i32_e32 v12, v12
	v_mul_f32_e32 v11, 0x41000000, v11
	v_fma_mix_f32 v12, v12, v29, -v11 op_sel_hi:[0,1,0]
	v_fmac_f32_e32 v46, v106, v12
	v_dot4_i32_i8 v12, v91, v2, 0
	v_dot4_i32_i8 v12, v81, v6, v12
	;; [unrolled: 1-line block ×8, first 2 shown]
	v_cvt_f32_i32_e32 v12, v12
	v_fma_mix_f32 v12, v12, v29, -v11 op_sel_hi:[0,1,0]
	v_fmac_f32_e32 v45, v26, v12
	v_dot4_i32_i8 v12, v93, v2, 0
	v_dot4_i32_i8 v2, v61, v2, 0
	;; [unrolled: 1-line block ×16, first 2 shown]
	v_cvt_f32_i32_e32 v2, v2
	v_cvt_f32_i32_e32 v12, v12
	v_fma_mix_f32 v2, v2, v29, -v11 op_sel_hi:[0,1,0]
	v_fma_mix_f32 v12, v12, v29, -v11 op_sel_hi:[0,1,0]
	v_fmac_f32_e32 v43, v97, v2
	ds_read_b128 v[2:5], v124 offset:5120
	ds_read_b128 v[6:9], v124 offset:5136
	v_cvt_f32_f16_sdwa v11, v30 dst_sel:DWORD dst_unused:UNUSED_PAD src0_sel:WORD_1
	v_fmac_f32_e32 v44, v92, v12
	v_mul_f32_e32 v29, 0x41000000, v11
	s_waitcnt lgkmcnt(1)
	v_dot4_i32_i8 v11, v107, v2, 0
	s_waitcnt lgkmcnt(0)
	v_dot4_i32_i8 v11, v108, v6, v11
	v_dot4_i32_i8 v11, v109, v3, v11
	;; [unrolled: 1-line block ×7, first 2 shown]
	v_cvt_f32_i32_e32 v11, v11
	v_fma_mix_f32 v11, v11, v30, -v29 op_sel_hi:[0,1,0]
	v_fmac_f32_e32 v42, v106, v11
	v_dot4_i32_i8 v11, v91, v2, 0
	v_dot4_i32_i8 v11, v81, v6, v11
	;; [unrolled: 1-line block ×8, first 2 shown]
	v_cvt_f32_i32_e32 v11, v11
	v_fma_mix_f32 v11, v11, v30, -v29 op_sel_hi:[0,1,0]
	v_fmac_f32_e32 v41, v26, v11
	v_dot4_i32_i8 v11, v93, v2, 0
	v_dot4_i32_i8 v2, v61, v2, 0
	;; [unrolled: 1-line block ×16, first 2 shown]
	v_cvt_f32_i32_e32 v11, v11
	v_cvt_f32_i32_e32 v2, v2
	v_fma_mix_f32 v11, v11, v30, -v29 op_sel_hi:[0,1,0]
	v_fma_mix_f32 v2, v2, v30, -v29 op_sel_hi:[0,1,0]
	v_fmac_f32_e32 v40, v92, v11
	v_fmac_f32_e32 v39, v97, v2
	ds_read_b128 v[4:7], v124 offset:6144
	ds_read_b128 v[11:14], v124 offset:6160
	ds_read2_b32 v[2:3], v125 offset0:192 offset1:224
	v_add_u32_e32 v125, 4, v125
	s_waitcnt lgkmcnt(2)
	v_dot4_i32_i8 v9, v107, v4, 0
	s_waitcnt lgkmcnt(1)
	v_dot4_i32_i8 v9, v108, v11, v9
	v_dot4_i32_i8 v9, v109, v5, v9
	;; [unrolled: 1-line block ×6, first 2 shown]
	s_waitcnt lgkmcnt(0)
	v_cvt_f32_f16_sdwa v8, v2 dst_sel:DWORD dst_unused:UNUSED_PAD src0_sel:WORD_1
	v_dot4_i32_i8 v9, v80, v14, v9
	v_cvt_f32_i32_e32 v9, v9
	v_mul_f32_e32 v8, 0x41000000, v8
	v_fma_mix_f32 v9, v9, v2, -v8 op_sel_hi:[0,1,0]
	v_fmac_f32_e32 v38, v106, v9
	v_dot4_i32_i8 v9, v91, v4, 0
	v_dot4_i32_i8 v9, v81, v11, v9
	;; [unrolled: 1-line block ×8, first 2 shown]
	v_cvt_f32_i32_e32 v9, v9
	v_fma_mix_f32 v9, v9, v2, -v8 op_sel_hi:[0,1,0]
	v_fmac_f32_e32 v37, v26, v9
	v_dot4_i32_i8 v9, v93, v4, 0
	v_dot4_i32_i8 v4, v61, v4, 0
	;; [unrolled: 1-line block ×16, first 2 shown]
	v_cvt_f32_i32_e32 v9, v9
	v_cvt_f32_i32_e32 v4, v4
	v_fma_mix_f32 v9, v9, v2, -v8 op_sel_hi:[0,1,0]
	v_fma_mix_f32 v2, v4, v2, -v8 op_sel_hi:[0,1,0]
	ds_read_b128 v[4:7], v124 offset:7168
	ds_read_b128 v[11:14], v124 offset:7184
	v_fmac_f32_e32 v35, v97, v2
	v_cvt_f32_f16_sdwa v2, v3 dst_sel:DWORD dst_unused:UNUSED_PAD src0_sel:WORD_1
	v_fmac_f32_e32 v36, v92, v9
	s_waitcnt lgkmcnt(1)
	v_dot4_i32_i8 v8, v107, v4, 0
	s_waitcnt lgkmcnt(0)
	v_dot4_i32_i8 v8, v108, v11, v8
	v_dot4_i32_i8 v8, v109, v5, v8
	;; [unrolled: 1-line block ×7, first 2 shown]
	v_cvt_f32_i32_e32 v8, v8
	v_mul_f32_e32 v2, 0x41000000, v2
	v_add_u32_e32 v124, 32, v124
	v_fma_mix_f32 v8, v8, v3, -v2 op_sel_hi:[0,1,0]
	v_fmac_f32_e32 v34, v106, v8
	v_dot4_i32_i8 v8, v91, v4, 0
	v_dot4_i32_i8 v8, v81, v11, v8
	v_dot4_i32_i8 v8, v102, v5, v8
	v_dot4_i32_i8 v8, v103, v12, v8
	v_dot4_i32_i8 v8, v87, v6, v8
	v_dot4_i32_i8 v8, v89, v13, v8
	v_dot4_i32_i8 v1, v1, v7, v8
	v_dot4_i32_i8 v1, v90, v14, v1
	v_cvt_f32_i32_e32 v1, v1
	v_fma_mix_f32 v1, v1, v3, -v2 op_sel_hi:[0,1,0]
	v_fmac_f32_e32 v33, v26, v1
	v_dot4_i32_i8 v1, v93, v4, 0
	v_dot4_i32_i8 v1, v94, v11, v1
	v_dot4_i32_i8 v1, v95, v5, v1
	v_dot4_i32_i8 v1, v96, v12, v1
	v_dot4_i32_i8 v1, v98, v6, v1
	v_dot4_i32_i8 v1, v115, v13, v1
	v_dot4_i32_i8 v1, v116, v7, v1
	v_dot4_i32_i8 v1, v117, v14, v1
	v_cvt_f32_i32_e32 v1, v1
	;; [unrolled: 11-line block ×3, first 2 shown]
	v_fma_mix_f32 v0, v0, v3, -v2 op_sel_hi:[0,1,0]
	v_fmac_f32_e32 v31, v97, v0
	s_cbranch_scc1 .LBB158_9
; %bb.10:                               ;   in Loop: Header=BB158_7 Depth=1
	s_and_b32 s0, s8, -4
	s_cmp_eq_u32 s0, 4
	s_barrier
	s_cbranch_scc1 .LBB158_5
; %bb.11:                               ;   in Loop: Header=BB158_7 Depth=1
	buffer_load_dword v0, off, s[20:23], 0 offset:156 ; 4-byte Folded Reload
	s_waitcnt vmcnt(0)
	v_add_u32_e32 v2, s9, v0
	buffer_load_dword v0, off, s[20:23], 0 offset:4 ; 4-byte Folded Reload
	s_waitcnt vmcnt(0)
	v_add_u32_e32 v0, v2, v0
	v_mad_i64_i32 v[0:1], s[0:1], v0, 36, v[27:28]
	global_load_dword v0, v[0:1], off offset:4
	s_waitcnt vmcnt(0)
	ds_write_b32 v123, v0
	buffer_load_dword v0, off, s[20:23], 0 offset:8 ; 4-byte Folded Reload
	s_waitcnt vmcnt(0)
	v_add_u32_e32 v0, v2, v0
	v_mad_i64_i32 v[0:1], s[0:1], v0, 36, v[27:28]
	global_load_dword v0, v[0:1], off offset:4
	s_nop 0
	buffer_load_dword v1, off, s[20:23], 0 offset:44 ; 4-byte Folded Reload
	s_waitcnt vmcnt(0)
	ds_write_b32 v1, v0
	buffer_load_dword v0, off, s[20:23], 0 offset:12 ; 4-byte Folded Reload
	s_waitcnt vmcnt(0)
	v_add_u32_e32 v0, v2, v0
	v_mad_i64_i32 v[0:1], s[0:1], v0, 36, v[27:28]
	global_load_dword v0, v[0:1], off offset:4
	s_nop 0
	buffer_load_dword v1, off, s[20:23], 0 offset:48 ; 4-byte Folded Reload
	;; [unrolled: 9-line block ×7, first 2 shown]
	s_waitcnt vmcnt(0)
	ds_write_b32 v1, v0
	v_add_u32_e32 v0, 4, v122
	v_mad_u64_u32 v[0:1], s[0:1], v0, 36, s[2:3]
	s_mov_b32 s0, 12
	global_load_dword v0, v[0:1], off
	s_nop 0
	buffer_load_dword v1, off, s[20:23], 0  ; 4-byte Folded Reload
	s_waitcnt vmcnt(0)
	ds_write_b32 v1, v0
	s_waitcnt lgkmcnt(0)
	s_barrier
	buffer_load_dword v122, off, s[20:23], 0 offset:36 ; 4-byte Folded Reload
	buffer_load_dword v123, off, s[20:23], 0 offset:40 ; 4-byte Folded Reload
	;; [unrolled: 1-line block ×7, first 2 shown]
.LBB158_12:                             ;   Parent Loop BB158_7 Depth=1
                                        ; =>  This Inner Loop Header: Depth=2
	s_waitcnt vmcnt(5)
	ds_read_b128 v[2:5], v123
	ds_read_b128 v[6:9], v123 offset:16
	ds_read2_b32 v[29:30], v122 offset1:32
	s_add_i32 s0, s0, 4
	s_cmp_lt_u32 s0, 28
	s_waitcnt lgkmcnt(0)
	v_cvt_f32_f16_sdwa v0, v29 dst_sel:DWORD dst_unused:UNUSED_PAD src0_sel:WORD_1
	v_mul_f32_e32 v62, 0x41000000, v0
	s_waitcnt vmcnt(4)
	ds_read_b32 v106, v124
	s_waitcnt vmcnt(0)
	ds_read2_b32 v[0:1], v99 offset1:1
	v_add_u32_e32 v124, 4, v124
	s_waitcnt lgkmcnt(0)
	v_and_b32_e32 v107, 0xf0f0f0f, v0
	v_lshrrev_b32_e32 v0, 4, v0
	v_and_b32_e32 v108, 0xf0f0f0f, v0
	v_dot4_i32_i8 v0, v107, v2, 0
	v_dot4_i32_i8 v0, v108, v6, v0
	v_and_b32_e32 v109, 0xf0f0f0f, v1
	v_lshrrev_b32_e32 v1, 4, v1
	v_and_b32_e32 v110, 0xf0f0f0f, v1
	v_dot4_i32_i8 v0, v109, v3, v0
	v_dot4_i32_i8 v10, v110, v7, v0
	ds_read2_b32 v[0:1], v99 offset0:2 offset1:3
	s_waitcnt lgkmcnt(0)
	v_and_b32_e32 v53, 0xf0f0f0f, v0
	v_lshrrev_b32_e32 v0, 4, v0
	v_and_b32_e32 v105, 0xf0f0f0f, v0
	v_dot4_i32_i8 v0, v53, v4, v10
	v_dot4_i32_i8 v0, v105, v8, v0
	v_and_b32_e32 v59, 0xf0f0f0f, v1
	v_lshrrev_b32_e32 v1, 4, v1
	v_and_b32_e32 v80, 0xf0f0f0f, v1
	v_dot4_i32_i8 v0, v59, v5, v0
	v_dot4_i32_i8 v0, v80, v9, v0
	v_cvt_f32_i32_e32 v0, v0
	v_fma_mix_f32 v0, v29, v0, -v62 op_sel_hi:[1,0,0]
	v_fmac_f32_e32 v55, v106, v0
	v_add_u32_e32 v0, 0x1080, v99
	ds_read_b32 v26, v101
	ds_read2_b32 v[0:1], v0 offset1:1
	v_add_u32_e32 v101, 4, v101
	s_waitcnt lgkmcnt(0)
	v_and_b32_e32 v102, 0xf0f0f0f, v1
	v_lshrrev_b32_e32 v1, 4, v1
	v_and_b32_e32 v103, 0xf0f0f0f, v1
	v_add_u32_e32 v1, 0x1088, v99
	ds_read2_b32 v[10:11], v1 offset1:1
	v_and_b32_e32 v91, 0xf0f0f0f, v0
	v_lshrrev_b32_e32 v0, 4, v0
	v_and_b32_e32 v81, 0xf0f0f0f, v0
	v_dot4_i32_i8 v0, v91, v2, 0
	v_dot4_i32_i8 v0, v81, v6, v0
	v_dot4_i32_i8 v0, v102, v3, v0
	v_dot4_i32_i8 v0, v103, v7, v0
	s_waitcnt lgkmcnt(0)
	v_and_b32_e32 v87, 0xf0f0f0f, v10
	v_lshrrev_b32_e32 v1, 4, v10
	v_and_b32_e32 v89, 0xf0f0f0f, v1
	v_dot4_i32_i8 v0, v87, v4, v0
	v_dot4_i32_i8 v0, v89, v8, v0
	v_and_b32_e32 v1, 0xf0f0f0f, v11
	v_lshrrev_b32_e32 v10, 4, v11
	v_and_b32_e32 v90, 0xf0f0f0f, v10
	v_dot4_i32_i8 v0, v1, v5, v0
	v_dot4_i32_i8 v0, v90, v9, v0
	v_cvt_f32_i32_e32 v0, v0
	v_fma_mix_f32 v0, v29, v0, -v62 op_sel_hi:[1,0,0]
	v_fmac_f32_e32 v88, v26, v0
	v_add_u32_e32 v0, 0x2100, v99
	ds_read_b32 v92, v100
	ds_read2_b32 v[10:11], v0 offset1:1
	v_add_u32_e32 v100, 4, v100
	s_waitcnt lgkmcnt(0)
	v_and_b32_e32 v93, 0xf0f0f0f, v10
	v_lshrrev_b32_e32 v0, 4, v10
	v_lshrrev_b32_e32 v10, 4, v11
	v_and_b32_e32 v96, 0xf0f0f0f, v10
	v_add_u32_e32 v10, 0x2108, v99
	v_and_b32_e32 v95, 0xf0f0f0f, v11
	ds_read2_b32 v[10:11], v10 offset1:1
	v_and_b32_e32 v94, 0xf0f0f0f, v0
	v_dot4_i32_i8 v0, v93, v2, 0
	v_dot4_i32_i8 v0, v94, v6, v0
	;; [unrolled: 1-line block ×4, first 2 shown]
	s_waitcnt lgkmcnt(0)
	v_and_b32_e32 v98, 0xf0f0f0f, v10
	v_lshrrev_b32_e32 v10, 4, v10
	v_and_b32_e32 v115, 0xf0f0f0f, v10
	v_dot4_i32_i8 v0, v98, v4, v0
	v_dot4_i32_i8 v0, v115, v8, v0
	v_and_b32_e32 v116, 0xf0f0f0f, v11
	v_lshrrev_b32_e32 v10, 4, v11
	v_and_b32_e32 v117, 0xf0f0f0f, v10
	v_dot4_i32_i8 v0, v116, v5, v0
	v_dot4_i32_i8 v0, v117, v9, v0
	v_cvt_f32_i32_e32 v0, v0
	v_fma_mix_f32 v0, v29, v0, -v62 op_sel_hi:[1,0,0]
	v_fmac_f32_e32 v84, v92, v0
	v_add_u32_e32 v0, 0x3180, v99
	ds_read_b32 v97, v125
	ds_read2_b32 v[10:11], v0 offset1:1
	v_add_u32_e32 v125, 4, v125
	s_waitcnt lgkmcnt(0)
	v_and_b32_e32 v61, 0xf0f0f0f, v10
	v_lshrrev_b32_e32 v0, 4, v10
	v_and_b32_e32 v0, 0xf0f0f0f, v0
	v_dot4_i32_i8 v2, v61, v2, 0
	v_dot4_i32_i8 v2, v0, v6, v2
	v_and_b32_e32 v121, 0xf0f0f0f, v11
	v_lshrrev_b32_e32 v6, 4, v11
	v_and_b32_e32 v118, 0xf0f0f0f, v6
	v_dot4_i32_i8 v2, v121, v3, v2
	v_dot4_i32_i8 v6, v118, v7, v2
	v_add_u32_e32 v2, 0x3188, v99
	ds_read2_b32 v[2:3], v2 offset1:1
	v_cvt_f32_f16_sdwa v11, v30 dst_sel:DWORD dst_unused:UNUSED_PAD src0_sel:WORD_1
	v_add_u32_e32 v99, 16, v99
	s_waitcnt lgkmcnt(0)
	v_and_b32_e32 v10, 0xf0f0f0f, v2
	v_lshrrev_b32_e32 v2, 4, v2
	v_and_b32_e32 v104, 0xf0f0f0f, v2
	v_dot4_i32_i8 v2, v10, v4, v6
	v_dot4_i32_i8 v2, v104, v8, v2
	v_and_b32_e32 v119, 0xf0f0f0f, v3
	v_lshrrev_b32_e32 v3, 4, v3
	v_and_b32_e32 v120, 0xf0f0f0f, v3
	v_dot4_i32_i8 v2, v119, v5, v2
	v_dot4_i32_i8 v2, v120, v9, v2
	v_cvt_f32_i32_e32 v2, v2
	v_mul_f32_e32 v11, 0x41000000, v11
	v_fma_mix_f32 v2, v29, v2, -v62 op_sel_hi:[1,0,0]
	v_fmac_f32_e32 v78, v97, v2
	ds_read_b128 v[2:5], v123 offset:1024
	ds_read_b128 v[6:9], v123 offset:1040
	s_waitcnt lgkmcnt(1)
	v_dot4_i32_i8 v12, v107, v2, 0
	s_waitcnt lgkmcnt(0)
	v_dot4_i32_i8 v12, v108, v6, v12
	v_dot4_i32_i8 v12, v109, v3, v12
	;; [unrolled: 1-line block ×7, first 2 shown]
	v_cvt_f32_i32_e32 v12, v12
	v_fma_mix_f32 v12, v12, v30, -v11 op_sel_hi:[0,1,0]
	v_fmac_f32_e32 v70, v106, v12
	v_dot4_i32_i8 v12, v91, v2, 0
	v_dot4_i32_i8 v12, v81, v6, v12
	;; [unrolled: 1-line block ×8, first 2 shown]
	v_cvt_f32_i32_e32 v12, v12
	v_fma_mix_f32 v12, v12, v30, -v11 op_sel_hi:[0,1,0]
	v_fmac_f32_e32 v63, v26, v12
	v_dot4_i32_i8 v12, v93, v2, 0
	v_dot4_i32_i8 v2, v61, v2, 0
	;; [unrolled: 1-line block ×16, first 2 shown]
	v_cvt_f32_i32_e32 v12, v12
	v_cvt_f32_i32_e32 v2, v2
	v_fma_mix_f32 v12, v12, v30, -v11 op_sel_hi:[0,1,0]
	v_fma_mix_f32 v2, v2, v30, -v11 op_sel_hi:[0,1,0]
	v_fmac_f32_e32 v58, v92, v12
	v_fmac_f32_e32 v57, v97, v2
	ds_read_b128 v[4:7], v123 offset:2048
	ds_read_b128 v[11:14], v123 offset:2064
	ds_read2_b32 v[2:3], v122 offset0:64 offset1:96
	s_waitcnt lgkmcnt(2)
	v_dot4_i32_i8 v9, v107, v4, 0
	s_waitcnt lgkmcnt(1)
	v_dot4_i32_i8 v9, v108, v11, v9
	v_dot4_i32_i8 v9, v109, v5, v9
	;; [unrolled: 1-line block ×6, first 2 shown]
	s_waitcnt lgkmcnt(0)
	v_cvt_f32_f16_sdwa v8, v2 dst_sel:DWORD dst_unused:UNUSED_PAD src0_sel:WORD_1
	v_dot4_i32_i8 v9, v80, v14, v9
	v_cvt_f32_i32_e32 v9, v9
	v_mul_f32_e32 v8, 0x41000000, v8
	v_fma_mix_f32 v9, v9, v2, -v8 op_sel_hi:[0,1,0]
	v_fmac_f32_e32 v56, v106, v9
	v_dot4_i32_i8 v9, v91, v4, 0
	v_dot4_i32_i8 v9, v81, v11, v9
	;; [unrolled: 1-line block ×8, first 2 shown]
	v_cvt_f32_i32_e32 v9, v9
	v_fma_mix_f32 v9, v9, v2, -v8 op_sel_hi:[0,1,0]
	v_fmac_f32_e32 v54, v26, v9
	v_dot4_i32_i8 v9, v93, v4, 0
	v_dot4_i32_i8 v4, v61, v4, 0
	;; [unrolled: 1-line block ×16, first 2 shown]
	v_cvt_f32_i32_e32 v9, v9
	v_cvt_f32_i32_e32 v4, v4
	v_fma_mix_f32 v9, v9, v2, -v8 op_sel_hi:[0,1,0]
	v_fma_mix_f32 v2, v4, v2, -v8 op_sel_hi:[0,1,0]
	ds_read_b128 v[4:7], v123 offset:3072
	ds_read_b128 v[11:14], v123 offset:3088
	v_fmac_f32_e32 v51, v97, v2
	v_cvt_f32_f16_sdwa v2, v3 dst_sel:DWORD dst_unused:UNUSED_PAD src0_sel:WORD_1
	v_fmac_f32_e32 v52, v92, v9
	s_waitcnt lgkmcnt(1)
	v_dot4_i32_i8 v8, v107, v4, 0
	s_waitcnt lgkmcnt(0)
	v_dot4_i32_i8 v8, v108, v11, v8
	v_dot4_i32_i8 v8, v109, v5, v8
	;; [unrolled: 1-line block ×7, first 2 shown]
	v_cvt_f32_i32_e32 v8, v8
	v_mul_f32_e32 v2, 0x41000000, v2
	v_fma_mix_f32 v8, v8, v3, -v2 op_sel_hi:[0,1,0]
	v_fmac_f32_e32 v50, v106, v8
	v_dot4_i32_i8 v8, v91, v4, 0
	v_dot4_i32_i8 v8, v81, v11, v8
	;; [unrolled: 1-line block ×8, first 2 shown]
	v_cvt_f32_i32_e32 v8, v8
	v_fma_mix_f32 v8, v8, v3, -v2 op_sel_hi:[0,1,0]
	v_fmac_f32_e32 v49, v26, v8
	v_dot4_i32_i8 v8, v93, v4, 0
	v_dot4_i32_i8 v4, v61, v4, 0
	;; [unrolled: 1-line block ×16, first 2 shown]
	v_cvt_f32_i32_e32 v8, v8
	v_cvt_f32_i32_e32 v4, v4
	v_fma_mix_f32 v8, v8, v3, -v2 op_sel_hi:[0,1,0]
	v_fma_mix_f32 v2, v4, v3, -v2 op_sel_hi:[0,1,0]
	v_fmac_f32_e32 v48, v92, v8
	v_fmac_f32_e32 v47, v97, v2
	ds_read_b128 v[2:5], v123 offset:4096
	ds_read_b128 v[6:9], v123 offset:4112
	ds_read2_b32 v[29:30], v122 offset0:128 offset1:160
	s_waitcnt lgkmcnt(2)
	v_dot4_i32_i8 v12, v107, v2, 0
	s_waitcnt lgkmcnt(1)
	v_dot4_i32_i8 v12, v108, v6, v12
	v_dot4_i32_i8 v12, v109, v3, v12
	;; [unrolled: 1-line block ×6, first 2 shown]
	s_waitcnt lgkmcnt(0)
	v_cvt_f32_f16_sdwa v11, v29 dst_sel:DWORD dst_unused:UNUSED_PAD src0_sel:WORD_1
	v_dot4_i32_i8 v12, v80, v9, v12
	v_cvt_f32_i32_e32 v12, v12
	v_mul_f32_e32 v11, 0x41000000, v11
	v_fma_mix_f32 v12, v12, v29, -v11 op_sel_hi:[0,1,0]
	v_fmac_f32_e32 v46, v106, v12
	v_dot4_i32_i8 v12, v91, v2, 0
	v_dot4_i32_i8 v12, v81, v6, v12
	;; [unrolled: 1-line block ×8, first 2 shown]
	v_cvt_f32_i32_e32 v12, v12
	v_fma_mix_f32 v12, v12, v29, -v11 op_sel_hi:[0,1,0]
	v_fmac_f32_e32 v45, v26, v12
	v_dot4_i32_i8 v12, v93, v2, 0
	v_dot4_i32_i8 v2, v61, v2, 0
	;; [unrolled: 1-line block ×16, first 2 shown]
	v_cvt_f32_i32_e32 v2, v2
	v_cvt_f32_i32_e32 v12, v12
	v_fma_mix_f32 v2, v2, v29, -v11 op_sel_hi:[0,1,0]
	v_fma_mix_f32 v12, v12, v29, -v11 op_sel_hi:[0,1,0]
	v_fmac_f32_e32 v43, v97, v2
	ds_read_b128 v[2:5], v123 offset:5120
	ds_read_b128 v[6:9], v123 offset:5136
	v_cvt_f32_f16_sdwa v11, v30 dst_sel:DWORD dst_unused:UNUSED_PAD src0_sel:WORD_1
	v_fmac_f32_e32 v44, v92, v12
	v_mul_f32_e32 v29, 0x41000000, v11
	s_waitcnt lgkmcnt(1)
	v_dot4_i32_i8 v11, v107, v2, 0
	s_waitcnt lgkmcnt(0)
	v_dot4_i32_i8 v11, v108, v6, v11
	v_dot4_i32_i8 v11, v109, v3, v11
	;; [unrolled: 1-line block ×7, first 2 shown]
	v_cvt_f32_i32_e32 v11, v11
	v_fma_mix_f32 v11, v11, v30, -v29 op_sel_hi:[0,1,0]
	v_fmac_f32_e32 v42, v106, v11
	v_dot4_i32_i8 v11, v91, v2, 0
	v_dot4_i32_i8 v11, v81, v6, v11
	;; [unrolled: 1-line block ×8, first 2 shown]
	v_cvt_f32_i32_e32 v11, v11
	v_fma_mix_f32 v11, v11, v30, -v29 op_sel_hi:[0,1,0]
	v_fmac_f32_e32 v41, v26, v11
	v_dot4_i32_i8 v11, v93, v2, 0
	v_dot4_i32_i8 v2, v61, v2, 0
	;; [unrolled: 1-line block ×16, first 2 shown]
	v_cvt_f32_i32_e32 v11, v11
	v_cvt_f32_i32_e32 v2, v2
	v_fma_mix_f32 v11, v11, v30, -v29 op_sel_hi:[0,1,0]
	v_fma_mix_f32 v2, v2, v30, -v29 op_sel_hi:[0,1,0]
	v_fmac_f32_e32 v40, v92, v11
	v_fmac_f32_e32 v39, v97, v2
	ds_read_b128 v[4:7], v123 offset:6144
	ds_read_b128 v[11:14], v123 offset:6160
	ds_read2_b32 v[2:3], v122 offset0:192 offset1:224
	v_add_u32_e32 v122, 4, v122
	s_waitcnt lgkmcnt(2)
	v_dot4_i32_i8 v9, v107, v4, 0
	s_waitcnt lgkmcnt(1)
	v_dot4_i32_i8 v9, v108, v11, v9
	v_dot4_i32_i8 v9, v109, v5, v9
	v_dot4_i32_i8 v9, v110, v12, v9
	v_dot4_i32_i8 v9, v53, v6, v9
	v_dot4_i32_i8 v9, v105, v13, v9
	v_dot4_i32_i8 v9, v59, v7, v9
	s_waitcnt lgkmcnt(0)
	v_cvt_f32_f16_sdwa v8, v2 dst_sel:DWORD dst_unused:UNUSED_PAD src0_sel:WORD_1
	v_dot4_i32_i8 v9, v80, v14, v9
	v_cvt_f32_i32_e32 v9, v9
	v_mul_f32_e32 v8, 0x41000000, v8
	v_fma_mix_f32 v9, v9, v2, -v8 op_sel_hi:[0,1,0]
	v_fmac_f32_e32 v38, v106, v9
	v_dot4_i32_i8 v9, v91, v4, 0
	v_dot4_i32_i8 v9, v81, v11, v9
	;; [unrolled: 1-line block ×8, first 2 shown]
	v_cvt_f32_i32_e32 v9, v9
	v_fma_mix_f32 v9, v9, v2, -v8 op_sel_hi:[0,1,0]
	v_fmac_f32_e32 v37, v26, v9
	v_dot4_i32_i8 v9, v93, v4, 0
	v_dot4_i32_i8 v4, v61, v4, 0
	;; [unrolled: 1-line block ×16, first 2 shown]
	v_cvt_f32_i32_e32 v9, v9
	v_cvt_f32_i32_e32 v4, v4
	v_fma_mix_f32 v9, v9, v2, -v8 op_sel_hi:[0,1,0]
	v_fma_mix_f32 v2, v4, v2, -v8 op_sel_hi:[0,1,0]
	ds_read_b128 v[4:7], v123 offset:7168
	ds_read_b128 v[11:14], v123 offset:7184
	v_fmac_f32_e32 v35, v97, v2
	v_cvt_f32_f16_sdwa v2, v3 dst_sel:DWORD dst_unused:UNUSED_PAD src0_sel:WORD_1
	v_fmac_f32_e32 v36, v92, v9
	s_waitcnt lgkmcnt(1)
	v_dot4_i32_i8 v8, v107, v4, 0
	s_waitcnt lgkmcnt(0)
	v_dot4_i32_i8 v8, v108, v11, v8
	v_dot4_i32_i8 v8, v109, v5, v8
	;; [unrolled: 1-line block ×7, first 2 shown]
	v_cvt_f32_i32_e32 v8, v8
	v_mul_f32_e32 v2, 0x41000000, v2
	v_add_u32_e32 v123, 32, v123
	v_fma_mix_f32 v8, v8, v3, -v2 op_sel_hi:[0,1,0]
	v_fmac_f32_e32 v34, v106, v8
	v_dot4_i32_i8 v8, v91, v4, 0
	v_dot4_i32_i8 v8, v81, v11, v8
	v_dot4_i32_i8 v8, v102, v5, v8
	v_dot4_i32_i8 v8, v103, v12, v8
	v_dot4_i32_i8 v8, v87, v6, v8
	v_dot4_i32_i8 v8, v89, v13, v8
	v_dot4_i32_i8 v1, v1, v7, v8
	v_dot4_i32_i8 v1, v90, v14, v1
	v_cvt_f32_i32_e32 v1, v1
	v_fma_mix_f32 v1, v1, v3, -v2 op_sel_hi:[0,1,0]
	v_fmac_f32_e32 v33, v26, v1
	v_dot4_i32_i8 v1, v93, v4, 0
	v_dot4_i32_i8 v1, v94, v11, v1
	v_dot4_i32_i8 v1, v95, v5, v1
	v_dot4_i32_i8 v1, v96, v12, v1
	v_dot4_i32_i8 v1, v98, v6, v1
	v_dot4_i32_i8 v1, v115, v13, v1
	v_dot4_i32_i8 v1, v116, v7, v1
	v_dot4_i32_i8 v1, v117, v14, v1
	v_cvt_f32_i32_e32 v1, v1
	;; [unrolled: 11-line block ×3, first 2 shown]
	v_fma_mix_f32 v0, v0, v3, -v2 op_sel_hi:[0,1,0]
	v_fmac_f32_e32 v31, v97, v0
	s_cbranch_scc1 .LBB158_12
; %bb.13:                               ;   in Loop: Header=BB158_7 Depth=1
	s_barrier
	s_branch .LBB158_5
.LBB158_14:
	buffer_load_dword v0, off, s[20:23], 0 offset:184 ; 4-byte Folded Reload
.LBB158_15:
	s_waitcnt vmcnt(0)
	v_cmp_gt_u32_e32 vcc, s10, v0
	s_and_saveexec_b64 s[0:1], vcc
	s_cbranch_execz .LBB158_66
; %bb.16:
	v_mul_lo_u32 v4, v0, s14
	buffer_load_dword v0, off, s[20:23], 0 offset:72 ; 4-byte Folded Reload
	s_waitcnt vmcnt(0)
	v_add_u32_e32 v0, s6, v0
	v_cmp_gt_u32_e64 s[0:1], s14, v0
	s_and_saveexec_b64 s[2:3], s[0:1]
	s_cbranch_execz .LBB158_18
; %bb.17:
	v_bfe_u32 v1, v55, 16, 1
	s_movk_i32 s4, 0x7fff
	v_add3_u32 v1, v55, v1, s4
	v_cmp_o_f32_e32 vcc, v55, v55
	v_mov_b32_e32 v2, 0x7fc0
	v_cndmask_b32_sdwa v3, v2, v1, vcc dst_sel:DWORD dst_unused:UNUSED_PAD src0_sel:DWORD src1_sel:WORD_1
	v_add_u32_e32 v1, v0, v4
	v_mov_b32_e32 v2, 0
	v_lshlrev_b64 v[1:2], 1, v[1:2]
	s_waitcnt lgkmcnt(0)
	v_mov_b32_e32 v5, s13
	v_add_co_u32_e32 v1, vcc, s12, v1
	v_addc_co_u32_e32 v2, vcc, v5, v2, vcc
	global_store_short v[1:2], v3, off
.LBB158_18:
	s_or_b64 exec, exec, s[2:3]
	v_add_u32_e32 v1, 32, v0
	v_cmp_gt_u32_e64 s[2:3], s14, v1
	s_and_saveexec_b64 s[4:5], s[2:3]
	s_cbranch_execz .LBB158_20
; %bb.19:
	v_bfe_u32 v2, v88, 16, 1
	s_movk_i32 s6, 0x7fff
	v_add3_u32 v2, v88, v2, s6
	v_cmp_o_f32_e32 vcc, v88, v88
	v_mov_b32_e32 v3, 0x7fc0
	v_cndmask_b32_sdwa v5, v3, v2, vcc dst_sel:DWORD dst_unused:UNUSED_PAD src0_sel:DWORD src1_sel:WORD_1
	v_add_u32_e32 v2, v1, v4
	v_mov_b32_e32 v3, 0
	v_lshlrev_b64 v[2:3], 1, v[2:3]
	s_waitcnt lgkmcnt(0)
	v_mov_b32_e32 v6, s13
	v_add_co_u32_e32 v2, vcc, s12, v2
	v_addc_co_u32_e32 v3, vcc, v6, v3, vcc
	global_store_short v[2:3], v5, off
.LBB158_20:
	s_or_b64 exec, exec, s[4:5]
	;; [unrolled: 21-line block ×4, first 2 shown]
	buffer_load_dword v4, off, s[20:23], 0 offset:180 ; 4-byte Folded Reload
	s_waitcnt vmcnt(0)
	v_add3_u32 v4, v4, s15, 8
	v_cmp_gt_u32_e32 vcc, s10, v4
	s_and_b64 exec, exec, vcc
	s_cbranch_execz .LBB158_66
; %bb.25:
	v_mul_lo_u32 v4, v4, s14
	s_and_saveexec_b64 s[8:9], s[0:1]
	s_cbranch_execnz .LBB158_67
; %bb.26:
	s_or_b64 exec, exec, s[8:9]
	s_and_saveexec_b64 s[8:9], s[2:3]
	s_cbranch_execnz .LBB158_68
.LBB158_27:
	s_or_b64 exec, exec, s[8:9]
	s_and_saveexec_b64 s[8:9], s[4:5]
	s_cbranch_execnz .LBB158_69
.LBB158_28:
	s_or_b64 exec, exec, s[8:9]
	s_and_saveexec_b64 s[8:9], s[6:7]
	s_cbranch_execz .LBB158_30
.LBB158_29:
	v_bfe_u32 v5, v57, 16, 1
	s_movk_i32 s11, 0x7fff
	v_add3_u32 v5, v57, v5, s11
	v_cmp_o_f32_e32 vcc, v57, v57
	v_mov_b32_e32 v6, 0x7fc0
	v_cndmask_b32_sdwa v6, v6, v5, vcc dst_sel:DWORD dst_unused:UNUSED_PAD src0_sel:DWORD src1_sel:WORD_1
	v_add_u32_e32 v4, v4, v3
	v_mov_b32_e32 v5, 0
	v_lshlrev_b64 v[4:5], 1, v[4:5]
	s_waitcnt lgkmcnt(0)
	v_mov_b32_e32 v7, s13
	v_add_co_u32_e32 v4, vcc, s12, v4
	v_addc_co_u32_e32 v5, vcc, v7, v5, vcc
	global_store_short v[4:5], v6, off
.LBB158_30:
	s_or_b64 exec, exec, s[8:9]
	buffer_load_dword v4, off, s[20:23], 0 offset:180 ; 4-byte Folded Reload
	s_waitcnt vmcnt(0)
	v_add3_u32 v4, v4, s15, 16
	v_cmp_gt_u32_e32 vcc, s10, v4
	s_and_b64 exec, exec, vcc
	s_cbranch_execz .LBB158_66
; %bb.31:
	v_mul_lo_u32 v4, v4, s14
	s_and_saveexec_b64 s[8:9], s[0:1]
	s_cbranch_execnz .LBB158_70
; %bb.32:
	s_or_b64 exec, exec, s[8:9]
	s_and_saveexec_b64 s[8:9], s[2:3]
	s_cbranch_execnz .LBB158_71
.LBB158_33:
	s_or_b64 exec, exec, s[8:9]
	s_and_saveexec_b64 s[8:9], s[4:5]
	s_cbranch_execnz .LBB158_72
.LBB158_34:
	s_or_b64 exec, exec, s[8:9]
	s_and_saveexec_b64 s[8:9], s[6:7]
	s_cbranch_execz .LBB158_36
.LBB158_35:
	v_bfe_u32 v5, v51, 16, 1
	s_movk_i32 s11, 0x7fff
	v_add3_u32 v5, v51, v5, s11
	v_cmp_o_f32_e32 vcc, v51, v51
	v_mov_b32_e32 v6, 0x7fc0
	v_cndmask_b32_sdwa v6, v6, v5, vcc dst_sel:DWORD dst_unused:UNUSED_PAD src0_sel:DWORD src1_sel:WORD_1
	v_add_u32_e32 v4, v4, v3
	v_mov_b32_e32 v5, 0
	v_lshlrev_b64 v[4:5], 1, v[4:5]
	s_waitcnt lgkmcnt(0)
	v_mov_b32_e32 v7, s13
	v_add_co_u32_e32 v4, vcc, s12, v4
	v_addc_co_u32_e32 v5, vcc, v7, v5, vcc
	global_store_short v[4:5], v6, off
.LBB158_36:
	s_or_b64 exec, exec, s[8:9]
	buffer_load_dword v4, off, s[20:23], 0 offset:180 ; 4-byte Folded Reload
	s_waitcnt vmcnt(0)
	v_add3_u32 v4, v4, s15, 24
	v_cmp_gt_u32_e32 vcc, s10, v4
	s_and_b64 exec, exec, vcc
	s_cbranch_execz .LBB158_66
; %bb.37:
	v_mul_lo_u32 v4, v4, s14
	s_and_saveexec_b64 s[8:9], s[0:1]
	s_cbranch_execnz .LBB158_73
; %bb.38:
	s_or_b64 exec, exec, s[8:9]
	s_and_saveexec_b64 s[8:9], s[2:3]
	s_cbranch_execnz .LBB158_74
.LBB158_39:
	s_or_b64 exec, exec, s[8:9]
	s_and_saveexec_b64 s[8:9], s[4:5]
	s_cbranch_execnz .LBB158_75
.LBB158_40:
	s_or_b64 exec, exec, s[8:9]
	s_and_saveexec_b64 s[8:9], s[6:7]
	s_cbranch_execz .LBB158_42
.LBB158_41:
	v_bfe_u32 v5, v47, 16, 1
	s_movk_i32 s11, 0x7fff
	v_add3_u32 v5, v47, v5, s11
	v_cmp_o_f32_e32 vcc, v47, v47
	v_mov_b32_e32 v6, 0x7fc0
	v_cndmask_b32_sdwa v6, v6, v5, vcc dst_sel:DWORD dst_unused:UNUSED_PAD src0_sel:DWORD src1_sel:WORD_1
	v_add_u32_e32 v4, v4, v3
	v_mov_b32_e32 v5, 0
	v_lshlrev_b64 v[4:5], 1, v[4:5]
	s_waitcnt lgkmcnt(0)
	v_mov_b32_e32 v7, s13
	v_add_co_u32_e32 v4, vcc, s12, v4
	v_addc_co_u32_e32 v5, vcc, v7, v5, vcc
	global_store_short v[4:5], v6, off
.LBB158_42:
	s_or_b64 exec, exec, s[8:9]
	buffer_load_dword v4, off, s[20:23], 0 offset:180 ; 4-byte Folded Reload
	s_waitcnt vmcnt(0)
	v_add3_u32 v4, v4, s15, 32
	v_cmp_gt_u32_e32 vcc, s10, v4
	s_and_b64 exec, exec, vcc
	s_cbranch_execz .LBB158_66
; %bb.43:
	v_mul_lo_u32 v4, v4, s14
	s_and_saveexec_b64 s[8:9], s[0:1]
	s_cbranch_execnz .LBB158_76
; %bb.44:
	s_or_b64 exec, exec, s[8:9]
	s_and_saveexec_b64 s[8:9], s[2:3]
	s_cbranch_execnz .LBB158_77
.LBB158_45:
	s_or_b64 exec, exec, s[8:9]
	s_and_saveexec_b64 s[8:9], s[4:5]
	s_cbranch_execnz .LBB158_78
.LBB158_46:
	s_or_b64 exec, exec, s[8:9]
	s_and_saveexec_b64 s[8:9], s[6:7]
	s_cbranch_execz .LBB158_48
.LBB158_47:
	v_bfe_u32 v5, v43, 16, 1
	s_movk_i32 s11, 0x7fff
	v_add3_u32 v5, v43, v5, s11
	v_cmp_o_f32_e32 vcc, v43, v43
	v_mov_b32_e32 v6, 0x7fc0
	v_cndmask_b32_sdwa v6, v6, v5, vcc dst_sel:DWORD dst_unused:UNUSED_PAD src0_sel:DWORD src1_sel:WORD_1
	v_add_u32_e32 v4, v4, v3
	v_mov_b32_e32 v5, 0
	v_lshlrev_b64 v[4:5], 1, v[4:5]
	s_waitcnt lgkmcnt(0)
	v_mov_b32_e32 v7, s13
	v_add_co_u32_e32 v4, vcc, s12, v4
	v_addc_co_u32_e32 v5, vcc, v7, v5, vcc
	global_store_short v[4:5], v6, off
.LBB158_48:
	s_or_b64 exec, exec, s[8:9]
	buffer_load_dword v4, off, s[20:23], 0 offset:180 ; 4-byte Folded Reload
	s_waitcnt vmcnt(0)
	v_add3_u32 v4, v4, s15, 40
	v_cmp_gt_u32_e32 vcc, s10, v4
	s_and_b64 exec, exec, vcc
	s_cbranch_execz .LBB158_66
; %bb.49:
	v_mul_lo_u32 v4, v4, s14
	s_and_saveexec_b64 s[8:9], s[0:1]
	s_cbranch_execnz .LBB158_79
; %bb.50:
	s_or_b64 exec, exec, s[8:9]
	s_and_saveexec_b64 s[8:9], s[2:3]
	s_cbranch_execnz .LBB158_80
.LBB158_51:
	s_or_b64 exec, exec, s[8:9]
	s_and_saveexec_b64 s[8:9], s[4:5]
	s_cbranch_execnz .LBB158_81
.LBB158_52:
	s_or_b64 exec, exec, s[8:9]
	s_and_saveexec_b64 s[8:9], s[6:7]
	s_cbranch_execz .LBB158_54
.LBB158_53:
	v_bfe_u32 v5, v39, 16, 1
	s_movk_i32 s11, 0x7fff
	v_add3_u32 v5, v39, v5, s11
	v_cmp_o_f32_e32 vcc, v39, v39
	v_mov_b32_e32 v6, 0x7fc0
	v_cndmask_b32_sdwa v6, v6, v5, vcc dst_sel:DWORD dst_unused:UNUSED_PAD src0_sel:DWORD src1_sel:WORD_1
	v_add_u32_e32 v4, v4, v3
	v_mov_b32_e32 v5, 0
	v_lshlrev_b64 v[4:5], 1, v[4:5]
	s_waitcnt lgkmcnt(0)
	v_mov_b32_e32 v7, s13
	v_add_co_u32_e32 v4, vcc, s12, v4
	v_addc_co_u32_e32 v5, vcc, v7, v5, vcc
	global_store_short v[4:5], v6, off
.LBB158_54:
	s_or_b64 exec, exec, s[8:9]
	buffer_load_dword v4, off, s[20:23], 0 offset:180 ; 4-byte Folded Reload
	s_waitcnt vmcnt(0)
	v_add3_u32 v4, v4, s15, 48
	v_cmp_gt_u32_e32 vcc, s10, v4
	s_and_b64 exec, exec, vcc
	s_cbranch_execz .LBB158_66
; %bb.55:
	v_mul_lo_u32 v4, v4, s14
	s_and_saveexec_b64 s[8:9], s[0:1]
	s_cbranch_execnz .LBB158_82
; %bb.56:
	s_or_b64 exec, exec, s[8:9]
	s_and_saveexec_b64 s[8:9], s[2:3]
	s_cbranch_execnz .LBB158_83
.LBB158_57:
	s_or_b64 exec, exec, s[8:9]
	s_and_saveexec_b64 s[8:9], s[4:5]
	s_cbranch_execnz .LBB158_84
.LBB158_58:
	s_or_b64 exec, exec, s[8:9]
	s_and_saveexec_b64 s[8:9], s[6:7]
	s_cbranch_execz .LBB158_60
.LBB158_59:
	v_bfe_u32 v5, v35, 16, 1
	s_movk_i32 s11, 0x7fff
	v_add3_u32 v5, v35, v5, s11
	v_cmp_o_f32_e32 vcc, v35, v35
	v_mov_b32_e32 v6, 0x7fc0
	v_cndmask_b32_sdwa v6, v6, v5, vcc dst_sel:DWORD dst_unused:UNUSED_PAD src0_sel:DWORD src1_sel:WORD_1
	v_add_u32_e32 v4, v4, v3
	v_mov_b32_e32 v5, 0
	v_lshlrev_b64 v[4:5], 1, v[4:5]
	s_waitcnt lgkmcnt(0)
	v_mov_b32_e32 v7, s13
	v_add_co_u32_e32 v4, vcc, s12, v4
	v_addc_co_u32_e32 v5, vcc, v7, v5, vcc
	global_store_short v[4:5], v6, off
.LBB158_60:
	s_or_b64 exec, exec, s[8:9]
	buffer_load_dword v4, off, s[20:23], 0 offset:180 ; 4-byte Folded Reload
	s_waitcnt vmcnt(0)
	v_add3_u32 v4, v4, s15, 56
	v_cmp_gt_u32_e32 vcc, s10, v4
	s_and_b64 exec, exec, vcc
	s_cbranch_execz .LBB158_66
; %bb.61:
	v_mul_lo_u32 v4, v4, s14
	s_and_saveexec_b64 s[8:9], s[0:1]
	s_cbranch_execnz .LBB158_85
; %bb.62:
	s_or_b64 exec, exec, s[8:9]
	s_and_saveexec_b64 s[0:1], s[2:3]
	s_cbranch_execnz .LBB158_86
.LBB158_63:
	s_or_b64 exec, exec, s[0:1]
	s_and_saveexec_b64 s[0:1], s[4:5]
	s_cbranch_execnz .LBB158_87
.LBB158_64:
	s_or_b64 exec, exec, s[0:1]
	s_and_b64 exec, exec, s[6:7]
	s_cbranch_execz .LBB158_66
.LBB158_65:
	v_bfe_u32 v0, v31, 16, 1
	s_movk_i32 s0, 0x7fff
	v_add3_u32 v0, v31, v0, s0
	v_cmp_o_f32_e32 vcc, v31, v31
	v_mov_b32_e32 v1, 0x7fc0
	v_cndmask_b32_sdwa v2, v1, v0, vcc dst_sel:DWORD dst_unused:UNUSED_PAD src0_sel:DWORD src1_sel:WORD_1
	v_add_u32_e32 v0, v4, v3
	v_mov_b32_e32 v1, 0
	v_lshlrev_b64 v[0:1], 1, v[0:1]
	s_waitcnt lgkmcnt(0)
	v_mov_b32_e32 v3, s13
	v_add_co_u32_e32 v0, vcc, s12, v0
	v_addc_co_u32_e32 v1, vcc, v3, v1, vcc
	global_store_short v[0:1], v2, off
.LBB158_66:
	s_endpgm
.LBB158_67:
	v_bfe_u32 v5, v70, 16, 1
	s_movk_i32 s11, 0x7fff
	v_add3_u32 v5, v70, v5, s11
	v_cmp_o_f32_e32 vcc, v70, v70
	v_mov_b32_e32 v6, 0x7fc0
	v_cndmask_b32_sdwa v7, v6, v5, vcc dst_sel:DWORD dst_unused:UNUSED_PAD src0_sel:DWORD src1_sel:WORD_1
	v_add_u32_e32 v5, v4, v0
	v_mov_b32_e32 v6, 0
	v_lshlrev_b64 v[5:6], 1, v[5:6]
	s_waitcnt lgkmcnt(0)
	v_mov_b32_e32 v8, s13
	v_add_co_u32_e32 v5, vcc, s12, v5
	v_addc_co_u32_e32 v6, vcc, v8, v6, vcc
	global_store_short v[5:6], v7, off
	s_or_b64 exec, exec, s[8:9]
	s_and_saveexec_b64 s[8:9], s[2:3]
	s_cbranch_execz .LBB158_27
.LBB158_68:
	v_bfe_u32 v5, v63, 16, 1
	s_movk_i32 s11, 0x7fff
	v_add3_u32 v5, v63, v5, s11
	v_cmp_o_f32_e32 vcc, v63, v63
	v_mov_b32_e32 v6, 0x7fc0
	v_cndmask_b32_sdwa v7, v6, v5, vcc dst_sel:DWORD dst_unused:UNUSED_PAD src0_sel:DWORD src1_sel:WORD_1
	v_add_u32_e32 v5, v4, v1
	v_mov_b32_e32 v6, 0
	v_lshlrev_b64 v[5:6], 1, v[5:6]
	s_waitcnt lgkmcnt(0)
	v_mov_b32_e32 v8, s13
	v_add_co_u32_e32 v5, vcc, s12, v5
	v_addc_co_u32_e32 v6, vcc, v8, v6, vcc
	global_store_short v[5:6], v7, off
	s_or_b64 exec, exec, s[8:9]
	s_and_saveexec_b64 s[8:9], s[4:5]
	s_cbranch_execz .LBB158_28
.LBB158_69:
	v_bfe_u32 v5, v58, 16, 1
	s_movk_i32 s11, 0x7fff
	v_add3_u32 v5, v58, v5, s11
	v_cmp_o_f32_e32 vcc, v58, v58
	v_mov_b32_e32 v6, 0x7fc0
	v_cndmask_b32_sdwa v7, v6, v5, vcc dst_sel:DWORD dst_unused:UNUSED_PAD src0_sel:DWORD src1_sel:WORD_1
	v_add_u32_e32 v5, v4, v2
	v_mov_b32_e32 v6, 0
	v_lshlrev_b64 v[5:6], 1, v[5:6]
	s_waitcnt lgkmcnt(0)
	v_mov_b32_e32 v8, s13
	v_add_co_u32_e32 v5, vcc, s12, v5
	v_addc_co_u32_e32 v6, vcc, v8, v6, vcc
	global_store_short v[5:6], v7, off
	s_or_b64 exec, exec, s[8:9]
	s_and_saveexec_b64 s[8:9], s[6:7]
	s_cbranch_execnz .LBB158_29
	s_branch .LBB158_30
.LBB158_70:
	v_bfe_u32 v5, v56, 16, 1
	s_movk_i32 s11, 0x7fff
	v_add3_u32 v5, v56, v5, s11
	v_cmp_o_f32_e32 vcc, v56, v56
	v_mov_b32_e32 v6, 0x7fc0
	v_cndmask_b32_sdwa v7, v6, v5, vcc dst_sel:DWORD dst_unused:UNUSED_PAD src0_sel:DWORD src1_sel:WORD_1
	v_add_u32_e32 v5, v4, v0
	v_mov_b32_e32 v6, 0
	v_lshlrev_b64 v[5:6], 1, v[5:6]
	s_waitcnt lgkmcnt(0)
	v_mov_b32_e32 v8, s13
	v_add_co_u32_e32 v5, vcc, s12, v5
	v_addc_co_u32_e32 v6, vcc, v8, v6, vcc
	global_store_short v[5:6], v7, off
	s_or_b64 exec, exec, s[8:9]
	s_and_saveexec_b64 s[8:9], s[2:3]
	s_cbranch_execz .LBB158_33
.LBB158_71:
	v_bfe_u32 v5, v54, 16, 1
	s_movk_i32 s11, 0x7fff
	v_add3_u32 v5, v54, v5, s11
	v_cmp_o_f32_e32 vcc, v54, v54
	v_mov_b32_e32 v6, 0x7fc0
	v_cndmask_b32_sdwa v7, v6, v5, vcc dst_sel:DWORD dst_unused:UNUSED_PAD src0_sel:DWORD src1_sel:WORD_1
	v_add_u32_e32 v5, v4, v1
	v_mov_b32_e32 v6, 0
	v_lshlrev_b64 v[5:6], 1, v[5:6]
	s_waitcnt lgkmcnt(0)
	v_mov_b32_e32 v8, s13
	v_add_co_u32_e32 v5, vcc, s12, v5
	v_addc_co_u32_e32 v6, vcc, v8, v6, vcc
	global_store_short v[5:6], v7, off
	s_or_b64 exec, exec, s[8:9]
	s_and_saveexec_b64 s[8:9], s[4:5]
	s_cbranch_execz .LBB158_34
.LBB158_72:
	v_bfe_u32 v5, v52, 16, 1
	s_movk_i32 s11, 0x7fff
	v_add3_u32 v5, v52, v5, s11
	v_cmp_o_f32_e32 vcc, v52, v52
	v_mov_b32_e32 v6, 0x7fc0
	v_cndmask_b32_sdwa v7, v6, v5, vcc dst_sel:DWORD dst_unused:UNUSED_PAD src0_sel:DWORD src1_sel:WORD_1
	v_add_u32_e32 v5, v4, v2
	v_mov_b32_e32 v6, 0
	v_lshlrev_b64 v[5:6], 1, v[5:6]
	s_waitcnt lgkmcnt(0)
	v_mov_b32_e32 v8, s13
	v_add_co_u32_e32 v5, vcc, s12, v5
	v_addc_co_u32_e32 v6, vcc, v8, v6, vcc
	global_store_short v[5:6], v7, off
	s_or_b64 exec, exec, s[8:9]
	s_and_saveexec_b64 s[8:9], s[6:7]
	s_cbranch_execnz .LBB158_35
	s_branch .LBB158_36
.LBB158_73:
	v_bfe_u32 v5, v50, 16, 1
	s_movk_i32 s11, 0x7fff
	v_add3_u32 v5, v50, v5, s11
	v_cmp_o_f32_e32 vcc, v50, v50
	v_mov_b32_e32 v6, 0x7fc0
	v_cndmask_b32_sdwa v7, v6, v5, vcc dst_sel:DWORD dst_unused:UNUSED_PAD src0_sel:DWORD src1_sel:WORD_1
	v_add_u32_e32 v5, v4, v0
	v_mov_b32_e32 v6, 0
	v_lshlrev_b64 v[5:6], 1, v[5:6]
	s_waitcnt lgkmcnt(0)
	v_mov_b32_e32 v8, s13
	v_add_co_u32_e32 v5, vcc, s12, v5
	v_addc_co_u32_e32 v6, vcc, v8, v6, vcc
	global_store_short v[5:6], v7, off
	s_or_b64 exec, exec, s[8:9]
	s_and_saveexec_b64 s[8:9], s[2:3]
	s_cbranch_execz .LBB158_39
.LBB158_74:
	v_bfe_u32 v5, v49, 16, 1
	s_movk_i32 s11, 0x7fff
	v_add3_u32 v5, v49, v5, s11
	v_cmp_o_f32_e32 vcc, v49, v49
	v_mov_b32_e32 v6, 0x7fc0
	v_cndmask_b32_sdwa v7, v6, v5, vcc dst_sel:DWORD dst_unused:UNUSED_PAD src0_sel:DWORD src1_sel:WORD_1
	v_add_u32_e32 v5, v4, v1
	v_mov_b32_e32 v6, 0
	v_lshlrev_b64 v[5:6], 1, v[5:6]
	s_waitcnt lgkmcnt(0)
	v_mov_b32_e32 v8, s13
	v_add_co_u32_e32 v5, vcc, s12, v5
	v_addc_co_u32_e32 v6, vcc, v8, v6, vcc
	global_store_short v[5:6], v7, off
	s_or_b64 exec, exec, s[8:9]
	s_and_saveexec_b64 s[8:9], s[4:5]
	s_cbranch_execz .LBB158_40
.LBB158_75:
	v_bfe_u32 v5, v48, 16, 1
	s_movk_i32 s11, 0x7fff
	v_add3_u32 v5, v48, v5, s11
	v_cmp_o_f32_e32 vcc, v48, v48
	v_mov_b32_e32 v6, 0x7fc0
	v_cndmask_b32_sdwa v7, v6, v5, vcc dst_sel:DWORD dst_unused:UNUSED_PAD src0_sel:DWORD src1_sel:WORD_1
	v_add_u32_e32 v5, v4, v2
	v_mov_b32_e32 v6, 0
	v_lshlrev_b64 v[5:6], 1, v[5:6]
	s_waitcnt lgkmcnt(0)
	v_mov_b32_e32 v8, s13
	v_add_co_u32_e32 v5, vcc, s12, v5
	v_addc_co_u32_e32 v6, vcc, v8, v6, vcc
	global_store_short v[5:6], v7, off
	s_or_b64 exec, exec, s[8:9]
	s_and_saveexec_b64 s[8:9], s[6:7]
	s_cbranch_execnz .LBB158_41
	s_branch .LBB158_42
.LBB158_76:
	v_bfe_u32 v5, v46, 16, 1
	s_movk_i32 s11, 0x7fff
	v_add3_u32 v5, v46, v5, s11
	v_cmp_o_f32_e32 vcc, v46, v46
	v_mov_b32_e32 v6, 0x7fc0
	v_cndmask_b32_sdwa v7, v6, v5, vcc dst_sel:DWORD dst_unused:UNUSED_PAD src0_sel:DWORD src1_sel:WORD_1
	v_add_u32_e32 v5, v4, v0
	v_mov_b32_e32 v6, 0
	v_lshlrev_b64 v[5:6], 1, v[5:6]
	s_waitcnt lgkmcnt(0)
	v_mov_b32_e32 v8, s13
	v_add_co_u32_e32 v5, vcc, s12, v5
	v_addc_co_u32_e32 v6, vcc, v8, v6, vcc
	global_store_short v[5:6], v7, off
	s_or_b64 exec, exec, s[8:9]
	s_and_saveexec_b64 s[8:9], s[2:3]
	s_cbranch_execz .LBB158_45
.LBB158_77:
	v_bfe_u32 v5, v45, 16, 1
	s_movk_i32 s11, 0x7fff
	v_add3_u32 v5, v45, v5, s11
	v_cmp_o_f32_e32 vcc, v45, v45
	v_mov_b32_e32 v6, 0x7fc0
	v_cndmask_b32_sdwa v7, v6, v5, vcc dst_sel:DWORD dst_unused:UNUSED_PAD src0_sel:DWORD src1_sel:WORD_1
	v_add_u32_e32 v5, v4, v1
	v_mov_b32_e32 v6, 0
	v_lshlrev_b64 v[5:6], 1, v[5:6]
	s_waitcnt lgkmcnt(0)
	v_mov_b32_e32 v8, s13
	v_add_co_u32_e32 v5, vcc, s12, v5
	v_addc_co_u32_e32 v6, vcc, v8, v6, vcc
	global_store_short v[5:6], v7, off
	s_or_b64 exec, exec, s[8:9]
	s_and_saveexec_b64 s[8:9], s[4:5]
	s_cbranch_execz .LBB158_46
.LBB158_78:
	v_bfe_u32 v5, v44, 16, 1
	s_movk_i32 s11, 0x7fff
	v_add3_u32 v5, v44, v5, s11
	v_cmp_o_f32_e32 vcc, v44, v44
	v_mov_b32_e32 v6, 0x7fc0
	v_cndmask_b32_sdwa v7, v6, v5, vcc dst_sel:DWORD dst_unused:UNUSED_PAD src0_sel:DWORD src1_sel:WORD_1
	v_add_u32_e32 v5, v4, v2
	v_mov_b32_e32 v6, 0
	v_lshlrev_b64 v[5:6], 1, v[5:6]
	s_waitcnt lgkmcnt(0)
	v_mov_b32_e32 v8, s13
	v_add_co_u32_e32 v5, vcc, s12, v5
	v_addc_co_u32_e32 v6, vcc, v8, v6, vcc
	global_store_short v[5:6], v7, off
	s_or_b64 exec, exec, s[8:9]
	s_and_saveexec_b64 s[8:9], s[6:7]
	s_cbranch_execnz .LBB158_47
	s_branch .LBB158_48
.LBB158_79:
	v_bfe_u32 v5, v42, 16, 1
	s_movk_i32 s11, 0x7fff
	v_add3_u32 v5, v42, v5, s11
	v_cmp_o_f32_e32 vcc, v42, v42
	v_mov_b32_e32 v6, 0x7fc0
	v_cndmask_b32_sdwa v7, v6, v5, vcc dst_sel:DWORD dst_unused:UNUSED_PAD src0_sel:DWORD src1_sel:WORD_1
	v_add_u32_e32 v5, v4, v0
	v_mov_b32_e32 v6, 0
	v_lshlrev_b64 v[5:6], 1, v[5:6]
	s_waitcnt lgkmcnt(0)
	v_mov_b32_e32 v8, s13
	v_add_co_u32_e32 v5, vcc, s12, v5
	v_addc_co_u32_e32 v6, vcc, v8, v6, vcc
	global_store_short v[5:6], v7, off
	s_or_b64 exec, exec, s[8:9]
	s_and_saveexec_b64 s[8:9], s[2:3]
	s_cbranch_execz .LBB158_51
.LBB158_80:
	v_bfe_u32 v5, v41, 16, 1
	s_movk_i32 s11, 0x7fff
	v_add3_u32 v5, v41, v5, s11
	v_cmp_o_f32_e32 vcc, v41, v41
	v_mov_b32_e32 v6, 0x7fc0
	v_cndmask_b32_sdwa v7, v6, v5, vcc dst_sel:DWORD dst_unused:UNUSED_PAD src0_sel:DWORD src1_sel:WORD_1
	v_add_u32_e32 v5, v4, v1
	v_mov_b32_e32 v6, 0
	v_lshlrev_b64 v[5:6], 1, v[5:6]
	s_waitcnt lgkmcnt(0)
	v_mov_b32_e32 v8, s13
	v_add_co_u32_e32 v5, vcc, s12, v5
	v_addc_co_u32_e32 v6, vcc, v8, v6, vcc
	global_store_short v[5:6], v7, off
	s_or_b64 exec, exec, s[8:9]
	s_and_saveexec_b64 s[8:9], s[4:5]
	s_cbranch_execz .LBB158_52
.LBB158_81:
	v_bfe_u32 v5, v40, 16, 1
	s_movk_i32 s11, 0x7fff
	v_add3_u32 v5, v40, v5, s11
	v_cmp_o_f32_e32 vcc, v40, v40
	v_mov_b32_e32 v6, 0x7fc0
	v_cndmask_b32_sdwa v7, v6, v5, vcc dst_sel:DWORD dst_unused:UNUSED_PAD src0_sel:DWORD src1_sel:WORD_1
	v_add_u32_e32 v5, v4, v2
	v_mov_b32_e32 v6, 0
	v_lshlrev_b64 v[5:6], 1, v[5:6]
	s_waitcnt lgkmcnt(0)
	v_mov_b32_e32 v8, s13
	v_add_co_u32_e32 v5, vcc, s12, v5
	v_addc_co_u32_e32 v6, vcc, v8, v6, vcc
	global_store_short v[5:6], v7, off
	s_or_b64 exec, exec, s[8:9]
	s_and_saveexec_b64 s[8:9], s[6:7]
	s_cbranch_execnz .LBB158_53
	s_branch .LBB158_54
.LBB158_82:
	v_bfe_u32 v5, v38, 16, 1
	s_movk_i32 s11, 0x7fff
	v_add3_u32 v5, v38, v5, s11
	v_cmp_o_f32_e32 vcc, v38, v38
	v_mov_b32_e32 v6, 0x7fc0
	v_cndmask_b32_sdwa v7, v6, v5, vcc dst_sel:DWORD dst_unused:UNUSED_PAD src0_sel:DWORD src1_sel:WORD_1
	v_add_u32_e32 v5, v4, v0
	v_mov_b32_e32 v6, 0
	v_lshlrev_b64 v[5:6], 1, v[5:6]
	s_waitcnt lgkmcnt(0)
	v_mov_b32_e32 v8, s13
	v_add_co_u32_e32 v5, vcc, s12, v5
	v_addc_co_u32_e32 v6, vcc, v8, v6, vcc
	global_store_short v[5:6], v7, off
	s_or_b64 exec, exec, s[8:9]
	s_and_saveexec_b64 s[8:9], s[2:3]
	s_cbranch_execz .LBB158_57
.LBB158_83:
	v_bfe_u32 v5, v37, 16, 1
	s_movk_i32 s11, 0x7fff
	v_add3_u32 v5, v37, v5, s11
	v_cmp_o_f32_e32 vcc, v37, v37
	v_mov_b32_e32 v6, 0x7fc0
	v_cndmask_b32_sdwa v7, v6, v5, vcc dst_sel:DWORD dst_unused:UNUSED_PAD src0_sel:DWORD src1_sel:WORD_1
	v_add_u32_e32 v5, v4, v1
	v_mov_b32_e32 v6, 0
	v_lshlrev_b64 v[5:6], 1, v[5:6]
	s_waitcnt lgkmcnt(0)
	v_mov_b32_e32 v8, s13
	v_add_co_u32_e32 v5, vcc, s12, v5
	v_addc_co_u32_e32 v6, vcc, v8, v6, vcc
	global_store_short v[5:6], v7, off
	s_or_b64 exec, exec, s[8:9]
	s_and_saveexec_b64 s[8:9], s[4:5]
	s_cbranch_execz .LBB158_58
.LBB158_84:
	v_bfe_u32 v5, v36, 16, 1
	s_movk_i32 s11, 0x7fff
	v_add3_u32 v5, v36, v5, s11
	v_cmp_o_f32_e32 vcc, v36, v36
	v_mov_b32_e32 v6, 0x7fc0
	v_cndmask_b32_sdwa v7, v6, v5, vcc dst_sel:DWORD dst_unused:UNUSED_PAD src0_sel:DWORD src1_sel:WORD_1
	v_add_u32_e32 v5, v4, v2
	v_mov_b32_e32 v6, 0
	v_lshlrev_b64 v[5:6], 1, v[5:6]
	s_waitcnt lgkmcnt(0)
	v_mov_b32_e32 v8, s13
	v_add_co_u32_e32 v5, vcc, s12, v5
	v_addc_co_u32_e32 v6, vcc, v8, v6, vcc
	global_store_short v[5:6], v7, off
	s_or_b64 exec, exec, s[8:9]
	s_and_saveexec_b64 s[8:9], s[6:7]
	s_cbranch_execnz .LBB158_59
	s_branch .LBB158_60
.LBB158_85:
	v_bfe_u32 v5, v34, 16, 1
	s_movk_i32 s0, 0x7fff
	v_add3_u32 v5, v34, v5, s0
	v_cmp_o_f32_e32 vcc, v34, v34
	v_mov_b32_e32 v6, 0x7fc0
	v_cndmask_b32_sdwa v7, v6, v5, vcc dst_sel:DWORD dst_unused:UNUSED_PAD src0_sel:DWORD src1_sel:WORD_1
	v_add_u32_e32 v5, v4, v0
	v_mov_b32_e32 v6, 0
	v_lshlrev_b64 v[5:6], 1, v[5:6]
	s_waitcnt lgkmcnt(0)
	v_mov_b32_e32 v0, s13
	v_add_co_u32_e32 v5, vcc, s12, v5
	v_addc_co_u32_e32 v6, vcc, v0, v6, vcc
	global_store_short v[5:6], v7, off
	s_or_b64 exec, exec, s[8:9]
	s_and_saveexec_b64 s[0:1], s[2:3]
	s_cbranch_execz .LBB158_63
.LBB158_86:
	v_bfe_u32 v0, v33, 16, 1
	s_movk_i32 s2, 0x7fff
	v_add3_u32 v0, v33, v0, s2
	v_cmp_o_f32_e32 vcc, v33, v33
	v_mov_b32_e32 v5, 0x7fc0
	v_cndmask_b32_sdwa v5, v5, v0, vcc dst_sel:DWORD dst_unused:UNUSED_PAD src0_sel:DWORD src1_sel:WORD_1
	v_add_u32_e32 v0, v4, v1
	v_mov_b32_e32 v1, 0
	v_lshlrev_b64 v[0:1], 1, v[0:1]
	s_waitcnt lgkmcnt(0)
	v_mov_b32_e32 v6, s13
	v_add_co_u32_e32 v0, vcc, s12, v0
	v_addc_co_u32_e32 v1, vcc, v6, v1, vcc
	global_store_short v[0:1], v5, off
	s_or_b64 exec, exec, s[0:1]
	s_and_saveexec_b64 s[0:1], s[4:5]
	s_cbranch_execz .LBB158_64
.LBB158_87:
	v_bfe_u32 v0, v32, 16, 1
	s_movk_i32 s2, 0x7fff
	v_add3_u32 v0, v32, v0, s2
	v_cmp_o_f32_e32 vcc, v32, v32
	v_mov_b32_e32 v1, 0x7fc0
	v_cndmask_b32_sdwa v5, v1, v0, vcc dst_sel:DWORD dst_unused:UNUSED_PAD src0_sel:DWORD src1_sel:WORD_1
	v_add_u32_e32 v0, v4, v2
	v_mov_b32_e32 v1, 0
	v_lshlrev_b64 v[0:1], 1, v[0:1]
	s_waitcnt lgkmcnt(0)
	v_mov_b32_e32 v2, s13
	v_add_co_u32_e32 v0, vcc, s12, v0
	v_addc_co_u32_e32 v1, vcc, v2, v1, vcc
	global_store_short v[0:1], v5, off
	s_or_b64 exec, exec, s[0:1]
	s_and_b64 exec, exec, s[6:7]
	s_cbranch_execnz .LBB158_65
	s_branch .LBB158_66
	.section	.rodata,"a",@progbits
	.p2align	6, 0x0
	.amdhsa_kernel _ZL12mul_mat_q4_0IN3c108BFloat16ELb1EEvPKvS3_PT_iiiii
		.amdhsa_group_segment_fixed_size 30336
		.amdhsa_private_segment_fixed_size 192
		.amdhsa_kernarg_size 44
		.amdhsa_user_sgpr_count 6
		.amdhsa_user_sgpr_private_segment_buffer 1
		.amdhsa_user_sgpr_dispatch_ptr 0
		.amdhsa_user_sgpr_queue_ptr 0
		.amdhsa_user_sgpr_kernarg_segment_ptr 1
		.amdhsa_user_sgpr_dispatch_id 0
		.amdhsa_user_sgpr_flat_scratch_init 0
		.amdhsa_user_sgpr_private_segment_size 0
		.amdhsa_uses_dynamic_stack 0
		.amdhsa_system_sgpr_private_segment_wavefront_offset 1
		.amdhsa_system_sgpr_workgroup_id_x 1
		.amdhsa_system_sgpr_workgroup_id_y 1
		.amdhsa_system_sgpr_workgroup_id_z 0
		.amdhsa_system_sgpr_workgroup_info 0
		.amdhsa_system_vgpr_workitem_id 1
		.amdhsa_next_free_vgpr 128
		.amdhsa_next_free_sgpr 98
		.amdhsa_reserve_vcc 1
		.amdhsa_reserve_flat_scratch 0
		.amdhsa_float_round_mode_32 0
		.amdhsa_float_round_mode_16_64 0
		.amdhsa_float_denorm_mode_32 3
		.amdhsa_float_denorm_mode_16_64 3
		.amdhsa_dx10_clamp 1
		.amdhsa_ieee_mode 1
		.amdhsa_fp16_overflow 0
		.amdhsa_exception_fp_ieee_invalid_op 0
		.amdhsa_exception_fp_denorm_src 0
		.amdhsa_exception_fp_ieee_div_zero 0
		.amdhsa_exception_fp_ieee_overflow 0
		.amdhsa_exception_fp_ieee_underflow 0
		.amdhsa_exception_fp_ieee_inexact 0
		.amdhsa_exception_int_div_zero 0
	.end_amdhsa_kernel
	.section	.text._ZL12mul_mat_q4_0IN3c108BFloat16ELb1EEvPKvS3_PT_iiiii,"axG",@progbits,_ZL12mul_mat_q4_0IN3c108BFloat16ELb1EEvPKvS3_PT_iiiii,comdat
.Lfunc_end158:
	.size	_ZL12mul_mat_q4_0IN3c108BFloat16ELb1EEvPKvS3_PT_iiiii, .Lfunc_end158-_ZL12mul_mat_q4_0IN3c108BFloat16ELb1EEvPKvS3_PT_iiiii
                                        ; -- End function
	.set _ZL12mul_mat_q4_0IN3c108BFloat16ELb1EEvPKvS3_PT_iiiii.num_vgpr, 128
	.set _ZL12mul_mat_q4_0IN3c108BFloat16ELb1EEvPKvS3_PT_iiiii.num_agpr, 0
	.set _ZL12mul_mat_q4_0IN3c108BFloat16ELb1EEvPKvS3_PT_iiiii.numbered_sgpr, 24
	.set _ZL12mul_mat_q4_0IN3c108BFloat16ELb1EEvPKvS3_PT_iiiii.num_named_barrier, 0
	.set _ZL12mul_mat_q4_0IN3c108BFloat16ELb1EEvPKvS3_PT_iiiii.private_seg_size, 192
	.set _ZL12mul_mat_q4_0IN3c108BFloat16ELb1EEvPKvS3_PT_iiiii.uses_vcc, 1
	.set _ZL12mul_mat_q4_0IN3c108BFloat16ELb1EEvPKvS3_PT_iiiii.uses_flat_scratch, 0
	.set _ZL12mul_mat_q4_0IN3c108BFloat16ELb1EEvPKvS3_PT_iiiii.has_dyn_sized_stack, 0
	.set _ZL12mul_mat_q4_0IN3c108BFloat16ELb1EEvPKvS3_PT_iiiii.has_recursion, 0
	.set _ZL12mul_mat_q4_0IN3c108BFloat16ELb1EEvPKvS3_PT_iiiii.has_indirect_call, 0
	.section	.AMDGPU.csdata,"",@progbits
; Kernel info:
; codeLenInByte = 14644
; TotalNumSgprs: 28
; NumVgprs: 128
; ScratchSize: 192
; MemoryBound: 0
; FloatMode: 240
; IeeeMode: 1
; LDSByteSize: 30336 bytes/workgroup (compile time only)
; SGPRBlocks: 12
; VGPRBlocks: 31
; NumSGPRsForWavesPerEU: 102
; NumVGPRsForWavesPerEU: 128
; Occupancy: 2
; WaveLimiterHint : 0
; COMPUTE_PGM_RSRC2:SCRATCH_EN: 1
; COMPUTE_PGM_RSRC2:USER_SGPR: 6
; COMPUTE_PGM_RSRC2:TRAP_HANDLER: 0
; COMPUTE_PGM_RSRC2:TGID_X_EN: 1
; COMPUTE_PGM_RSRC2:TGID_Y_EN: 1
; COMPUTE_PGM_RSRC2:TGID_Z_EN: 0
; COMPUTE_PGM_RSRC2:TIDIG_COMP_CNT: 1
	.section	.text._ZL12mul_mat_q4_1IN3c108BFloat16ELb0EEvPKvS3_PT_iiiii,"axG",@progbits,_ZL12mul_mat_q4_1IN3c108BFloat16ELb0EEvPKvS3_PT_iiiii,comdat
	.globl	_ZL12mul_mat_q4_1IN3c108BFloat16ELb0EEvPKvS3_PT_iiiii ; -- Begin function _ZL12mul_mat_q4_1IN3c108BFloat16ELb0EEvPKvS3_PT_iiiii
	.p2align	8
	.type	_ZL12mul_mat_q4_1IN3c108BFloat16ELb0EEvPKvS3_PT_iiiii,@function
_ZL12mul_mat_q4_1IN3c108BFloat16ELb0EEvPKvS3_PT_iiiii: ; @_ZL12mul_mat_q4_1IN3c108BFloat16ELb0EEvPKvS3_PT_iiiii
; %bb.0:
	s_mov_b64 s[22:23], s[2:3]
	s_mov_b64 s[20:21], s[0:1]
	s_add_u32 s20, s20, s8
	s_load_dword s14, s[4:5], 0x18
	s_load_dwordx4 s[8:11], s[4:5], 0x20
	s_addc_u32 s21, s21, 0
	v_mov_b32_e32 v38, v1
	s_waitcnt lgkmcnt(0)
	s_lshl_b32 s11, s7, 6
	s_cmp_gt_i32 s14, 31
	v_add_u32_e32 v12, s11, v38
	s_cbranch_scc1 .LBB159_2
; %bb.1:
	v_add_u32_e32 v1, s11, v38
	s_mov_b64 s[0:1], 0
	s_branch .LBB159_3
.LBB159_2:
	s_mov_b64 s[0:1], -1
                                        ; implicit-def: $vgpr1
.LBB159_3:
	s_load_dwordx2 s[12:13], s[4:5], 0x10
	s_lshl_b32 s6, s6, 7
	v_mov_b32_e32 v15, 0
	s_andn2_b64 vcc, exec, s[0:1]
	v_mov_b32_e32 v19, 0
	v_mov_b32_e32 v23, 0
	;; [unrolled: 1-line block ×31, first 2 shown]
	s_cbranch_vccnz .LBB159_14
; %bb.4:
	s_load_dwordx4 s[0:3], s[4:5], 0x0
	s_ashr_i32 s4, s14, 31
	s_lshr_b32 s4, s4, 27
	s_ashr_i32 s5, s9, 31
	s_add_i32 s14, s14, s4
	s_lshr_b32 s5, s5, 27
	s_ashr_i32 s4, s14, 5
	s_add_i32 s5, s9, s5
	s_ashr_i32 s16, s5, 5
	s_mul_i32 s5, s4, s6
	v_mul_lo_u32 v47, s4, v38
	s_mul_hi_i32 s7, s5, 20
	s_mul_i32 s5, s5, 20
	s_waitcnt lgkmcnt(0)
	s_add_u32 s5, s0, s5
	s_addc_u32 s7, s1, s7
	s_lshl_b32 s1, s4, 3
	v_add_u32_e32 v49, s1, v47
	v_add_u32_e32 v50, s1, v49
	;; [unrolled: 1-line block ×13, first 2 shown]
	v_lshrrev_b32_e32 v1, 3, v0
	v_add_u32_e32 v63, s1, v62
	v_and_b32_e32 v101, 7, v0
	v_lshl_add_u32 v1, v38, 2, v1
	v_add_u32_e32 v64, s1, v63
	v_and_b32_e32 v2, 0x7fc, v1
	v_lshlrev_b32_e32 v4, 2, v101
	s_movk_i32 s1, 0x6200
	v_add3_u32 v13, v2, v4, s1
	v_add_u32_e32 v2, 32, v1
	v_mul_lo_u32 v67, s4, v1
	v_lshlrev_b32_e32 v14, 5, v1
	v_and_b32_e32 v5, 0xffc, v2
	v_lshlrev_b32_e32 v16, 5, v2
	v_add_u32_e32 v2, 64, v1
	v_add_u32_e32 v1, 0x60, v1
	v_lshlrev_b32_e32 v3, 2, v0
	s_movk_i32 s0, 0x84
	v_add3_u32 v15, v5, v4, s1
	v_and_b32_e32 v5, 0xffc, v2
	v_lshlrev_b32_e32 v18, 5, v2
	v_and_b32_e32 v2, 0xffc, v1
	v_lshrrev_b32_e32 v100, 2, v0
	v_and_b32_e32 v46, 12, v3
	v_mad_u32_u24 v48, v38, s0, v3
	v_add3_u32 v17, v5, v4, s1
	v_add3_u32 v19, v2, v4, s1
	s_add_i32 s1, s8, -1
	v_and_b32_e32 v4, 31, v0
	v_and_b32_e32 v21, 28, v3
	v_mov_b32_e32 v3, 0x4200
	v_lshlrev_b32_e32 v20, 5, v1
	v_cvt_f64_i32_e32 v[1:2], s1
	v_lshl_or_b32 v25, v4, 2, v3
	v_lshl_add_u32 v3, v38, 3, v100
	v_cvt_f64_u32_e32 v[4:5], v12
	v_and_b32_e32 v10, 63, v3
	v_or_b32_e32 v6, s11, v10
	v_min_i32_e32 v11, s1, v6
	v_add_u32_e32 v6, 8, v12
	v_cvt_f64_u32_e32 v[6:7], v6
	v_min_f64 v[4:5], v[4:5], v[1:2]
	v_add_u32_e32 v8, 16, v12
	v_cvt_f64_u32_e32 v[8:9], v8
	v_min_f64 v[6:7], v[6:7], v[1:2]
	s_andn2_b32 s14, s14, 31
	v_add_u32_e32 v69, s14, v67
	v_add_u32_e32 v70, s14, v69
	v_and_b32_e32 v3, 3, v0
	v_add_u32_e32 v71, s14, v70
	v_mad_u64_u32 v[22:23], s[14:15], v11, s16, v[3:4]
	v_min_f64 v[8:9], v[8:9], v[1:2]
	v_cvt_i32_f64_e32 v4, v[4:5]
	v_lshlrev_b32_e32 v3, 2, v3
	v_lshl_or_b32 v3, v10, 4, v3
	v_add_u32_e32 v3, 0x7280, v3
	buffer_store_dword v22, off, s[20:23], 0 offset:52 ; 4-byte Folded Spill
	s_nop 0
	buffer_store_dword v23, off, s[20:23], 0 offset:56 ; 4-byte Folded Spill
	buffer_store_dword v3, off, s[20:23], 0 ; 4-byte Folded Spill
	v_cvt_i32_f64_e32 v3, v[6:7]
	v_mul_lo_u32 v4, s16, v4
	v_add_u32_e32 v7, 40, v12
	v_add_u32_e32 v5, 32, v12
	v_mul_lo_u32 v3, s16, v3
	buffer_store_dword v4, off, s[20:23], 0 offset:4 ; 4-byte Folded Spill
	v_cvt_i32_f64_e32 v4, v[8:9]
	v_cvt_f64_u32_e32 v[7:8], v7
	buffer_store_dword v3, off, s[20:23], 0 offset:8 ; 4-byte Folded Spill
	v_add_u32_e32 v9, 48, v12
	v_mul_lo_u32 v3, s16, v4
	v_min_f64 v[7:8], v[7:8], v[1:2]
	v_cvt_f64_u32_e32 v[9:10], v9
	v_add_u32_e32 v11, 56, v12
	buffer_store_dword v3, off, s[20:23], 0 offset:12 ; 4-byte Folded Spill
	v_add_u32_e32 v3, 24, v12
	v_cvt_f64_u32_e32 v[3:4], v3
	v_cvt_f64_u32_e32 v[5:6], v5
	buffer_store_dword v12, off, s[20:23], 0 offset:108 ; 4-byte Folded Spill
	v_cvt_f64_u32_e32 v[11:12], v11
	v_min_f64 v[3:4], v[3:4], v[1:2]
	v_cvt_i32_f64_e32 v7, v[7:8]
	v_min_f64 v[5:6], v[5:6], v[1:2]
	v_add_u32_e32 v8, 0x60, v0
	v_and_b32_e32 v8, 0x1fc, v8
	v_lshlrev_b32_e32 v26, 7, v38
	v_add_u32_e32 v22, 0x400, v26
	v_add_u32_e32 v23, 0x800, v26
	v_cvt_i32_f64_e32 v24, v[3:4]
	v_min_f64 v[3:4], v[9:10], v[1:2]
	v_min_f64 v[1:2], v[11:12], v[1:2]
	v_add_co_u32_e32 v11, vcc, s2, v21
	v_cvt_i32_f64_e32 v5, v[5:6]
	v_mul_lo_u32 v6, s16, v24
	v_mov_b32_e32 v40, 0
	s_add_i32 s9, s4, 3
	v_cvt_i32_f64_e32 v3, v[3:4]
	v_mul_lo_u32 v4, s16, v7
	v_add_u32_e32 v7, 64, v0
	v_cvt_i32_f64_e32 v1, v[1:2]
	v_and_b32_e32 v7, 0x1fc, v7
	buffer_store_dword v4, off, s[20:23], 0 offset:24 ; 4-byte Folded Spill
	v_add_u32_e32 v4, 32, v0
	v_lshrrev_b32_e32 v9, 3, v4
	buffer_store_dword v9, off, s[20:23], 0 offset:80 ; 4-byte Folded Spill
	v_mov_b32_e32 v9, s3
	v_addc_co_u32_e32 v12, vcc, 0, v9, vcc
	v_lshlrev_b32_e32 v9, 5, v0
	v_add_u32_e32 v8, v9, v8
	v_add_u32_e32 v10, 0x6e00, v8
	v_add_u32_e32 v7, v9, v7
	v_and_b32_e32 v4, 0x1fc, v4
	buffer_store_dword v10, off, s[20:23], 0 offset:64 ; 4-byte Folded Spill
	v_add_u32_e32 v10, 0x6a00, v7
	v_add_u32_e32 v4, v9, v4
	buffer_store_dword v10, off, s[20:23], 0 offset:68 ; 4-byte Folded Spill
	v_add_u32_e32 v10, 0x6600, v4
	v_mul_lo_u32 v5, s16, v5
	v_mul_lo_u32 v3, s16, v3
	;; [unrolled: 1-line block ×3, first 2 shown]
	buffer_store_dword v10, off, s[20:23], 0 offset:72 ; 4-byte Folded Spill
	v_and_b32_e32 v10, 0xfc, v0
	v_add_u32_e32 v9, v9, v10
	v_add_u32_e32 v10, 0x6200, v9
	;; [unrolled: 1-line block ×3, first 2 shown]
	buffer_store_dword v10, off, s[20:23], 0 offset:76 ; 4-byte Folded Spill
	v_mov_b32_e32 v10, 0x7280
	buffer_store_dword v4, off, s[20:23], 0 offset:96 ; 4-byte Folded Spill
	v_add_u32_e32 v4, 0x6210, v9
	buffer_store_dword v6, off, s[20:23], 0 offset:16 ; 4-byte Folded Spill
	v_add_u32_e32 v6, 0xc00, v26
	;; [unrolled: 2-line block ×3, first 2 shown]
	v_add_u32_e32 v2, 0x1400, v26
	buffer_store_dword v3, off, s[20:23], 0 offset:28 ; 4-byte Folded Spill
	v_add_u32_e32 v3, 0x1800, v26
	buffer_store_dword v1, off, s[20:23], 0 offset:32 ; 4-byte Folded Spill
	v_add_u32_e32 v1, 0x1c00, v26
	v_lshl_add_u32 v89, v38, 4, v10
	v_add_u32_e32 v10, 0x4200, v26
	buffer_store_dword v4, off, s[20:23], 0 offset:100 ; 4-byte Folded Spill
	v_add_u32_e32 v4, v25, v22
	buffer_store_dword v26, off, s[20:23], 0 offset:60 ; 4-byte Folded Spill
	buffer_store_dword v10, off, s[20:23], 0 offset:36 ; 4-byte Folded Spill
	v_mad_u32_u24 v10, v0, s0, 64
	v_add_u32_e32 v8, 0x6e10, v8
	v_add_u32_e32 v7, 0x6a10, v7
	s_mov_b32 s14, 0
	v_add_u32_e32 v96, v13, v14
	v_add_u32_e32 v97, v15, v16
	;; [unrolled: 1-line block ×4, first 2 shown]
	buffer_store_dword v4, off, s[20:23], 0 offset:40 ; 4-byte Folded Spill
	v_add_u32_e32 v4, v25, v23
	v_add_u32_e32 v102, v25, v6
	;; [unrolled: 1-line block ×5, first 2 shown]
	buffer_store_dword v25, off, s[20:23], 0 offset:48 ; 4-byte Folded Spill
	v_add_u32_e32 v106, v25, v1
	v_mov_b32_e32 v44, 0
	v_mov_b32_e32 v39, 0
	;; [unrolled: 1-line block ×31, first 2 shown]
	buffer_store_dword v38, off, s[20:23], 0 offset:104 ; 4-byte Folded Spill
	buffer_store_dword v10, off, s[20:23], 0 offset:84 ; 4-byte Folded Spill
	;; [unrolled: 1-line block ×5, first 2 shown]
	s_branch .LBB159_6
.LBB159_5:                              ;   in Loop: Header=BB159_6 Depth=1
	s_add_i32 s14, s14, 8
	s_add_i32 s9, s9, -8
	s_cmp_ge_i32 s14, s4
	s_cbranch_scc1 .LBB159_13
.LBB159_6:                              ; =>This Loop Header: Depth=1
                                        ;     Child Loop BB159_8 Depth 2
                                        ;     Child Loop BB159_11 Depth 2
	s_mul_i32 s0, s14, 20
	s_mul_hi_u32 s1, s14, 20
	s_add_u32 s0, s5, s0
	s_addc_u32 s1, s7, s1
	v_mad_u64_u32 v[2:3], s[16:17], v100, 20, s[0:1]
	v_mad_u64_u32 v[84:85], s[0:1], v101, 20, s[0:1]
	;; [unrolled: 1-line block ×4, first 2 shown]
	v_add_co_u32_e32 v4, vcc, v4, v46
	v_mad_u64_u32 v[8:9], s[16:17], v50, 20, v[2:3]
	v_addc_co_u32_e32 v5, vcc, 0, v5, vcc
	v_add_co_u32_e32 v6, vcc, v6, v46
	v_addc_co_u32_e32 v7, vcc, 0, v7, vcc
	v_mad_u64_u32 v[13:14], s[16:17], v51, 20, v[2:3]
	v_add_co_u32_e32 v65, vcc, v8, v46
	v_addc_co_u32_e32 v66, vcc, 0, v9, vcc
	v_mad_u64_u32 v[8:9], s[16:17], v52, 20, v[2:3]
	;; [unrolled: 3-line block ×4, first 2 shown]
	v_add_co_u32_e32 v74, vcc, v74, v46
	v_mad_u64_u32 v[78:79], s[16:17], v55, 20, v[2:3]
	v_addc_co_u32_e32 v75, vcc, 0, v75, vcc
	v_add_co_u32_e32 v80, vcc, v8, v46
	v_addc_co_u32_e32 v81, vcc, 0, v9, vcc
	v_add_co_u32_e32 v78, vcc, v78, v46
	v_addc_co_u32_e32 v79, vcc, 0, v79, vcc
	global_load_dword v9, v[4:5], off offset:4
	global_load_dword v8, v[6:7], off offset:4
	s_nop 0
	global_load_dword v7, v[65:66], off offset:4
	global_load_dword v6, v[13:14], off offset:4
	;; [unrolled: 1-line block ×6, first 2 shown]
	v_mad_u64_u32 v[13:14], s[16:17], v56, 20, v[2:3]
	v_mad_u64_u32 v[65:66], s[16:17], v58, 20, v[2:3]
	v_add_co_u32_e32 v13, vcc, v13, v46
	v_mad_u64_u32 v[74:75], s[16:17], v59, 20, v[2:3]
	v_addc_co_u32_e32 v14, vcc, 0, v14, vcc
	v_add_co_u32_e32 v65, vcc, v65, v46
	v_mad_u64_u32 v[76:77], s[16:17], v60, 20, v[2:3]
	v_addc_co_u32_e32 v66, vcc, 0, v66, vcc
	;; [unrolled: 3-line block ×6, first 2 shown]
	v_add_co_u32_e32 v82, vcc, v82, v46
	v_addc_co_u32_e32 v83, vcc, 0, v83, vcc
	v_add_co_u32_e32 v2, vcc, v2, v46
	v_addc_co_u32_e32 v3, vcc, 0, v3, vcc
	global_load_dword v38, v[13:14], off offset:4
	global_load_dword v45, v[65:66], off offset:4
	;; [unrolled: 1-line block ×3, first 2 shown]
	s_nop 0
	global_load_dword v76, v[76:77], off offset:4
	s_nop 0
	global_load_dword v77, v[78:79], off offset:4
	;; [unrolled: 2-line block ×3, first 2 shown]
	global_load_dword v79, v[82:83], off offset:4
	s_nop 0
	global_load_dword v80, v[2:3], off offset:4
	v_mad_u64_u32 v[2:3], s[0:1], v67, 20, v[84:85]
	v_mad_u64_u32 v[13:14], s[0:1], v69, 20, v[84:85]
	;; [unrolled: 1-line block ×4, first 2 shown]
	global_load_dword v2, v[2:3], off
	s_nop 0
	global_load_dword v3, v[13:14], off
	s_nop 0
	global_load_dword v13, v[65:66], off
	global_load_dword v14, v[74:75], off
	s_cmp_gt_u32 s9, 3
	s_waitcnt vmcnt(19)
	ds_write_b32 v48, v9
	v_add_u32_e32 v9, 0x420, v48
	s_waitcnt vmcnt(18)
	ds_write_b32 v9, v8
	v_add_u32_e32 v8, 0x840, v48
	;; [unrolled: 3-line block ×15, first 2 shown]
	s_waitcnt vmcnt(4)
	ds_write_b32 v1, v80
	s_waitcnt vmcnt(3)
	ds_write_b32 v96, v2
	;; [unrolled: 2-line block ×5, first 2 shown]
	s_cbranch_scc0 .LBB159_5
; %bb.7:                                ;   in Loop: Header=BB159_6 Depth=1
	buffer_load_dword v1, off, s[20:23], 0 offset:52 ; 4-byte Folded Reload
	buffer_load_dword v2, off, s[20:23], 0 offset:56 ; 4-byte Folded Reload
	v_mov_b32_e32 v110, v89
	v_mul_u32_u24_e32 v115, 0x84, v0
	buffer_load_dword v3, off, s[20:23], 0 offset:8 ; 4-byte Folded Reload
	buffer_load_dword v5, off, s[20:23], 0 offset:12 ; 4-byte Folded Reload
	;; [unrolled: 1-line block ×6, first 2 shown]
	s_waitcnt vmcnt(7)
	v_add_u32_e32 v107, s14, v1
	v_lshrrev_b32_e32 v1, 3, v0
	v_add_u32_e32 v38, s14, v1
	buffer_load_dword v1, off, s[20:23], 0 offset:4 ; 4-byte Folded Reload
	v_mad_u64_u32 v[74:75], s[0:1], v107, 36, s[2:3]
	s_waitcnt vmcnt(6)
	v_add_u32_e32 v3, v38, v3
	s_waitcnt vmcnt(5)
	v_add_u32_e32 v5, v38, v5
	;; [unrolled: 2-line block ×4, first 2 shown]
	v_add_u32_e32 v9, v38, v9
	v_add_u32_e32 v13, v38, v13
	v_mad_i64_i32 v[65:66], s[0:1], v45, 36, v[11:12]
	buffer_load_dword v45, off, s[20:23], 0 offset:32 ; 4-byte Folded Reload
	v_mad_i64_i32 v[3:4], s[0:1], v3, 36, v[11:12]
	v_mad_i64_i32 v[5:6], s[0:1], v5, 36, v[11:12]
	;; [unrolled: 1-line block ×5, first 2 shown]
	s_waitcnt vmcnt(1)
	v_add_u32_e32 v1, v38, v1
	v_mad_i64_i32 v[1:2], s[0:1], v1, 36, v[11:12]
	s_waitcnt vmcnt(0)
	v_add_u32_e32 v38, v38, v45
	v_mad_i64_i32 v[76:77], s[0:1], v38, 36, v[11:12]
	global_load_dword v38, v[74:75], off
	s_nop 0
	global_load_dword v1, v[1:2], off offset:4
	s_nop 0
	global_load_dword v2, v[3:4], off offset:4
	;; [unrolled: 2-line block ×3, first 2 shown]
	global_load_dword v4, v[7:8], off offset:4
	s_nop 0
	global_load_dword v5, v[9:10], off offset:4
	global_load_dword v6, v[13:14], off offset:4
	;; [unrolled: 1-line block ×4, first 2 shown]
	s_nop 0
	buffer_load_dword v9, off, s[20:23], 0 offset:48 ; 4-byte Folded Reload
	buffer_load_dword v10, off, s[20:23], 0 offset:60 ; 4-byte Folded Reload
	;; [unrolled: 1-line block ×7, first 2 shown]
	s_mov_b32 s0, -4
	s_waitcnt vmcnt(5)
	v_add_u32_e32 v108, v9, v10
	buffer_load_dword v9, off, s[20:23], 0  ; 4-byte Folded Reload
	s_waitcnt vmcnt(0)
	ds_write_b32 v9, v38
	ds_write_b32 v108, v1
	buffer_load_dword v1, off, s[20:23], 0 offset:40 ; 4-byte Folded Reload
	s_waitcnt vmcnt(0)
	ds_write_b32 v1, v2
	buffer_load_dword v1, off, s[20:23], 0 offset:44 ; 4-byte Folded Reload
	s_waitcnt vmcnt(0)
	ds_write_b32 v1, v3
	ds_write_b32 v102, v4
	;; [unrolled: 1-line block ×6, first 2 shown]
	s_waitcnt lgkmcnt(0)
	s_barrier
.LBB159_8:                              ;   Parent Loop BB159_6 Depth=1
                                        ; =>  This Inner Loop Header: Depth=2
	ds_read_b128 v[2:5], v109
	ds_read_b128 v[6:9], v109 offset:16
	ds_read2_b32 v[13:14], v110 offset1:32
	ds_read_b32 v116, v111
	ds_read2_b32 v[65:66], v115 offset1:1
	s_add_i32 s0, s0, 4
	v_add_u32_e32 v111, 4, v111
	s_cmp_lt_u32 s0, 12
	s_waitcnt lgkmcnt(1)
	v_pk_mul_f16 v80, v116, v14
	s_waitcnt lgkmcnt(0)
	v_and_b32_e32 v117, 0xf0f0f0f, v65
	v_lshrrev_b32_e32 v1, 4, v65
	v_and_b32_e32 v119, 0xf0f0f0f, v66
	v_lshrrev_b32_e32 v10, 4, v66
	ds_read2_b32 v[65:66], v115 offset0:2 offset1:3
	v_and_b32_e32 v118, 0xf0f0f0f, v1
	v_dot4_i32_i8 v1, v117, v2, 0
	v_dot4_i32_i8 v1, v118, v6, v1
	v_and_b32_e32 v120, 0xf0f0f0f, v10
	v_dot4_i32_i8 v1, v119, v3, v1
	v_dot4_i32_i8 v1, v120, v7, v1
	s_waitcnt lgkmcnt(0)
	v_and_b32_e32 v121, 0xf0f0f0f, v65
	v_lshrrev_b32_e32 v10, 4, v65
	v_and_b32_e32 v122, 0xf0f0f0f, v10
	v_dot4_i32_i8 v1, v121, v4, v1
	v_dot4_i32_i8 v1, v122, v8, v1
	v_and_b32_e32 v123, 0xf0f0f0f, v66
	v_lshrrev_b32_e32 v10, 4, v66
	v_and_b32_e32 v124, 0xf0f0f0f, v10
	v_dot4_i32_i8 v1, v123, v5, v1
	v_dot4_i32_i8 v1, v124, v9, v1
	v_cvt_f32_i32_e32 v1, v1
	v_pk_mul_f16 v10, v13, v116
	v_fma_mix_f32 v1, v10, v1, v10 op_sel:[0,0,1] op_sel_hi:[1,0,1]
	v_add_f32_e32 v40, v40, v1
	v_add_u32_e32 v1, 0x1080, v115
	ds_read_b32 v126, v112
	ds_read2_b32 v[74:75], v1 offset1:1
	v_add_u32_e32 v112, 4, v112
	s_waitcnt lgkmcnt(0)
	v_lshrrev_b32_e32 v10, 4, v75
	v_and_b32_e32 v91, 0xf0f0f0f, v10
	v_add_u32_e32 v10, 0x1088, v115
	v_and_b32_e32 v127, 0xf0f0f0f, v74
	v_lshrrev_b32_e32 v1, 4, v74
	v_and_b32_e32 v84, 0xf0f0f0f, v75
	ds_read2_b32 v[74:75], v10 offset1:1
	v_and_b32_e32 v66, 0xf0f0f0f, v1
	v_dot4_i32_i8 v1, v127, v2, 0
	v_dot4_i32_i8 v1, v66, v6, v1
	;; [unrolled: 1-line block ×4, first 2 shown]
	s_waitcnt lgkmcnt(0)
	v_and_b32_e32 v92, 0xf0f0f0f, v74
	v_lshrrev_b32_e32 v10, 4, v74
	v_and_b32_e32 v93, 0xf0f0f0f, v10
	v_dot4_i32_i8 v1, v92, v4, v1
	v_dot4_i32_i8 v1, v93, v8, v1
	v_and_b32_e32 v94, 0xf0f0f0f, v75
	v_lshrrev_b32_e32 v10, 4, v75
	v_and_b32_e32 v95, 0xf0f0f0f, v10
	v_dot4_i32_i8 v1, v94, v5, v1
	v_dot4_i32_i8 v1, v95, v9, v1
	v_cvt_f32_i32_e32 v1, v1
	v_pk_mul_f16 v10, v13, v126
	v_fma_mix_f32 v1, v10, v1, v10 op_sel:[0,0,1] op_sel_hi:[1,0,1]
	v_add_f32_e32 v73, v73, v1
	v_add_u32_e32 v1, 0x2100, v115
	ds_read_b32 v38, v113
	ds_read2_b32 v[74:75], v1 offset1:1
	v_add_u32_e32 v113, 4, v113
	s_waitcnt lgkmcnt(0)
	v_and_b32_e32 v76, 0xf0f0f0f, v74
	v_lshrrev_b32_e32 v1, 4, v74
	v_and_b32_e32 v1, 0xf0f0f0f, v1
	v_dot4_i32_i8 v10, v76, v2, 0
	v_dot4_i32_i8 v10, v1, v6, v10
	v_and_b32_e32 v90, 0xf0f0f0f, v75
	v_lshrrev_b32_e32 v45, 4, v75
	v_and_b32_e32 v45, 0xf0f0f0f, v45
	v_dot4_i32_i8 v10, v90, v3, v10
	v_dot4_i32_i8 v72, v45, v7, v10
	v_add_u32_e32 v10, 0x2108, v115
	ds_read2_b32 v[74:75], v10 offset1:1
	s_waitcnt lgkmcnt(0)
	v_and_b32_e32 v65, 0xf0f0f0f, v74
	v_lshrrev_b32_e32 v10, 4, v74
	v_and_b32_e32 v10, 0xf0f0f0f, v10
	v_dot4_i32_i8 v72, v65, v4, v72
	v_dot4_i32_i8 v72, v10, v8, v72
	v_and_b32_e32 v85, 0xf0f0f0f, v75
	v_lshrrev_b32_e32 v74, 4, v75
	v_and_b32_e32 v86, 0xf0f0f0f, v74
	v_dot4_i32_i8 v72, v85, v5, v72
	v_dot4_i32_i8 v72, v86, v9, v72
	v_cvt_f32_i32_e32 v72, v72
	v_pk_mul_f16 v74, v13, v38
	v_fma_mix_f32 v72, v74, v72, v74 op_sel:[0,0,1] op_sel_hi:[1,0,1]
	v_add_f32_e32 v68, v68, v72
	v_add_u32_e32 v72, 0x3180, v115
	ds_read_b32 v125, v114
	ds_read2_b32 v[74:75], v72 offset1:1
	v_add_u32_e32 v114, 4, v114
	s_waitcnt lgkmcnt(0)
	v_and_b32_e32 v77, 0xf0f0f0f, v74
	v_lshrrev_b32_e32 v72, 4, v74
	v_and_b32_e32 v78, 0xf0f0f0f, v72
	v_dot4_i32_i8 v2, v77, v2, 0
	v_dot4_i32_i8 v2, v78, v6, v2
	v_and_b32_e32 v74, 0xf0f0f0f, v75
	v_lshrrev_b32_e32 v6, 4, v75
	v_and_b32_e32 v87, 0xf0f0f0f, v6
	v_dot4_i32_i8 v2, v74, v3, v2
	v_dot4_i32_i8 v6, v87, v7, v2
	v_add_u32_e32 v2, 0x3188, v115
	ds_read2_b32 v[2:3], v2 offset1:1
	v_add_u32_e32 v115, 16, v115
	s_waitcnt lgkmcnt(0)
	v_and_b32_e32 v79, 0xf0f0f0f, v2
	v_lshrrev_b32_e32 v2, 4, v2
	v_and_b32_e32 v75, 0xf0f0f0f, v2
	v_dot4_i32_i8 v2, v79, v4, v6
	v_dot4_i32_i8 v2, v75, v8, v2
	v_and_b32_e32 v88, 0xf0f0f0f, v3
	v_lshrrev_b32_e32 v3, 4, v3
	v_and_b32_e32 v72, 0xf0f0f0f, v3
	v_dot4_i32_i8 v2, v88, v5, v2
	v_dot4_i32_i8 v2, v72, v9, v2
	v_cvt_f32_i32_e32 v2, v2
	v_pk_mul_f16 v3, v13, v125
	v_fma_mix_f32 v2, v3, v2, v3 op_sel:[0,0,1] op_sel_hi:[1,0,1]
	v_add_f32_e32 v57, v57, v2
	ds_read_b128 v[2:5], v109 offset:1024
	ds_read_b128 v[6:9], v109 offset:1040
	s_waitcnt lgkmcnt(1)
	v_dot4_i32_i8 v13, v117, v2, 0
	s_waitcnt lgkmcnt(0)
	v_dot4_i32_i8 v13, v118, v6, v13
	v_dot4_i32_i8 v13, v119, v3, v13
	;; [unrolled: 1-line block ×7, first 2 shown]
	v_cvt_f32_i32_e32 v13, v13
	v_fma_mix_f32 v13, v13, v80, v80 op_sel:[0,0,1] op_sel_hi:[0,1,1]
	v_add_f32_e32 v44, v44, v13
	v_dot4_i32_i8 v13, v127, v2, 0
	v_dot4_i32_i8 v13, v66, v6, v13
	;; [unrolled: 1-line block ×8, first 2 shown]
	v_cvt_f32_i32_e32 v13, v13
	v_pk_mul_f16 v80, v126, v14
	v_fma_mix_f32 v13, v13, v80, v80 op_sel:[0,0,1] op_sel_hi:[0,1,1]
	v_add_f32_e32 v43, v43, v13
	v_dot4_i32_i8 v13, v76, v2, 0
	v_dot4_i32_i8 v2, v77, v2, 0
	;; [unrolled: 1-line block ×16, first 2 shown]
	v_cvt_f32_i32_e32 v2, v2
	v_cvt_f32_i32_e32 v13, v13
	v_pk_mul_f16 v3, v125, v14
	v_pk_mul_f16 v80, v38, v14
	v_fma_mix_f32 v2, v2, v3, v3 op_sel:[0,0,1] op_sel_hi:[0,1,1]
	v_fma_mix_f32 v13, v13, v80, v80 op_sel:[0,0,1] op_sel_hi:[0,1,1]
	v_add_f32_e32 v41, v41, v2
	ds_read_b128 v[4:7], v109 offset:2048
	ds_read_b128 v[80:83], v109 offset:2064
	ds_read2_b32 v[2:3], v110 offset0:64 offset1:96
	v_add_f32_e32 v42, v42, v13
	s_waitcnt lgkmcnt(2)
	v_dot4_i32_i8 v8, v117, v4, 0
	s_waitcnt lgkmcnt(1)
	v_dot4_i32_i8 v8, v118, v80, v8
	v_dot4_i32_i8 v8, v119, v5, v8
	;; [unrolled: 1-line block ×7, first 2 shown]
	v_cvt_f32_i32_e32 v8, v8
	s_waitcnt lgkmcnt(0)
	v_pk_mul_f16 v9, v116, v2
	v_fma_mix_f32 v8, v8, v9, v9 op_sel:[0,0,1] op_sel_hi:[0,1,1]
	v_add_f32_e32 v39, v39, v8
	v_dot4_i32_i8 v8, v127, v4, 0
	v_dot4_i32_i8 v8, v66, v80, v8
	;; [unrolled: 1-line block ×8, first 2 shown]
	v_cvt_f32_i32_e32 v8, v8
	v_pk_mul_f16 v9, v126, v2
	v_fma_mix_f32 v8, v8, v9, v9 op_sel:[0,0,1] op_sel_hi:[0,1,1]
	v_add_f32_e32 v37, v37, v8
	v_dot4_i32_i8 v8, v76, v4, 0
	v_dot4_i32_i8 v4, v77, v4, 0
	;; [unrolled: 1-line block ×12, first 2 shown]
	v_cvt_f32_i32_e32 v4, v4
	v_dot4_i32_i8 v8, v65, v6, v8
	v_dot4_i32_i8 v8, v10, v82, v8
	;; [unrolled: 1-line block ×3, first 2 shown]
	v_pk_mul_f16 v9, v38, v2
	v_pk_mul_f16 v2, v125, v2
	v_dot4_i32_i8 v8, v86, v83, v8
	v_fma_mix_f32 v2, v4, v2, v2 op_sel:[0,0,1] op_sel_hi:[0,1,1]
	ds_read_b128 v[4:7], v109 offset:3072
	ds_read_b128 v[80:83], v109 offset:3088
	v_add_f32_e32 v35, v35, v2
	v_cvt_f32_i32_e32 v8, v8
	s_waitcnt lgkmcnt(1)
	v_dot4_i32_i8 v2, v117, v4, 0
	s_waitcnt lgkmcnt(0)
	v_dot4_i32_i8 v2, v118, v80, v2
	v_dot4_i32_i8 v2, v119, v5, v2
	;; [unrolled: 1-line block ×7, first 2 shown]
	v_cvt_f32_i32_e32 v2, v2
	v_fma_mix_f32 v8, v8, v9, v9 op_sel:[0,0,1] op_sel_hi:[0,1,1]
	v_add_f32_e32 v36, v36, v8
	v_pk_mul_f16 v8, v116, v3
	v_fma_mix_f32 v2, v2, v8, v8 op_sel:[0,0,1] op_sel_hi:[0,1,1]
	v_add_f32_e32 v34, v34, v2
	v_dot4_i32_i8 v2, v127, v4, 0
	v_dot4_i32_i8 v2, v66, v80, v2
	;; [unrolled: 1-line block ×8, first 2 shown]
	v_cvt_f32_i32_e32 v2, v2
	v_pk_mul_f16 v8, v126, v3
	v_fma_mix_f32 v2, v2, v8, v8 op_sel:[0,0,1] op_sel_hi:[0,1,1]
	v_add_f32_e32 v33, v33, v2
	v_dot4_i32_i8 v2, v76, v4, 0
	v_dot4_i32_i8 v2, v1, v80, v2
	;; [unrolled: 1-line block ×8, first 2 shown]
	v_cvt_f32_i32_e32 v2, v2
	v_pk_mul_f16 v8, v38, v3
	v_pk_mul_f16 v3, v125, v3
	v_fma_mix_f32 v2, v2, v8, v8 op_sel:[0,0,1] op_sel_hi:[0,1,1]
	v_add_f32_e32 v32, v32, v2
	v_dot4_i32_i8 v2, v77, v4, 0
	v_dot4_i32_i8 v2, v78, v80, v2
	;; [unrolled: 1-line block ×8, first 2 shown]
	v_cvt_f32_i32_e32 v2, v2
	v_fma_mix_f32 v2, v2, v3, v3 op_sel:[0,0,1] op_sel_hi:[0,1,1]
	v_add_f32_e32 v31, v31, v2
	ds_read_b128 v[2:5], v109 offset:4096
	ds_read_b128 v[6:9], v109 offset:4112
	ds_read2_b32 v[13:14], v110 offset0:128 offset1:160
	s_waitcnt lgkmcnt(2)
	v_dot4_i32_i8 v80, v117, v2, 0
	s_waitcnt lgkmcnt(1)
	v_dot4_i32_i8 v80, v118, v6, v80
	v_dot4_i32_i8 v80, v119, v3, v80
	;; [unrolled: 1-line block ×7, first 2 shown]
	v_cvt_f32_i32_e32 v80, v80
	s_waitcnt lgkmcnt(0)
	v_pk_mul_f16 v81, v116, v13
	v_fma_mix_f32 v80, v80, v81, v81 op_sel:[0,0,1] op_sel_hi:[0,1,1]
	v_add_f32_e32 v30, v30, v80
	v_dot4_i32_i8 v80, v127, v2, 0
	v_dot4_i32_i8 v80, v66, v6, v80
	;; [unrolled: 1-line block ×8, first 2 shown]
	v_cvt_f32_i32_e32 v80, v80
	v_pk_mul_f16 v81, v126, v13
	v_fma_mix_f32 v80, v80, v81, v81 op_sel:[0,0,1] op_sel_hi:[0,1,1]
	v_add_f32_e32 v29, v29, v80
	v_dot4_i32_i8 v80, v76, v2, 0
	v_dot4_i32_i8 v2, v77, v2, 0
	;; [unrolled: 1-line block ×11, first 2 shown]
	v_cvt_f32_i32_e32 v2, v2
	v_dot4_i32_i8 v80, v45, v7, v80
	v_dot4_i32_i8 v80, v65, v4, v80
	;; [unrolled: 1-line block ×3, first 2 shown]
	v_pk_mul_f16 v3, v125, v13
	v_dot4_i32_i8 v80, v85, v5, v80
	v_fma_mix_f32 v2, v2, v3, v3 op_sel:[0,0,1] op_sel_hi:[0,1,1]
	v_dot4_i32_i8 v80, v86, v9, v80
	v_add_f32_e32 v27, v27, v2
	ds_read_b128 v[2:5], v109 offset:5120
	ds_read_b128 v[6:9], v109 offset:5136
	v_pk_mul_f16 v81, v38, v13
	v_cvt_f32_i32_e32 v80, v80
	s_waitcnt lgkmcnt(1)
	v_dot4_i32_i8 v13, v117, v2, 0
	s_waitcnt lgkmcnt(0)
	v_dot4_i32_i8 v13, v118, v6, v13
	v_dot4_i32_i8 v13, v119, v3, v13
	;; [unrolled: 1-line block ×7, first 2 shown]
	v_cvt_f32_i32_e32 v13, v13
	v_fma_mix_f32 v80, v80, v81, v81 op_sel:[0,0,1] op_sel_hi:[0,1,1]
	v_add_f32_e32 v28, v28, v80
	v_pk_mul_f16 v80, v116, v14
	v_fma_mix_f32 v13, v13, v80, v80 op_sel:[0,0,1] op_sel_hi:[0,1,1]
	v_add_f32_e32 v26, v26, v13
	v_dot4_i32_i8 v13, v127, v2, 0
	v_dot4_i32_i8 v13, v66, v6, v13
	;; [unrolled: 1-line block ×8, first 2 shown]
	v_cvt_f32_i32_e32 v13, v13
	v_pk_mul_f16 v80, v126, v14
	v_fma_mix_f32 v13, v13, v80, v80 op_sel:[0,0,1] op_sel_hi:[0,1,1]
	v_add_f32_e32 v25, v25, v13
	v_dot4_i32_i8 v13, v76, v2, 0
	v_dot4_i32_i8 v2, v77, v2, 0
	;; [unrolled: 1-line block ×16, first 2 shown]
	v_cvt_f32_i32_e32 v2, v2
	v_cvt_f32_i32_e32 v13, v13
	v_pk_mul_f16 v3, v125, v14
	v_pk_mul_f16 v80, v38, v14
	v_fma_mix_f32 v2, v2, v3, v3 op_sel:[0,0,1] op_sel_hi:[0,1,1]
	v_fma_mix_f32 v13, v13, v80, v80 op_sel:[0,0,1] op_sel_hi:[0,1,1]
	v_add_f32_e32 v23, v23, v2
	ds_read_b128 v[4:7], v109 offset:6144
	ds_read_b128 v[80:83], v109 offset:6160
	ds_read2_b32 v[2:3], v110 offset0:192 offset1:224
	v_add_f32_e32 v24, v24, v13
	v_add_u32_e32 v110, 4, v110
	s_waitcnt lgkmcnt(2)
	v_dot4_i32_i8 v8, v117, v4, 0
	s_waitcnt lgkmcnt(1)
	v_dot4_i32_i8 v8, v118, v80, v8
	v_dot4_i32_i8 v8, v119, v5, v8
	;; [unrolled: 1-line block ×7, first 2 shown]
	v_cvt_f32_i32_e32 v8, v8
	s_waitcnt lgkmcnt(0)
	v_pk_mul_f16 v9, v116, v2
	v_fma_mix_f32 v8, v8, v9, v9 op_sel:[0,0,1] op_sel_hi:[0,1,1]
	v_add_f32_e32 v22, v22, v8
	v_dot4_i32_i8 v8, v127, v4, 0
	v_dot4_i32_i8 v8, v66, v80, v8
	;; [unrolled: 1-line block ×8, first 2 shown]
	v_cvt_f32_i32_e32 v8, v8
	v_pk_mul_f16 v9, v126, v2
	v_fma_mix_f32 v8, v8, v9, v9 op_sel:[0,0,1] op_sel_hi:[0,1,1]
	v_add_f32_e32 v21, v21, v8
	v_dot4_i32_i8 v8, v76, v4, 0
	v_dot4_i32_i8 v4, v77, v4, 0
	;; [unrolled: 1-line block ×12, first 2 shown]
	v_cvt_f32_i32_e32 v4, v4
	v_dot4_i32_i8 v8, v65, v6, v8
	v_dot4_i32_i8 v8, v10, v82, v8
	;; [unrolled: 1-line block ×3, first 2 shown]
	v_pk_mul_f16 v9, v38, v2
	v_pk_mul_f16 v2, v125, v2
	v_dot4_i32_i8 v8, v86, v83, v8
	v_fma_mix_f32 v2, v4, v2, v2 op_sel:[0,0,1] op_sel_hi:[0,1,1]
	ds_read_b128 v[4:7], v109 offset:7168
	ds_read_b128 v[80:83], v109 offset:7184
	v_add_f32_e32 v19, v19, v2
	v_cvt_f32_i32_e32 v8, v8
	v_add_u32_e32 v109, 32, v109
	s_waitcnt lgkmcnt(1)
	v_dot4_i32_i8 v2, v117, v4, 0
	s_waitcnt lgkmcnt(0)
	v_dot4_i32_i8 v2, v118, v80, v2
	v_dot4_i32_i8 v2, v119, v5, v2
	;; [unrolled: 1-line block ×7, first 2 shown]
	v_cvt_f32_i32_e32 v2, v2
	v_fma_mix_f32 v8, v8, v9, v9 op_sel:[0,0,1] op_sel_hi:[0,1,1]
	v_add_f32_e32 v20, v20, v8
	v_pk_mul_f16 v8, v116, v3
	v_fma_mix_f32 v2, v2, v8, v8 op_sel:[0,0,1] op_sel_hi:[0,1,1]
	v_add_f32_e32 v18, v18, v2
	v_dot4_i32_i8 v2, v127, v4, 0
	v_dot4_i32_i8 v2, v66, v80, v2
	v_dot4_i32_i8 v2, v84, v5, v2
	v_dot4_i32_i8 v2, v91, v81, v2
	v_dot4_i32_i8 v2, v92, v6, v2
	v_dot4_i32_i8 v2, v93, v82, v2
	v_dot4_i32_i8 v2, v94, v7, v2
	v_dot4_i32_i8 v2, v95, v83, v2
	v_cvt_f32_i32_e32 v2, v2
	v_pk_mul_f16 v8, v126, v3
	v_fma_mix_f32 v2, v2, v8, v8 op_sel:[0,0,1] op_sel_hi:[0,1,1]
	v_add_f32_e32 v17, v17, v2
	v_dot4_i32_i8 v2, v76, v4, 0
	v_dot4_i32_i8 v1, v1, v80, v2
	v_dot4_i32_i8 v1, v90, v5, v1
	v_dot4_i32_i8 v1, v45, v81, v1
	v_dot4_i32_i8 v1, v65, v6, v1
	v_dot4_i32_i8 v1, v10, v82, v1
	v_dot4_i32_i8 v1, v85, v7, v1
	v_dot4_i32_i8 v1, v86, v83, v1
	v_cvt_f32_i32_e32 v1, v1
	;; [unrolled: 12-line block ×3, first 2 shown]
	v_pk_mul_f16 v2, v125, v3
	v_fma_mix_f32 v1, v1, v2, v2 op_sel:[0,0,1] op_sel_hi:[0,1,1]
	v_add_f32_e32 v15, v15, v1
	s_cbranch_scc1 .LBB159_8
; %bb.9:                                ;   in Loop: Header=BB159_6 Depth=1
	s_and_b32 s0, s9, -4
	s_cmp_eq_u32 s0, 4
	s_barrier
	s_cbranch_scc1 .LBB159_5
; %bb.10:                               ;   in Loop: Header=BB159_6 Depth=1
	buffer_load_dword v1, off, s[20:23], 0 offset:80 ; 4-byte Folded Reload
	buffer_load_dword v3, off, s[20:23], 0 offset:8 ; 4-byte Folded Reload
	;; [unrolled: 1-line block ×7, first 2 shown]
	s_waitcnt vmcnt(6)
	v_add_u32_e32 v38, s14, v1
	buffer_load_dword v1, off, s[20:23], 0 offset:4 ; 4-byte Folded Reload
	s_waitcnt vmcnt(6)
	v_add_u32_e32 v3, v38, v3
	s_waitcnt vmcnt(5)
	v_add_u32_e32 v5, v38, v5
	;; [unrolled: 2-line block ×5, first 2 shown]
	v_add_u32_e32 v13, v38, v13
	v_mad_i64_i32 v[65:66], s[0:1], v45, 36, v[11:12]
	v_add_u32_e32 v45, 4, v107
	v_mad_i64_i32 v[3:4], s[0:1], v3, 36, v[11:12]
	v_mad_i64_i32 v[5:6], s[0:1], v5, 36, v[11:12]
	;; [unrolled: 1-line block ×5, first 2 shown]
	v_mov_b32_e32 v107, v89
	v_mad_u64_u32 v[74:75], s[0:1], v45, 36, s[2:3]
	buffer_load_dword v45, off, s[20:23], 0 offset:32 ; 4-byte Folded Reload
	s_waitcnt vmcnt(1)
	v_add_u32_e32 v1, v38, v1
	v_mad_i64_i32 v[1:2], s[0:1], v1, 36, v[11:12]
	s_waitcnt vmcnt(0)
	v_add_u32_e32 v38, v38, v45
	v_mad_i64_i32 v[76:77], s[0:1], v38, 36, v[11:12]
	global_load_dword v38, v[74:75], off
	s_nop 0
	global_load_dword v1, v[1:2], off offset:4
	s_nop 0
	global_load_dword v2, v[3:4], off offset:4
	;; [unrolled: 2-line block ×3, first 2 shown]
	global_load_dword v4, v[7:8], off offset:4
	s_nop 0
	global_load_dword v5, v[9:10], off offset:4
	global_load_dword v6, v[13:14], off offset:4
	;; [unrolled: 1-line block ×4, first 2 shown]
	buffer_load_dword v109, off, s[20:23], 0 offset:36 ; 4-byte Folded Reload
	buffer_load_dword v110, off, s[20:23], 0 offset:100 ; 4-byte Folded Reload
	;; [unrolled: 1-line block ×5, first 2 shown]
	buffer_load_dword v9, off, s[20:23], 0  ; 4-byte Folded Reload
	s_mov_b32 s0, 12
	s_waitcnt vmcnt(0)
	ds_write_b32 v9, v38
	ds_write_b32 v108, v1
	buffer_load_dword v1, off, s[20:23], 0 offset:40 ; 4-byte Folded Reload
	s_waitcnt vmcnt(0)
	ds_write_b32 v1, v2
	buffer_load_dword v1, off, s[20:23], 0 offset:44 ; 4-byte Folded Reload
	s_waitcnt vmcnt(0)
	ds_write_b32 v1, v3
	ds_write_b32 v102, v4
	;; [unrolled: 1-line block ×6, first 2 shown]
	s_waitcnt lgkmcnt(0)
	s_barrier
	buffer_load_dword v108, off, s[20:23], 0 offset:84 ; 4-byte Folded Reload
.LBB159_11:                             ;   Parent Loop BB159_6 Depth=1
                                        ; =>  This Inner Loop Header: Depth=2
	ds_read_b128 v[2:5], v109
	ds_read_b128 v[6:9], v109 offset:16
	ds_read2_b32 v[13:14], v107 offset1:32
	ds_read_b32 v114, v110
	s_waitcnt vmcnt(0)
	ds_read2_b32 v[65:66], v108 offset1:1
	s_add_i32 s0, s0, 4
	v_add_u32_e32 v110, 4, v110
	s_cmp_lt_u32 s0, 28
	s_waitcnt lgkmcnt(1)
	v_pk_mul_f16 v80, v114, v14
	s_waitcnt lgkmcnt(0)
	v_and_b32_e32 v115, 0xf0f0f0f, v65
	v_lshrrev_b32_e32 v1, 4, v65
	v_and_b32_e32 v117, 0xf0f0f0f, v66
	v_lshrrev_b32_e32 v10, 4, v66
	ds_read2_b32 v[65:66], v108 offset0:2 offset1:3
	v_and_b32_e32 v116, 0xf0f0f0f, v1
	v_dot4_i32_i8 v1, v115, v2, 0
	v_dot4_i32_i8 v1, v116, v6, v1
	v_and_b32_e32 v118, 0xf0f0f0f, v10
	v_dot4_i32_i8 v1, v117, v3, v1
	v_dot4_i32_i8 v1, v118, v7, v1
	s_waitcnt lgkmcnt(0)
	v_and_b32_e32 v119, 0xf0f0f0f, v65
	v_lshrrev_b32_e32 v10, 4, v65
	v_and_b32_e32 v120, 0xf0f0f0f, v10
	v_dot4_i32_i8 v1, v119, v4, v1
	v_dot4_i32_i8 v1, v120, v8, v1
	v_and_b32_e32 v121, 0xf0f0f0f, v66
	v_lshrrev_b32_e32 v10, 4, v66
	v_and_b32_e32 v122, 0xf0f0f0f, v10
	v_dot4_i32_i8 v1, v121, v5, v1
	v_dot4_i32_i8 v1, v122, v9, v1
	v_cvt_f32_i32_e32 v1, v1
	v_pk_mul_f16 v10, v13, v114
	v_fma_mix_f32 v1, v10, v1, v10 op_sel:[0,0,1] op_sel_hi:[1,0,1]
	v_add_f32_e32 v40, v40, v1
	v_add_u32_e32 v1, 0x1080, v108
	ds_read_b32 v124, v111
	ds_read2_b32 v[74:75], v1 offset1:1
	v_add_u32_e32 v111, 4, v111
	s_waitcnt lgkmcnt(0)
	v_lshrrev_b32_e32 v10, 4, v75
	v_and_b32_e32 v91, 0xf0f0f0f, v10
	v_add_u32_e32 v10, 0x1088, v108
	v_and_b32_e32 v125, 0xf0f0f0f, v74
	v_lshrrev_b32_e32 v1, 4, v74
	v_and_b32_e32 v84, 0xf0f0f0f, v75
	ds_read2_b32 v[74:75], v10 offset1:1
	v_and_b32_e32 v66, 0xf0f0f0f, v1
	v_dot4_i32_i8 v1, v125, v2, 0
	v_dot4_i32_i8 v1, v66, v6, v1
	;; [unrolled: 1-line block ×4, first 2 shown]
	s_waitcnt lgkmcnt(0)
	v_and_b32_e32 v92, 0xf0f0f0f, v74
	v_lshrrev_b32_e32 v10, 4, v74
	v_and_b32_e32 v93, 0xf0f0f0f, v10
	v_dot4_i32_i8 v1, v92, v4, v1
	v_dot4_i32_i8 v1, v93, v8, v1
	v_and_b32_e32 v94, 0xf0f0f0f, v75
	v_lshrrev_b32_e32 v10, 4, v75
	v_and_b32_e32 v95, 0xf0f0f0f, v10
	v_dot4_i32_i8 v1, v94, v5, v1
	v_dot4_i32_i8 v1, v95, v9, v1
	v_cvt_f32_i32_e32 v1, v1
	v_pk_mul_f16 v10, v13, v124
	v_fma_mix_f32 v1, v10, v1, v10 op_sel:[0,0,1] op_sel_hi:[1,0,1]
	v_add_f32_e32 v73, v73, v1
	v_add_u32_e32 v1, 0x2100, v108
	ds_read_b32 v38, v112
	ds_read2_b32 v[74:75], v1 offset1:1
	v_add_u32_e32 v112, 4, v112
	s_waitcnt lgkmcnt(0)
	v_and_b32_e32 v76, 0xf0f0f0f, v74
	v_lshrrev_b32_e32 v1, 4, v74
	v_and_b32_e32 v1, 0xf0f0f0f, v1
	v_dot4_i32_i8 v10, v76, v2, 0
	v_dot4_i32_i8 v10, v1, v6, v10
	v_and_b32_e32 v90, 0xf0f0f0f, v75
	v_lshrrev_b32_e32 v45, 4, v75
	v_and_b32_e32 v45, 0xf0f0f0f, v45
	v_dot4_i32_i8 v10, v90, v3, v10
	v_dot4_i32_i8 v72, v45, v7, v10
	v_add_u32_e32 v10, 0x2108, v108
	ds_read2_b32 v[74:75], v10 offset1:1
	s_waitcnt lgkmcnt(0)
	v_and_b32_e32 v65, 0xf0f0f0f, v74
	v_lshrrev_b32_e32 v10, 4, v74
	v_and_b32_e32 v10, 0xf0f0f0f, v10
	v_dot4_i32_i8 v72, v65, v4, v72
	v_dot4_i32_i8 v72, v10, v8, v72
	v_and_b32_e32 v85, 0xf0f0f0f, v75
	v_lshrrev_b32_e32 v74, 4, v75
	v_and_b32_e32 v86, 0xf0f0f0f, v74
	v_dot4_i32_i8 v72, v85, v5, v72
	v_dot4_i32_i8 v72, v86, v9, v72
	v_cvt_f32_i32_e32 v72, v72
	v_pk_mul_f16 v74, v13, v38
	v_fma_mix_f32 v72, v74, v72, v74 op_sel:[0,0,1] op_sel_hi:[1,0,1]
	v_add_f32_e32 v68, v68, v72
	v_add_u32_e32 v72, 0x3180, v108
	ds_read_b32 v123, v113
	ds_read2_b32 v[74:75], v72 offset1:1
	v_add_u32_e32 v113, 4, v113
	s_waitcnt lgkmcnt(0)
	v_and_b32_e32 v77, 0xf0f0f0f, v74
	v_lshrrev_b32_e32 v72, 4, v74
	v_and_b32_e32 v78, 0xf0f0f0f, v72
	v_dot4_i32_i8 v2, v77, v2, 0
	v_dot4_i32_i8 v2, v78, v6, v2
	v_and_b32_e32 v74, 0xf0f0f0f, v75
	v_lshrrev_b32_e32 v6, 4, v75
	v_and_b32_e32 v87, 0xf0f0f0f, v6
	v_dot4_i32_i8 v2, v74, v3, v2
	v_dot4_i32_i8 v6, v87, v7, v2
	v_add_u32_e32 v2, 0x3188, v108
	ds_read2_b32 v[2:3], v2 offset1:1
	v_add_u32_e32 v108, 16, v108
	s_waitcnt lgkmcnt(0)
	v_and_b32_e32 v79, 0xf0f0f0f, v2
	v_lshrrev_b32_e32 v2, 4, v2
	v_and_b32_e32 v75, 0xf0f0f0f, v2
	v_dot4_i32_i8 v2, v79, v4, v6
	v_dot4_i32_i8 v2, v75, v8, v2
	v_and_b32_e32 v88, 0xf0f0f0f, v3
	v_lshrrev_b32_e32 v3, 4, v3
	v_and_b32_e32 v72, 0xf0f0f0f, v3
	v_dot4_i32_i8 v2, v88, v5, v2
	v_dot4_i32_i8 v2, v72, v9, v2
	v_cvt_f32_i32_e32 v2, v2
	v_pk_mul_f16 v3, v13, v123
	v_fma_mix_f32 v2, v3, v2, v3 op_sel:[0,0,1] op_sel_hi:[1,0,1]
	v_add_f32_e32 v57, v57, v2
	ds_read_b128 v[2:5], v109 offset:1024
	ds_read_b128 v[6:9], v109 offset:1040
	s_waitcnt lgkmcnt(1)
	v_dot4_i32_i8 v13, v115, v2, 0
	s_waitcnt lgkmcnt(0)
	v_dot4_i32_i8 v13, v116, v6, v13
	v_dot4_i32_i8 v13, v117, v3, v13
	;; [unrolled: 1-line block ×7, first 2 shown]
	v_cvt_f32_i32_e32 v13, v13
	v_fma_mix_f32 v13, v13, v80, v80 op_sel:[0,0,1] op_sel_hi:[0,1,1]
	v_add_f32_e32 v44, v44, v13
	v_dot4_i32_i8 v13, v125, v2, 0
	v_dot4_i32_i8 v13, v66, v6, v13
	;; [unrolled: 1-line block ×8, first 2 shown]
	v_cvt_f32_i32_e32 v13, v13
	v_pk_mul_f16 v80, v124, v14
	v_fma_mix_f32 v13, v13, v80, v80 op_sel:[0,0,1] op_sel_hi:[0,1,1]
	v_add_f32_e32 v43, v43, v13
	v_dot4_i32_i8 v13, v76, v2, 0
	v_dot4_i32_i8 v2, v77, v2, 0
	;; [unrolled: 1-line block ×16, first 2 shown]
	v_cvt_f32_i32_e32 v2, v2
	v_cvt_f32_i32_e32 v13, v13
	v_pk_mul_f16 v3, v123, v14
	v_pk_mul_f16 v80, v38, v14
	v_fma_mix_f32 v2, v2, v3, v3 op_sel:[0,0,1] op_sel_hi:[0,1,1]
	v_fma_mix_f32 v13, v13, v80, v80 op_sel:[0,0,1] op_sel_hi:[0,1,1]
	v_add_f32_e32 v41, v41, v2
	ds_read_b128 v[4:7], v109 offset:2048
	ds_read_b128 v[80:83], v109 offset:2064
	ds_read2_b32 v[2:3], v107 offset0:64 offset1:96
	v_add_f32_e32 v42, v42, v13
	s_waitcnt lgkmcnt(2)
	v_dot4_i32_i8 v8, v115, v4, 0
	s_waitcnt lgkmcnt(1)
	v_dot4_i32_i8 v8, v116, v80, v8
	v_dot4_i32_i8 v8, v117, v5, v8
	;; [unrolled: 1-line block ×7, first 2 shown]
	v_cvt_f32_i32_e32 v8, v8
	s_waitcnt lgkmcnt(0)
	v_pk_mul_f16 v9, v114, v2
	v_fma_mix_f32 v8, v8, v9, v9 op_sel:[0,0,1] op_sel_hi:[0,1,1]
	v_add_f32_e32 v39, v39, v8
	v_dot4_i32_i8 v8, v125, v4, 0
	v_dot4_i32_i8 v8, v66, v80, v8
	;; [unrolled: 1-line block ×8, first 2 shown]
	v_cvt_f32_i32_e32 v8, v8
	v_pk_mul_f16 v9, v124, v2
	v_fma_mix_f32 v8, v8, v9, v9 op_sel:[0,0,1] op_sel_hi:[0,1,1]
	v_add_f32_e32 v37, v37, v8
	v_dot4_i32_i8 v8, v76, v4, 0
	v_dot4_i32_i8 v4, v77, v4, 0
	;; [unrolled: 1-line block ×12, first 2 shown]
	v_cvt_f32_i32_e32 v4, v4
	v_dot4_i32_i8 v8, v65, v6, v8
	v_dot4_i32_i8 v8, v10, v82, v8
	;; [unrolled: 1-line block ×3, first 2 shown]
	v_pk_mul_f16 v9, v38, v2
	v_pk_mul_f16 v2, v123, v2
	v_dot4_i32_i8 v8, v86, v83, v8
	v_fma_mix_f32 v2, v4, v2, v2 op_sel:[0,0,1] op_sel_hi:[0,1,1]
	ds_read_b128 v[4:7], v109 offset:3072
	ds_read_b128 v[80:83], v109 offset:3088
	v_add_f32_e32 v35, v35, v2
	v_cvt_f32_i32_e32 v8, v8
	s_waitcnt lgkmcnt(1)
	v_dot4_i32_i8 v2, v115, v4, 0
	s_waitcnt lgkmcnt(0)
	v_dot4_i32_i8 v2, v116, v80, v2
	v_dot4_i32_i8 v2, v117, v5, v2
	v_dot4_i32_i8 v2, v118, v81, v2
	v_dot4_i32_i8 v2, v119, v6, v2
	v_dot4_i32_i8 v2, v120, v82, v2
	v_dot4_i32_i8 v2, v121, v7, v2
	v_dot4_i32_i8 v2, v122, v83, v2
	v_cvt_f32_i32_e32 v2, v2
	v_fma_mix_f32 v8, v8, v9, v9 op_sel:[0,0,1] op_sel_hi:[0,1,1]
	v_add_f32_e32 v36, v36, v8
	v_pk_mul_f16 v8, v114, v3
	v_fma_mix_f32 v2, v2, v8, v8 op_sel:[0,0,1] op_sel_hi:[0,1,1]
	v_add_f32_e32 v34, v34, v2
	v_dot4_i32_i8 v2, v125, v4, 0
	v_dot4_i32_i8 v2, v66, v80, v2
	;; [unrolled: 1-line block ×8, first 2 shown]
	v_cvt_f32_i32_e32 v2, v2
	v_pk_mul_f16 v8, v124, v3
	v_fma_mix_f32 v2, v2, v8, v8 op_sel:[0,0,1] op_sel_hi:[0,1,1]
	v_add_f32_e32 v33, v33, v2
	v_dot4_i32_i8 v2, v76, v4, 0
	v_dot4_i32_i8 v2, v1, v80, v2
	;; [unrolled: 1-line block ×8, first 2 shown]
	v_cvt_f32_i32_e32 v2, v2
	v_pk_mul_f16 v8, v38, v3
	v_pk_mul_f16 v3, v123, v3
	v_fma_mix_f32 v2, v2, v8, v8 op_sel:[0,0,1] op_sel_hi:[0,1,1]
	v_add_f32_e32 v32, v32, v2
	v_dot4_i32_i8 v2, v77, v4, 0
	v_dot4_i32_i8 v2, v78, v80, v2
	;; [unrolled: 1-line block ×8, first 2 shown]
	v_cvt_f32_i32_e32 v2, v2
	v_fma_mix_f32 v2, v2, v3, v3 op_sel:[0,0,1] op_sel_hi:[0,1,1]
	v_add_f32_e32 v31, v31, v2
	ds_read_b128 v[2:5], v109 offset:4096
	ds_read_b128 v[6:9], v109 offset:4112
	ds_read2_b32 v[13:14], v107 offset0:128 offset1:160
	s_waitcnt lgkmcnt(2)
	v_dot4_i32_i8 v80, v115, v2, 0
	s_waitcnt lgkmcnt(1)
	v_dot4_i32_i8 v80, v116, v6, v80
	v_dot4_i32_i8 v80, v117, v3, v80
	;; [unrolled: 1-line block ×7, first 2 shown]
	v_cvt_f32_i32_e32 v80, v80
	s_waitcnt lgkmcnt(0)
	v_pk_mul_f16 v81, v114, v13
	v_fma_mix_f32 v80, v80, v81, v81 op_sel:[0,0,1] op_sel_hi:[0,1,1]
	v_add_f32_e32 v30, v30, v80
	v_dot4_i32_i8 v80, v125, v2, 0
	v_dot4_i32_i8 v80, v66, v6, v80
	;; [unrolled: 1-line block ×8, first 2 shown]
	v_cvt_f32_i32_e32 v80, v80
	v_pk_mul_f16 v81, v124, v13
	v_fma_mix_f32 v80, v80, v81, v81 op_sel:[0,0,1] op_sel_hi:[0,1,1]
	v_add_f32_e32 v29, v29, v80
	v_dot4_i32_i8 v80, v76, v2, 0
	v_dot4_i32_i8 v2, v77, v2, 0
	;; [unrolled: 1-line block ×11, first 2 shown]
	v_cvt_f32_i32_e32 v2, v2
	v_dot4_i32_i8 v80, v45, v7, v80
	v_dot4_i32_i8 v80, v65, v4, v80
	;; [unrolled: 1-line block ×3, first 2 shown]
	v_pk_mul_f16 v3, v123, v13
	v_dot4_i32_i8 v80, v85, v5, v80
	v_fma_mix_f32 v2, v2, v3, v3 op_sel:[0,0,1] op_sel_hi:[0,1,1]
	v_dot4_i32_i8 v80, v86, v9, v80
	v_add_f32_e32 v27, v27, v2
	ds_read_b128 v[2:5], v109 offset:5120
	ds_read_b128 v[6:9], v109 offset:5136
	v_pk_mul_f16 v81, v38, v13
	v_cvt_f32_i32_e32 v80, v80
	s_waitcnt lgkmcnt(1)
	v_dot4_i32_i8 v13, v115, v2, 0
	s_waitcnt lgkmcnt(0)
	v_dot4_i32_i8 v13, v116, v6, v13
	v_dot4_i32_i8 v13, v117, v3, v13
	v_dot4_i32_i8 v13, v118, v7, v13
	v_dot4_i32_i8 v13, v119, v4, v13
	v_dot4_i32_i8 v13, v120, v8, v13
	v_dot4_i32_i8 v13, v121, v5, v13
	v_dot4_i32_i8 v13, v122, v9, v13
	v_cvt_f32_i32_e32 v13, v13
	v_fma_mix_f32 v80, v80, v81, v81 op_sel:[0,0,1] op_sel_hi:[0,1,1]
	v_add_f32_e32 v28, v28, v80
	v_pk_mul_f16 v80, v114, v14
	v_fma_mix_f32 v13, v13, v80, v80 op_sel:[0,0,1] op_sel_hi:[0,1,1]
	v_add_f32_e32 v26, v26, v13
	v_dot4_i32_i8 v13, v125, v2, 0
	v_dot4_i32_i8 v13, v66, v6, v13
	;; [unrolled: 1-line block ×8, first 2 shown]
	v_cvt_f32_i32_e32 v13, v13
	v_pk_mul_f16 v80, v124, v14
	v_fma_mix_f32 v13, v13, v80, v80 op_sel:[0,0,1] op_sel_hi:[0,1,1]
	v_add_f32_e32 v25, v25, v13
	v_dot4_i32_i8 v13, v76, v2, 0
	v_dot4_i32_i8 v2, v77, v2, 0
	;; [unrolled: 1-line block ×16, first 2 shown]
	v_cvt_f32_i32_e32 v2, v2
	v_cvt_f32_i32_e32 v13, v13
	v_pk_mul_f16 v3, v123, v14
	v_pk_mul_f16 v80, v38, v14
	v_fma_mix_f32 v2, v2, v3, v3 op_sel:[0,0,1] op_sel_hi:[0,1,1]
	v_fma_mix_f32 v13, v13, v80, v80 op_sel:[0,0,1] op_sel_hi:[0,1,1]
	v_add_f32_e32 v23, v23, v2
	ds_read_b128 v[4:7], v109 offset:6144
	ds_read_b128 v[80:83], v109 offset:6160
	ds_read2_b32 v[2:3], v107 offset0:192 offset1:224
	v_add_f32_e32 v24, v24, v13
	v_add_u32_e32 v107, 4, v107
	s_waitcnt lgkmcnt(2)
	v_dot4_i32_i8 v8, v115, v4, 0
	s_waitcnt lgkmcnt(1)
	v_dot4_i32_i8 v8, v116, v80, v8
	v_dot4_i32_i8 v8, v117, v5, v8
	;; [unrolled: 1-line block ×7, first 2 shown]
	v_cvt_f32_i32_e32 v8, v8
	s_waitcnt lgkmcnt(0)
	v_pk_mul_f16 v9, v114, v2
	v_fma_mix_f32 v8, v8, v9, v9 op_sel:[0,0,1] op_sel_hi:[0,1,1]
	v_add_f32_e32 v22, v22, v8
	v_dot4_i32_i8 v8, v125, v4, 0
	v_dot4_i32_i8 v8, v66, v80, v8
	;; [unrolled: 1-line block ×8, first 2 shown]
	v_cvt_f32_i32_e32 v8, v8
	v_pk_mul_f16 v9, v124, v2
	v_fma_mix_f32 v8, v8, v9, v9 op_sel:[0,0,1] op_sel_hi:[0,1,1]
	v_add_f32_e32 v21, v21, v8
	v_dot4_i32_i8 v8, v76, v4, 0
	v_dot4_i32_i8 v4, v77, v4, 0
	;; [unrolled: 1-line block ×12, first 2 shown]
	v_cvt_f32_i32_e32 v4, v4
	v_dot4_i32_i8 v8, v65, v6, v8
	v_dot4_i32_i8 v8, v10, v82, v8
	v_dot4_i32_i8 v8, v85, v7, v8
	v_pk_mul_f16 v9, v38, v2
	v_pk_mul_f16 v2, v123, v2
	v_dot4_i32_i8 v8, v86, v83, v8
	v_fma_mix_f32 v2, v4, v2, v2 op_sel:[0,0,1] op_sel_hi:[0,1,1]
	ds_read_b128 v[4:7], v109 offset:7168
	ds_read_b128 v[80:83], v109 offset:7184
	v_add_f32_e32 v19, v19, v2
	v_cvt_f32_i32_e32 v8, v8
	v_add_u32_e32 v109, 32, v109
	s_waitcnt lgkmcnt(1)
	v_dot4_i32_i8 v2, v115, v4, 0
	s_waitcnt lgkmcnt(0)
	v_dot4_i32_i8 v2, v116, v80, v2
	v_dot4_i32_i8 v2, v117, v5, v2
	;; [unrolled: 1-line block ×7, first 2 shown]
	v_cvt_f32_i32_e32 v2, v2
	v_fma_mix_f32 v8, v8, v9, v9 op_sel:[0,0,1] op_sel_hi:[0,1,1]
	v_add_f32_e32 v20, v20, v8
	v_pk_mul_f16 v8, v114, v3
	v_fma_mix_f32 v2, v2, v8, v8 op_sel:[0,0,1] op_sel_hi:[0,1,1]
	v_add_f32_e32 v18, v18, v2
	v_dot4_i32_i8 v2, v125, v4, 0
	v_dot4_i32_i8 v2, v66, v80, v2
	v_dot4_i32_i8 v2, v84, v5, v2
	v_dot4_i32_i8 v2, v91, v81, v2
	v_dot4_i32_i8 v2, v92, v6, v2
	v_dot4_i32_i8 v2, v93, v82, v2
	v_dot4_i32_i8 v2, v94, v7, v2
	v_dot4_i32_i8 v2, v95, v83, v2
	v_cvt_f32_i32_e32 v2, v2
	v_pk_mul_f16 v8, v124, v3
	v_fma_mix_f32 v2, v2, v8, v8 op_sel:[0,0,1] op_sel_hi:[0,1,1]
	v_add_f32_e32 v17, v17, v2
	v_dot4_i32_i8 v2, v76, v4, 0
	v_dot4_i32_i8 v1, v1, v80, v2
	v_dot4_i32_i8 v1, v90, v5, v1
	v_dot4_i32_i8 v1, v45, v81, v1
	v_dot4_i32_i8 v1, v65, v6, v1
	v_dot4_i32_i8 v1, v10, v82, v1
	v_dot4_i32_i8 v1, v85, v7, v1
	v_dot4_i32_i8 v1, v86, v83, v1
	v_cvt_f32_i32_e32 v1, v1
	;; [unrolled: 12-line block ×3, first 2 shown]
	v_pk_mul_f16 v2, v123, v3
	v_fma_mix_f32 v1, v1, v2, v2 op_sel:[0,0,1] op_sel_hi:[0,1,1]
	v_add_f32_e32 v15, v15, v1
	s_cbranch_scc1 .LBB159_11
; %bb.12:                               ;   in Loop: Header=BB159_6 Depth=1
	s_barrier
	s_branch .LBB159_5
.LBB159_13:
	buffer_load_dword v1, off, s[20:23], 0 offset:108 ; 4-byte Folded Reload
	buffer_load_dword v38, off, s[20:23], 0 offset:104 ; 4-byte Folded Reload
.LBB159_14:
	s_waitcnt vmcnt(1)
	v_cmp_gt_u32_e32 vcc, s8, v1
	s_and_saveexec_b64 s[0:1], vcc
	s_cbranch_execz .LBB159_65
; %bb.15:
	v_mul_lo_u32 v4, v1, s10
	v_add_u32_e32 v0, s6, v0
	v_cmp_gt_u32_e64 s[0:1], s10, v0
	s_and_saveexec_b64 s[2:3], s[0:1]
	s_cbranch_execz .LBB159_17
; %bb.16:
	v_bfe_u32 v1, v40, 16, 1
	s_movk_i32 s4, 0x7fff
	v_add3_u32 v1, v40, v1, s4
	v_cmp_o_f32_e32 vcc, v40, v40
	v_mov_b32_e32 v2, 0x7fc0
	v_cndmask_b32_sdwa v3, v2, v1, vcc dst_sel:DWORD dst_unused:UNUSED_PAD src0_sel:DWORD src1_sel:WORD_1
	v_add_u32_e32 v1, v0, v4
	v_mov_b32_e32 v2, 0
	v_lshlrev_b64 v[1:2], 1, v[1:2]
	s_waitcnt lgkmcnt(0)
	v_mov_b32_e32 v5, s13
	v_add_co_u32_e32 v1, vcc, s12, v1
	v_addc_co_u32_e32 v2, vcc, v5, v2, vcc
	global_store_short v[1:2], v3, off
.LBB159_17:
	s_or_b64 exec, exec, s[2:3]
	v_add_u32_e32 v1, 32, v0
	v_cmp_gt_u32_e64 s[2:3], s10, v1
	s_and_saveexec_b64 s[4:5], s[2:3]
	s_cbranch_execz .LBB159_19
; %bb.18:
	v_bfe_u32 v2, v73, 16, 1
	s_movk_i32 s6, 0x7fff
	v_add3_u32 v2, v73, v2, s6
	v_cmp_o_f32_e32 vcc, v73, v73
	v_mov_b32_e32 v3, 0x7fc0
	v_cndmask_b32_sdwa v5, v3, v2, vcc dst_sel:DWORD dst_unused:UNUSED_PAD src0_sel:DWORD src1_sel:WORD_1
	v_add_u32_e32 v2, v1, v4
	v_mov_b32_e32 v3, 0
	v_lshlrev_b64 v[2:3], 1, v[2:3]
	s_waitcnt lgkmcnt(0)
	v_mov_b32_e32 v6, s13
	v_add_co_u32_e32 v2, vcc, s12, v2
	v_addc_co_u32_e32 v3, vcc, v6, v3, vcc
	global_store_short v[2:3], v5, off
.LBB159_19:
	s_or_b64 exec, exec, s[4:5]
	;; [unrolled: 21-line block ×4, first 2 shown]
	s_waitcnt vmcnt(0)
	v_add3_u32 v4, v38, s11, 8
	v_cmp_gt_u32_e32 vcc, s8, v4
	s_and_b64 exec, exec, vcc
	s_cbranch_execz .LBB159_65
; %bb.24:
	v_mul_lo_u32 v4, v4, s10
	s_and_saveexec_b64 s[14:15], s[0:1]
	s_cbranch_execnz .LBB159_66
; %bb.25:
	s_or_b64 exec, exec, s[14:15]
	s_and_saveexec_b64 s[14:15], s[2:3]
	s_cbranch_execnz .LBB159_67
.LBB159_26:
	s_or_b64 exec, exec, s[14:15]
	s_and_saveexec_b64 s[14:15], s[4:5]
	s_cbranch_execnz .LBB159_68
.LBB159_27:
	s_or_b64 exec, exec, s[14:15]
	s_and_saveexec_b64 s[14:15], s[6:7]
	s_cbranch_execz .LBB159_29
.LBB159_28:
	v_bfe_u32 v5, v41, 16, 1
	s_movk_i32 s9, 0x7fff
	v_add3_u32 v5, v41, v5, s9
	v_cmp_o_f32_e32 vcc, v41, v41
	v_mov_b32_e32 v6, 0x7fc0
	v_cndmask_b32_sdwa v6, v6, v5, vcc dst_sel:DWORD dst_unused:UNUSED_PAD src0_sel:DWORD src1_sel:WORD_1
	v_add_u32_e32 v4, v4, v3
	v_mov_b32_e32 v5, 0
	v_lshlrev_b64 v[4:5], 1, v[4:5]
	s_waitcnt lgkmcnt(0)
	v_mov_b32_e32 v7, s13
	v_add_co_u32_e32 v4, vcc, s12, v4
	v_addc_co_u32_e32 v5, vcc, v7, v5, vcc
	global_store_short v[4:5], v6, off
.LBB159_29:
	s_or_b64 exec, exec, s[14:15]
	v_add3_u32 v4, v38, s11, 16
	v_cmp_gt_u32_e32 vcc, s8, v4
	s_and_b64 exec, exec, vcc
	s_cbranch_execz .LBB159_65
; %bb.30:
	v_mul_lo_u32 v4, v4, s10
	s_and_saveexec_b64 s[14:15], s[0:1]
	s_cbranch_execnz .LBB159_69
; %bb.31:
	s_or_b64 exec, exec, s[14:15]
	s_and_saveexec_b64 s[14:15], s[2:3]
	s_cbranch_execnz .LBB159_70
.LBB159_32:
	s_or_b64 exec, exec, s[14:15]
	s_and_saveexec_b64 s[14:15], s[4:5]
	s_cbranch_execnz .LBB159_71
.LBB159_33:
	s_or_b64 exec, exec, s[14:15]
	s_and_saveexec_b64 s[14:15], s[6:7]
	s_cbranch_execz .LBB159_35
.LBB159_34:
	v_bfe_u32 v5, v35, 16, 1
	s_movk_i32 s9, 0x7fff
	v_add3_u32 v5, v35, v5, s9
	v_cmp_o_f32_e32 vcc, v35, v35
	v_mov_b32_e32 v6, 0x7fc0
	v_cndmask_b32_sdwa v6, v6, v5, vcc dst_sel:DWORD dst_unused:UNUSED_PAD src0_sel:DWORD src1_sel:WORD_1
	v_add_u32_e32 v4, v4, v3
	v_mov_b32_e32 v5, 0
	v_lshlrev_b64 v[4:5], 1, v[4:5]
	s_waitcnt lgkmcnt(0)
	v_mov_b32_e32 v7, s13
	v_add_co_u32_e32 v4, vcc, s12, v4
	v_addc_co_u32_e32 v5, vcc, v7, v5, vcc
	global_store_short v[4:5], v6, off
.LBB159_35:
	s_or_b64 exec, exec, s[14:15]
	v_add3_u32 v4, v38, s11, 24
	v_cmp_gt_u32_e32 vcc, s8, v4
	s_and_b64 exec, exec, vcc
	s_cbranch_execz .LBB159_65
; %bb.36:
	v_mul_lo_u32 v4, v4, s10
	s_and_saveexec_b64 s[14:15], s[0:1]
	s_cbranch_execnz .LBB159_72
; %bb.37:
	s_or_b64 exec, exec, s[14:15]
	s_and_saveexec_b64 s[14:15], s[2:3]
	s_cbranch_execnz .LBB159_73
.LBB159_38:
	s_or_b64 exec, exec, s[14:15]
	s_and_saveexec_b64 s[14:15], s[4:5]
	s_cbranch_execnz .LBB159_74
.LBB159_39:
	s_or_b64 exec, exec, s[14:15]
	s_and_saveexec_b64 s[14:15], s[6:7]
	s_cbranch_execz .LBB159_41
.LBB159_40:
	v_bfe_u32 v5, v31, 16, 1
	s_movk_i32 s9, 0x7fff
	v_add3_u32 v5, v31, v5, s9
	v_cmp_o_f32_e32 vcc, v31, v31
	v_mov_b32_e32 v6, 0x7fc0
	v_cndmask_b32_sdwa v6, v6, v5, vcc dst_sel:DWORD dst_unused:UNUSED_PAD src0_sel:DWORD src1_sel:WORD_1
	v_add_u32_e32 v4, v4, v3
	v_mov_b32_e32 v5, 0
	v_lshlrev_b64 v[4:5], 1, v[4:5]
	s_waitcnt lgkmcnt(0)
	v_mov_b32_e32 v7, s13
	v_add_co_u32_e32 v4, vcc, s12, v4
	v_addc_co_u32_e32 v5, vcc, v7, v5, vcc
	global_store_short v[4:5], v6, off
.LBB159_41:
	s_or_b64 exec, exec, s[14:15]
	v_add3_u32 v4, v38, s11, 32
	v_cmp_gt_u32_e32 vcc, s8, v4
	s_and_b64 exec, exec, vcc
	s_cbranch_execz .LBB159_65
; %bb.42:
	v_mul_lo_u32 v4, v4, s10
	s_and_saveexec_b64 s[14:15], s[0:1]
	s_cbranch_execnz .LBB159_75
; %bb.43:
	s_or_b64 exec, exec, s[14:15]
	s_and_saveexec_b64 s[14:15], s[2:3]
	s_cbranch_execnz .LBB159_76
.LBB159_44:
	s_or_b64 exec, exec, s[14:15]
	s_and_saveexec_b64 s[14:15], s[4:5]
	s_cbranch_execnz .LBB159_77
.LBB159_45:
	s_or_b64 exec, exec, s[14:15]
	s_and_saveexec_b64 s[14:15], s[6:7]
	s_cbranch_execz .LBB159_47
.LBB159_46:
	v_bfe_u32 v5, v27, 16, 1
	s_movk_i32 s9, 0x7fff
	v_add3_u32 v5, v27, v5, s9
	v_cmp_o_f32_e32 vcc, v27, v27
	v_mov_b32_e32 v6, 0x7fc0
	v_cndmask_b32_sdwa v6, v6, v5, vcc dst_sel:DWORD dst_unused:UNUSED_PAD src0_sel:DWORD src1_sel:WORD_1
	v_add_u32_e32 v4, v4, v3
	v_mov_b32_e32 v5, 0
	v_lshlrev_b64 v[4:5], 1, v[4:5]
	s_waitcnt lgkmcnt(0)
	v_mov_b32_e32 v7, s13
	v_add_co_u32_e32 v4, vcc, s12, v4
	v_addc_co_u32_e32 v5, vcc, v7, v5, vcc
	global_store_short v[4:5], v6, off
.LBB159_47:
	s_or_b64 exec, exec, s[14:15]
	v_add3_u32 v4, v38, s11, 40
	v_cmp_gt_u32_e32 vcc, s8, v4
	s_and_b64 exec, exec, vcc
	s_cbranch_execz .LBB159_65
; %bb.48:
	v_mul_lo_u32 v4, v4, s10
	s_and_saveexec_b64 s[14:15], s[0:1]
	s_cbranch_execnz .LBB159_78
; %bb.49:
	s_or_b64 exec, exec, s[14:15]
	s_and_saveexec_b64 s[14:15], s[2:3]
	s_cbranch_execnz .LBB159_79
.LBB159_50:
	s_or_b64 exec, exec, s[14:15]
	s_and_saveexec_b64 s[14:15], s[4:5]
	s_cbranch_execnz .LBB159_80
.LBB159_51:
	s_or_b64 exec, exec, s[14:15]
	s_and_saveexec_b64 s[14:15], s[6:7]
	s_cbranch_execz .LBB159_53
.LBB159_52:
	v_bfe_u32 v5, v23, 16, 1
	s_movk_i32 s9, 0x7fff
	v_add3_u32 v5, v23, v5, s9
	v_cmp_o_f32_e32 vcc, v23, v23
	v_mov_b32_e32 v6, 0x7fc0
	v_cndmask_b32_sdwa v6, v6, v5, vcc dst_sel:DWORD dst_unused:UNUSED_PAD src0_sel:DWORD src1_sel:WORD_1
	v_add_u32_e32 v4, v4, v3
	v_mov_b32_e32 v5, 0
	v_lshlrev_b64 v[4:5], 1, v[4:5]
	s_waitcnt lgkmcnt(0)
	v_mov_b32_e32 v7, s13
	v_add_co_u32_e32 v4, vcc, s12, v4
	v_addc_co_u32_e32 v5, vcc, v7, v5, vcc
	global_store_short v[4:5], v6, off
.LBB159_53:
	s_or_b64 exec, exec, s[14:15]
	v_add3_u32 v4, v38, s11, 48
	v_cmp_gt_u32_e32 vcc, s8, v4
	s_and_b64 exec, exec, vcc
	s_cbranch_execz .LBB159_65
; %bb.54:
	v_mul_lo_u32 v4, v4, s10
	s_and_saveexec_b64 s[14:15], s[0:1]
	s_cbranch_execnz .LBB159_81
; %bb.55:
	s_or_b64 exec, exec, s[14:15]
	s_and_saveexec_b64 s[14:15], s[2:3]
	s_cbranch_execnz .LBB159_82
.LBB159_56:
	s_or_b64 exec, exec, s[14:15]
	s_and_saveexec_b64 s[14:15], s[4:5]
	s_cbranch_execnz .LBB159_83
.LBB159_57:
	s_or_b64 exec, exec, s[14:15]
	s_and_saveexec_b64 s[14:15], s[6:7]
	s_cbranch_execz .LBB159_59
.LBB159_58:
	v_bfe_u32 v5, v19, 16, 1
	s_movk_i32 s9, 0x7fff
	v_add3_u32 v5, v19, v5, s9
	v_cmp_o_f32_e32 vcc, v19, v19
	v_mov_b32_e32 v6, 0x7fc0
	v_cndmask_b32_sdwa v6, v6, v5, vcc dst_sel:DWORD dst_unused:UNUSED_PAD src0_sel:DWORD src1_sel:WORD_1
	v_add_u32_e32 v4, v4, v3
	v_mov_b32_e32 v5, 0
	v_lshlrev_b64 v[4:5], 1, v[4:5]
	s_waitcnt lgkmcnt(0)
	v_mov_b32_e32 v7, s13
	v_add_co_u32_e32 v4, vcc, s12, v4
	v_addc_co_u32_e32 v5, vcc, v7, v5, vcc
	global_store_short v[4:5], v6, off
.LBB159_59:
	s_or_b64 exec, exec, s[14:15]
	v_add3_u32 v4, v38, s11, 56
	v_cmp_gt_u32_e32 vcc, s8, v4
	s_and_b64 exec, exec, vcc
	s_cbranch_execz .LBB159_65
; %bb.60:
	v_mul_lo_u32 v4, v4, s10
	s_and_saveexec_b64 s[8:9], s[0:1]
	s_cbranch_execnz .LBB159_84
; %bb.61:
	s_or_b64 exec, exec, s[8:9]
	s_and_saveexec_b64 s[0:1], s[2:3]
	s_cbranch_execnz .LBB159_85
.LBB159_62:
	s_or_b64 exec, exec, s[0:1]
	s_and_saveexec_b64 s[0:1], s[4:5]
	s_cbranch_execnz .LBB159_86
.LBB159_63:
	s_or_b64 exec, exec, s[0:1]
	s_and_b64 exec, exec, s[6:7]
	s_cbranch_execz .LBB159_65
.LBB159_64:
	v_bfe_u32 v0, v15, 16, 1
	s_movk_i32 s0, 0x7fff
	v_add3_u32 v0, v15, v0, s0
	v_cmp_o_f32_e32 vcc, v15, v15
	v_mov_b32_e32 v1, 0x7fc0
	v_cndmask_b32_sdwa v2, v1, v0, vcc dst_sel:DWORD dst_unused:UNUSED_PAD src0_sel:DWORD src1_sel:WORD_1
	v_add_u32_e32 v0, v4, v3
	v_mov_b32_e32 v1, 0
	v_lshlrev_b64 v[0:1], 1, v[0:1]
	s_waitcnt lgkmcnt(0)
	v_mov_b32_e32 v3, s13
	v_add_co_u32_e32 v0, vcc, s12, v0
	v_addc_co_u32_e32 v1, vcc, v3, v1, vcc
	global_store_short v[0:1], v2, off
.LBB159_65:
	s_endpgm
.LBB159_66:
	v_bfe_u32 v5, v44, 16, 1
	s_movk_i32 s9, 0x7fff
	v_add3_u32 v5, v44, v5, s9
	v_cmp_o_f32_e32 vcc, v44, v44
	v_mov_b32_e32 v6, 0x7fc0
	v_cndmask_b32_sdwa v7, v6, v5, vcc dst_sel:DWORD dst_unused:UNUSED_PAD src0_sel:DWORD src1_sel:WORD_1
	v_add_u32_e32 v5, v4, v0
	v_mov_b32_e32 v6, 0
	v_lshlrev_b64 v[5:6], 1, v[5:6]
	s_waitcnt lgkmcnt(0)
	v_mov_b32_e32 v8, s13
	v_add_co_u32_e32 v5, vcc, s12, v5
	v_addc_co_u32_e32 v6, vcc, v8, v6, vcc
	global_store_short v[5:6], v7, off
	s_or_b64 exec, exec, s[14:15]
	s_and_saveexec_b64 s[14:15], s[2:3]
	s_cbranch_execz .LBB159_26
.LBB159_67:
	v_bfe_u32 v5, v43, 16, 1
	s_movk_i32 s9, 0x7fff
	v_add3_u32 v5, v43, v5, s9
	v_cmp_o_f32_e32 vcc, v43, v43
	v_mov_b32_e32 v6, 0x7fc0
	v_cndmask_b32_sdwa v7, v6, v5, vcc dst_sel:DWORD dst_unused:UNUSED_PAD src0_sel:DWORD src1_sel:WORD_1
	v_add_u32_e32 v5, v4, v1
	v_mov_b32_e32 v6, 0
	v_lshlrev_b64 v[5:6], 1, v[5:6]
	s_waitcnt lgkmcnt(0)
	v_mov_b32_e32 v8, s13
	v_add_co_u32_e32 v5, vcc, s12, v5
	v_addc_co_u32_e32 v6, vcc, v8, v6, vcc
	global_store_short v[5:6], v7, off
	s_or_b64 exec, exec, s[14:15]
	s_and_saveexec_b64 s[14:15], s[4:5]
	s_cbranch_execz .LBB159_27
.LBB159_68:
	v_bfe_u32 v5, v42, 16, 1
	s_movk_i32 s9, 0x7fff
	v_add3_u32 v5, v42, v5, s9
	v_cmp_o_f32_e32 vcc, v42, v42
	v_mov_b32_e32 v6, 0x7fc0
	v_cndmask_b32_sdwa v7, v6, v5, vcc dst_sel:DWORD dst_unused:UNUSED_PAD src0_sel:DWORD src1_sel:WORD_1
	v_add_u32_e32 v5, v4, v2
	v_mov_b32_e32 v6, 0
	v_lshlrev_b64 v[5:6], 1, v[5:6]
	s_waitcnt lgkmcnt(0)
	v_mov_b32_e32 v8, s13
	v_add_co_u32_e32 v5, vcc, s12, v5
	v_addc_co_u32_e32 v6, vcc, v8, v6, vcc
	global_store_short v[5:6], v7, off
	s_or_b64 exec, exec, s[14:15]
	s_and_saveexec_b64 s[14:15], s[6:7]
	s_cbranch_execnz .LBB159_28
	s_branch .LBB159_29
.LBB159_69:
	v_bfe_u32 v5, v39, 16, 1
	s_movk_i32 s9, 0x7fff
	v_add3_u32 v5, v39, v5, s9
	v_cmp_o_f32_e32 vcc, v39, v39
	v_mov_b32_e32 v6, 0x7fc0
	v_cndmask_b32_sdwa v7, v6, v5, vcc dst_sel:DWORD dst_unused:UNUSED_PAD src0_sel:DWORD src1_sel:WORD_1
	v_add_u32_e32 v5, v4, v0
	v_mov_b32_e32 v6, 0
	v_lshlrev_b64 v[5:6], 1, v[5:6]
	s_waitcnt lgkmcnt(0)
	v_mov_b32_e32 v8, s13
	v_add_co_u32_e32 v5, vcc, s12, v5
	v_addc_co_u32_e32 v6, vcc, v8, v6, vcc
	global_store_short v[5:6], v7, off
	s_or_b64 exec, exec, s[14:15]
	s_and_saveexec_b64 s[14:15], s[2:3]
	s_cbranch_execz .LBB159_32
.LBB159_70:
	v_bfe_u32 v5, v37, 16, 1
	s_movk_i32 s9, 0x7fff
	v_add3_u32 v5, v37, v5, s9
	v_cmp_o_f32_e32 vcc, v37, v37
	v_mov_b32_e32 v6, 0x7fc0
	v_cndmask_b32_sdwa v7, v6, v5, vcc dst_sel:DWORD dst_unused:UNUSED_PAD src0_sel:DWORD src1_sel:WORD_1
	v_add_u32_e32 v5, v4, v1
	v_mov_b32_e32 v6, 0
	v_lshlrev_b64 v[5:6], 1, v[5:6]
	s_waitcnt lgkmcnt(0)
	v_mov_b32_e32 v8, s13
	v_add_co_u32_e32 v5, vcc, s12, v5
	v_addc_co_u32_e32 v6, vcc, v8, v6, vcc
	global_store_short v[5:6], v7, off
	s_or_b64 exec, exec, s[14:15]
	s_and_saveexec_b64 s[14:15], s[4:5]
	s_cbranch_execz .LBB159_33
.LBB159_71:
	v_bfe_u32 v5, v36, 16, 1
	s_movk_i32 s9, 0x7fff
	v_add3_u32 v5, v36, v5, s9
	v_cmp_o_f32_e32 vcc, v36, v36
	v_mov_b32_e32 v6, 0x7fc0
	v_cndmask_b32_sdwa v7, v6, v5, vcc dst_sel:DWORD dst_unused:UNUSED_PAD src0_sel:DWORD src1_sel:WORD_1
	v_add_u32_e32 v5, v4, v2
	v_mov_b32_e32 v6, 0
	v_lshlrev_b64 v[5:6], 1, v[5:6]
	s_waitcnt lgkmcnt(0)
	v_mov_b32_e32 v8, s13
	v_add_co_u32_e32 v5, vcc, s12, v5
	v_addc_co_u32_e32 v6, vcc, v8, v6, vcc
	global_store_short v[5:6], v7, off
	s_or_b64 exec, exec, s[14:15]
	s_and_saveexec_b64 s[14:15], s[6:7]
	s_cbranch_execnz .LBB159_34
	s_branch .LBB159_35
.LBB159_72:
	v_bfe_u32 v5, v34, 16, 1
	s_movk_i32 s9, 0x7fff
	v_add3_u32 v5, v34, v5, s9
	v_cmp_o_f32_e32 vcc, v34, v34
	v_mov_b32_e32 v6, 0x7fc0
	v_cndmask_b32_sdwa v7, v6, v5, vcc dst_sel:DWORD dst_unused:UNUSED_PAD src0_sel:DWORD src1_sel:WORD_1
	v_add_u32_e32 v5, v4, v0
	v_mov_b32_e32 v6, 0
	v_lshlrev_b64 v[5:6], 1, v[5:6]
	s_waitcnt lgkmcnt(0)
	v_mov_b32_e32 v8, s13
	v_add_co_u32_e32 v5, vcc, s12, v5
	v_addc_co_u32_e32 v6, vcc, v8, v6, vcc
	global_store_short v[5:6], v7, off
	s_or_b64 exec, exec, s[14:15]
	s_and_saveexec_b64 s[14:15], s[2:3]
	s_cbranch_execz .LBB159_38
.LBB159_73:
	v_bfe_u32 v5, v33, 16, 1
	s_movk_i32 s9, 0x7fff
	v_add3_u32 v5, v33, v5, s9
	v_cmp_o_f32_e32 vcc, v33, v33
	v_mov_b32_e32 v6, 0x7fc0
	v_cndmask_b32_sdwa v7, v6, v5, vcc dst_sel:DWORD dst_unused:UNUSED_PAD src0_sel:DWORD src1_sel:WORD_1
	v_add_u32_e32 v5, v4, v1
	v_mov_b32_e32 v6, 0
	v_lshlrev_b64 v[5:6], 1, v[5:6]
	s_waitcnt lgkmcnt(0)
	v_mov_b32_e32 v8, s13
	v_add_co_u32_e32 v5, vcc, s12, v5
	v_addc_co_u32_e32 v6, vcc, v8, v6, vcc
	global_store_short v[5:6], v7, off
	s_or_b64 exec, exec, s[14:15]
	s_and_saveexec_b64 s[14:15], s[4:5]
	s_cbranch_execz .LBB159_39
.LBB159_74:
	v_bfe_u32 v5, v32, 16, 1
	s_movk_i32 s9, 0x7fff
	v_add3_u32 v5, v32, v5, s9
	v_cmp_o_f32_e32 vcc, v32, v32
	v_mov_b32_e32 v6, 0x7fc0
	v_cndmask_b32_sdwa v7, v6, v5, vcc dst_sel:DWORD dst_unused:UNUSED_PAD src0_sel:DWORD src1_sel:WORD_1
	v_add_u32_e32 v5, v4, v2
	v_mov_b32_e32 v6, 0
	v_lshlrev_b64 v[5:6], 1, v[5:6]
	s_waitcnt lgkmcnt(0)
	v_mov_b32_e32 v8, s13
	v_add_co_u32_e32 v5, vcc, s12, v5
	v_addc_co_u32_e32 v6, vcc, v8, v6, vcc
	global_store_short v[5:6], v7, off
	s_or_b64 exec, exec, s[14:15]
	s_and_saveexec_b64 s[14:15], s[6:7]
	s_cbranch_execnz .LBB159_40
	s_branch .LBB159_41
.LBB159_75:
	v_bfe_u32 v5, v30, 16, 1
	s_movk_i32 s9, 0x7fff
	v_add3_u32 v5, v30, v5, s9
	v_cmp_o_f32_e32 vcc, v30, v30
	v_mov_b32_e32 v6, 0x7fc0
	v_cndmask_b32_sdwa v7, v6, v5, vcc dst_sel:DWORD dst_unused:UNUSED_PAD src0_sel:DWORD src1_sel:WORD_1
	v_add_u32_e32 v5, v4, v0
	v_mov_b32_e32 v6, 0
	v_lshlrev_b64 v[5:6], 1, v[5:6]
	s_waitcnt lgkmcnt(0)
	v_mov_b32_e32 v8, s13
	v_add_co_u32_e32 v5, vcc, s12, v5
	v_addc_co_u32_e32 v6, vcc, v8, v6, vcc
	global_store_short v[5:6], v7, off
	s_or_b64 exec, exec, s[14:15]
	s_and_saveexec_b64 s[14:15], s[2:3]
	s_cbranch_execz .LBB159_44
.LBB159_76:
	v_bfe_u32 v5, v29, 16, 1
	s_movk_i32 s9, 0x7fff
	v_add3_u32 v5, v29, v5, s9
	v_cmp_o_f32_e32 vcc, v29, v29
	v_mov_b32_e32 v6, 0x7fc0
	v_cndmask_b32_sdwa v7, v6, v5, vcc dst_sel:DWORD dst_unused:UNUSED_PAD src0_sel:DWORD src1_sel:WORD_1
	v_add_u32_e32 v5, v4, v1
	v_mov_b32_e32 v6, 0
	v_lshlrev_b64 v[5:6], 1, v[5:6]
	s_waitcnt lgkmcnt(0)
	v_mov_b32_e32 v8, s13
	v_add_co_u32_e32 v5, vcc, s12, v5
	v_addc_co_u32_e32 v6, vcc, v8, v6, vcc
	global_store_short v[5:6], v7, off
	s_or_b64 exec, exec, s[14:15]
	s_and_saveexec_b64 s[14:15], s[4:5]
	s_cbranch_execz .LBB159_45
.LBB159_77:
	v_bfe_u32 v5, v28, 16, 1
	s_movk_i32 s9, 0x7fff
	v_add3_u32 v5, v28, v5, s9
	v_cmp_o_f32_e32 vcc, v28, v28
	v_mov_b32_e32 v6, 0x7fc0
	v_cndmask_b32_sdwa v7, v6, v5, vcc dst_sel:DWORD dst_unused:UNUSED_PAD src0_sel:DWORD src1_sel:WORD_1
	v_add_u32_e32 v5, v4, v2
	v_mov_b32_e32 v6, 0
	v_lshlrev_b64 v[5:6], 1, v[5:6]
	s_waitcnt lgkmcnt(0)
	v_mov_b32_e32 v8, s13
	v_add_co_u32_e32 v5, vcc, s12, v5
	v_addc_co_u32_e32 v6, vcc, v8, v6, vcc
	global_store_short v[5:6], v7, off
	s_or_b64 exec, exec, s[14:15]
	s_and_saveexec_b64 s[14:15], s[6:7]
	s_cbranch_execnz .LBB159_46
	s_branch .LBB159_47
.LBB159_78:
	v_bfe_u32 v5, v26, 16, 1
	s_movk_i32 s9, 0x7fff
	v_add3_u32 v5, v26, v5, s9
	v_cmp_o_f32_e32 vcc, v26, v26
	v_mov_b32_e32 v6, 0x7fc0
	v_cndmask_b32_sdwa v7, v6, v5, vcc dst_sel:DWORD dst_unused:UNUSED_PAD src0_sel:DWORD src1_sel:WORD_1
	v_add_u32_e32 v5, v4, v0
	v_mov_b32_e32 v6, 0
	v_lshlrev_b64 v[5:6], 1, v[5:6]
	s_waitcnt lgkmcnt(0)
	v_mov_b32_e32 v8, s13
	v_add_co_u32_e32 v5, vcc, s12, v5
	v_addc_co_u32_e32 v6, vcc, v8, v6, vcc
	global_store_short v[5:6], v7, off
	s_or_b64 exec, exec, s[14:15]
	s_and_saveexec_b64 s[14:15], s[2:3]
	s_cbranch_execz .LBB159_50
.LBB159_79:
	v_bfe_u32 v5, v25, 16, 1
	s_movk_i32 s9, 0x7fff
	v_add3_u32 v5, v25, v5, s9
	v_cmp_o_f32_e32 vcc, v25, v25
	v_mov_b32_e32 v6, 0x7fc0
	v_cndmask_b32_sdwa v7, v6, v5, vcc dst_sel:DWORD dst_unused:UNUSED_PAD src0_sel:DWORD src1_sel:WORD_1
	v_add_u32_e32 v5, v4, v1
	v_mov_b32_e32 v6, 0
	v_lshlrev_b64 v[5:6], 1, v[5:6]
	s_waitcnt lgkmcnt(0)
	v_mov_b32_e32 v8, s13
	v_add_co_u32_e32 v5, vcc, s12, v5
	v_addc_co_u32_e32 v6, vcc, v8, v6, vcc
	global_store_short v[5:6], v7, off
	s_or_b64 exec, exec, s[14:15]
	s_and_saveexec_b64 s[14:15], s[4:5]
	s_cbranch_execz .LBB159_51
.LBB159_80:
	v_bfe_u32 v5, v24, 16, 1
	s_movk_i32 s9, 0x7fff
	v_add3_u32 v5, v24, v5, s9
	v_cmp_o_f32_e32 vcc, v24, v24
	v_mov_b32_e32 v6, 0x7fc0
	v_cndmask_b32_sdwa v7, v6, v5, vcc dst_sel:DWORD dst_unused:UNUSED_PAD src0_sel:DWORD src1_sel:WORD_1
	v_add_u32_e32 v5, v4, v2
	v_mov_b32_e32 v6, 0
	v_lshlrev_b64 v[5:6], 1, v[5:6]
	s_waitcnt lgkmcnt(0)
	v_mov_b32_e32 v8, s13
	v_add_co_u32_e32 v5, vcc, s12, v5
	v_addc_co_u32_e32 v6, vcc, v8, v6, vcc
	global_store_short v[5:6], v7, off
	s_or_b64 exec, exec, s[14:15]
	s_and_saveexec_b64 s[14:15], s[6:7]
	s_cbranch_execnz .LBB159_52
	s_branch .LBB159_53
.LBB159_81:
	v_bfe_u32 v5, v22, 16, 1
	s_movk_i32 s9, 0x7fff
	v_add3_u32 v5, v22, v5, s9
	v_cmp_o_f32_e32 vcc, v22, v22
	v_mov_b32_e32 v6, 0x7fc0
	v_cndmask_b32_sdwa v7, v6, v5, vcc dst_sel:DWORD dst_unused:UNUSED_PAD src0_sel:DWORD src1_sel:WORD_1
	v_add_u32_e32 v5, v4, v0
	v_mov_b32_e32 v6, 0
	v_lshlrev_b64 v[5:6], 1, v[5:6]
	s_waitcnt lgkmcnt(0)
	v_mov_b32_e32 v8, s13
	v_add_co_u32_e32 v5, vcc, s12, v5
	v_addc_co_u32_e32 v6, vcc, v8, v6, vcc
	global_store_short v[5:6], v7, off
	s_or_b64 exec, exec, s[14:15]
	s_and_saveexec_b64 s[14:15], s[2:3]
	s_cbranch_execz .LBB159_56
.LBB159_82:
	v_bfe_u32 v5, v21, 16, 1
	s_movk_i32 s9, 0x7fff
	v_add3_u32 v5, v21, v5, s9
	v_cmp_o_f32_e32 vcc, v21, v21
	v_mov_b32_e32 v6, 0x7fc0
	v_cndmask_b32_sdwa v7, v6, v5, vcc dst_sel:DWORD dst_unused:UNUSED_PAD src0_sel:DWORD src1_sel:WORD_1
	v_add_u32_e32 v5, v4, v1
	v_mov_b32_e32 v6, 0
	v_lshlrev_b64 v[5:6], 1, v[5:6]
	s_waitcnt lgkmcnt(0)
	v_mov_b32_e32 v8, s13
	v_add_co_u32_e32 v5, vcc, s12, v5
	v_addc_co_u32_e32 v6, vcc, v8, v6, vcc
	global_store_short v[5:6], v7, off
	s_or_b64 exec, exec, s[14:15]
	s_and_saveexec_b64 s[14:15], s[4:5]
	s_cbranch_execz .LBB159_57
.LBB159_83:
	v_bfe_u32 v5, v20, 16, 1
	s_movk_i32 s9, 0x7fff
	v_add3_u32 v5, v20, v5, s9
	v_cmp_o_f32_e32 vcc, v20, v20
	v_mov_b32_e32 v6, 0x7fc0
	v_cndmask_b32_sdwa v7, v6, v5, vcc dst_sel:DWORD dst_unused:UNUSED_PAD src0_sel:DWORD src1_sel:WORD_1
	v_add_u32_e32 v5, v4, v2
	v_mov_b32_e32 v6, 0
	v_lshlrev_b64 v[5:6], 1, v[5:6]
	s_waitcnt lgkmcnt(0)
	v_mov_b32_e32 v8, s13
	v_add_co_u32_e32 v5, vcc, s12, v5
	v_addc_co_u32_e32 v6, vcc, v8, v6, vcc
	global_store_short v[5:6], v7, off
	s_or_b64 exec, exec, s[14:15]
	s_and_saveexec_b64 s[14:15], s[6:7]
	s_cbranch_execnz .LBB159_58
	s_branch .LBB159_59
.LBB159_84:
	v_bfe_u32 v5, v18, 16, 1
	s_movk_i32 s0, 0x7fff
	v_add3_u32 v5, v18, v5, s0
	v_cmp_o_f32_e32 vcc, v18, v18
	v_mov_b32_e32 v6, 0x7fc0
	v_cndmask_b32_sdwa v7, v6, v5, vcc dst_sel:DWORD dst_unused:UNUSED_PAD src0_sel:DWORD src1_sel:WORD_1
	v_add_u32_e32 v5, v4, v0
	v_mov_b32_e32 v6, 0
	v_lshlrev_b64 v[5:6], 1, v[5:6]
	s_waitcnt lgkmcnt(0)
	v_mov_b32_e32 v0, s13
	v_add_co_u32_e32 v5, vcc, s12, v5
	v_addc_co_u32_e32 v6, vcc, v0, v6, vcc
	global_store_short v[5:6], v7, off
	s_or_b64 exec, exec, s[8:9]
	s_and_saveexec_b64 s[0:1], s[2:3]
	s_cbranch_execz .LBB159_62
.LBB159_85:
	v_bfe_u32 v0, v17, 16, 1
	s_movk_i32 s2, 0x7fff
	v_add3_u32 v0, v17, v0, s2
	v_cmp_o_f32_e32 vcc, v17, v17
	v_mov_b32_e32 v5, 0x7fc0
	v_cndmask_b32_sdwa v5, v5, v0, vcc dst_sel:DWORD dst_unused:UNUSED_PAD src0_sel:DWORD src1_sel:WORD_1
	v_add_u32_e32 v0, v4, v1
	v_mov_b32_e32 v1, 0
	v_lshlrev_b64 v[0:1], 1, v[0:1]
	s_waitcnt lgkmcnt(0)
	v_mov_b32_e32 v6, s13
	v_add_co_u32_e32 v0, vcc, s12, v0
	v_addc_co_u32_e32 v1, vcc, v6, v1, vcc
	global_store_short v[0:1], v5, off
	s_or_b64 exec, exec, s[0:1]
	s_and_saveexec_b64 s[0:1], s[4:5]
	s_cbranch_execz .LBB159_63
.LBB159_86:
	v_bfe_u32 v0, v16, 16, 1
	s_movk_i32 s2, 0x7fff
	v_add3_u32 v0, v16, v0, s2
	v_cmp_o_f32_e32 vcc, v16, v16
	v_mov_b32_e32 v1, 0x7fc0
	v_cndmask_b32_sdwa v5, v1, v0, vcc dst_sel:DWORD dst_unused:UNUSED_PAD src0_sel:DWORD src1_sel:WORD_1
	v_add_u32_e32 v0, v4, v2
	v_mov_b32_e32 v1, 0
	v_lshlrev_b64 v[0:1], 1, v[0:1]
	s_waitcnt lgkmcnt(0)
	v_mov_b32_e32 v2, s13
	v_add_co_u32_e32 v0, vcc, s12, v0
	v_addc_co_u32_e32 v1, vcc, v2, v1, vcc
	global_store_short v[0:1], v5, off
	s_or_b64 exec, exec, s[0:1]
	s_and_b64 exec, exec, s[6:7]
	s_cbranch_execnz .LBB159_64
	s_branch .LBB159_65
	.section	.rodata,"a",@progbits
	.p2align	6, 0x0
	.amdhsa_kernel _ZL12mul_mat_q4_1IN3c108BFloat16ELb0EEvPKvS3_PT_iiiii
		.amdhsa_group_segment_fixed_size 30336
		.amdhsa_private_segment_fixed_size 116
		.amdhsa_kernarg_size 44
		.amdhsa_user_sgpr_count 6
		.amdhsa_user_sgpr_private_segment_buffer 1
		.amdhsa_user_sgpr_dispatch_ptr 0
		.amdhsa_user_sgpr_queue_ptr 0
		.amdhsa_user_sgpr_kernarg_segment_ptr 1
		.amdhsa_user_sgpr_dispatch_id 0
		.amdhsa_user_sgpr_flat_scratch_init 0
		.amdhsa_user_sgpr_private_segment_size 0
		.amdhsa_uses_dynamic_stack 0
		.amdhsa_system_sgpr_private_segment_wavefront_offset 1
		.amdhsa_system_sgpr_workgroup_id_x 1
		.amdhsa_system_sgpr_workgroup_id_y 1
		.amdhsa_system_sgpr_workgroup_id_z 0
		.amdhsa_system_sgpr_workgroup_info 0
		.amdhsa_system_vgpr_workitem_id 1
		.amdhsa_next_free_vgpr 128
		.amdhsa_next_free_sgpr 98
		.amdhsa_reserve_vcc 1
		.amdhsa_reserve_flat_scratch 0
		.amdhsa_float_round_mode_32 0
		.amdhsa_float_round_mode_16_64 0
		.amdhsa_float_denorm_mode_32 3
		.amdhsa_float_denorm_mode_16_64 3
		.amdhsa_dx10_clamp 1
		.amdhsa_ieee_mode 1
		.amdhsa_fp16_overflow 0
		.amdhsa_exception_fp_ieee_invalid_op 0
		.amdhsa_exception_fp_denorm_src 0
		.amdhsa_exception_fp_ieee_div_zero 0
		.amdhsa_exception_fp_ieee_overflow 0
		.amdhsa_exception_fp_ieee_underflow 0
		.amdhsa_exception_fp_ieee_inexact 0
		.amdhsa_exception_int_div_zero 0
	.end_amdhsa_kernel
	.section	.text._ZL12mul_mat_q4_1IN3c108BFloat16ELb0EEvPKvS3_PT_iiiii,"axG",@progbits,_ZL12mul_mat_q4_1IN3c108BFloat16ELb0EEvPKvS3_PT_iiiii,comdat
.Lfunc_end159:
	.size	_ZL12mul_mat_q4_1IN3c108BFloat16ELb0EEvPKvS3_PT_iiiii, .Lfunc_end159-_ZL12mul_mat_q4_1IN3c108BFloat16ELb0EEvPKvS3_PT_iiiii
                                        ; -- End function
	.set _ZL12mul_mat_q4_1IN3c108BFloat16ELb0EEvPKvS3_PT_iiiii.num_vgpr, 128
	.set _ZL12mul_mat_q4_1IN3c108BFloat16ELb0EEvPKvS3_PT_iiiii.num_agpr, 0
	.set _ZL12mul_mat_q4_1IN3c108BFloat16ELb0EEvPKvS3_PT_iiiii.numbered_sgpr, 24
	.set _ZL12mul_mat_q4_1IN3c108BFloat16ELb0EEvPKvS3_PT_iiiii.num_named_barrier, 0
	.set _ZL12mul_mat_q4_1IN3c108BFloat16ELb0EEvPKvS3_PT_iiiii.private_seg_size, 116
	.set _ZL12mul_mat_q4_1IN3c108BFloat16ELb0EEvPKvS3_PT_iiiii.uses_vcc, 1
	.set _ZL12mul_mat_q4_1IN3c108BFloat16ELb0EEvPKvS3_PT_iiiii.uses_flat_scratch, 0
	.set _ZL12mul_mat_q4_1IN3c108BFloat16ELb0EEvPKvS3_PT_iiiii.has_dyn_sized_stack, 0
	.set _ZL12mul_mat_q4_1IN3c108BFloat16ELb0EEvPKvS3_PT_iiiii.has_recursion, 0
	.set _ZL12mul_mat_q4_1IN3c108BFloat16ELb0EEvPKvS3_PT_iiiii.has_indirect_call, 0
	.section	.AMDGPU.csdata,"",@progbits
; Kernel info:
; codeLenInByte = 14072
; TotalNumSgprs: 28
; NumVgprs: 128
; ScratchSize: 116
; MemoryBound: 0
; FloatMode: 240
; IeeeMode: 1
; LDSByteSize: 30336 bytes/workgroup (compile time only)
; SGPRBlocks: 12
; VGPRBlocks: 31
; NumSGPRsForWavesPerEU: 102
; NumVGPRsForWavesPerEU: 128
; Occupancy: 2
; WaveLimiterHint : 0
; COMPUTE_PGM_RSRC2:SCRATCH_EN: 1
; COMPUTE_PGM_RSRC2:USER_SGPR: 6
; COMPUTE_PGM_RSRC2:TRAP_HANDLER: 0
; COMPUTE_PGM_RSRC2:TGID_X_EN: 1
; COMPUTE_PGM_RSRC2:TGID_Y_EN: 1
; COMPUTE_PGM_RSRC2:TGID_Z_EN: 0
; COMPUTE_PGM_RSRC2:TIDIG_COMP_CNT: 1
	.section	.text._ZL12mul_mat_q4_1IN3c108BFloat16ELb1EEvPKvS3_PT_iiiii,"axG",@progbits,_ZL12mul_mat_q4_1IN3c108BFloat16ELb1EEvPKvS3_PT_iiiii,comdat
	.globl	_ZL12mul_mat_q4_1IN3c108BFloat16ELb1EEvPKvS3_PT_iiiii ; -- Begin function _ZL12mul_mat_q4_1IN3c108BFloat16ELb1EEvPKvS3_PT_iiiii
	.p2align	8
	.type	_ZL12mul_mat_q4_1IN3c108BFloat16ELb1EEvPKvS3_PT_iiiii,@function
_ZL12mul_mat_q4_1IN3c108BFloat16ELb1EEvPKvS3_PT_iiiii: ; @_ZL12mul_mat_q4_1IN3c108BFloat16ELb1EEvPKvS3_PT_iiiii
; %bb.0:
	s_mov_b64 s[22:23], s[2:3]
	s_mov_b64 s[20:21], s[0:1]
	s_add_u32 s20, s20, s8
	s_addc_u32 s21, s21, 0
	buffer_store_dword v0, off, s[20:23], 0 offset:72 ; 4-byte Folded Spill
	s_load_dwordx4 s[8:11], s[4:5], 0x18
	s_load_dword s14, s[4:5], 0x28
	s_lshl_b32 s15, s7, 6
	v_add_u32_e32 v53, s15, v1
	buffer_store_dword v1, off, s[20:23], 0 offset:172 ; 4-byte Folded Spill
	s_waitcnt lgkmcnt(0)
	s_cmp_gt_i32 s8, 31
	s_cbranch_scc1 .LBB160_2
; %bb.1:
	buffer_load_dword v0, off, s[20:23], 0 offset:172 ; 4-byte Folded Reload
	s_mov_b64 s[0:1], 0
	s_waitcnt vmcnt(0)
	v_add_u32_e32 v0, s15, v0
	s_branch .LBB160_3
.LBB160_2:
	s_mov_b64 s[0:1], -1
                                        ; implicit-def: $vgpr0
.LBB160_3:
	s_load_dwordx2 s[12:13], s[4:5], 0x10
	s_lshl_b32 s6, s6, 7
	v_mov_b32_e32 v31, 0
	s_andn2_b64 vcc, exec, s[0:1]
	v_mov_b32_e32 v35, 0
	v_mov_b32_e32 v39, 0
	;; [unrolled: 1-line block ×31, first 2 shown]
	s_cbranch_vccnz .LBB160_15
; %bb.4:
	buffer_load_dword v41, off, s[20:23], 0 offset:72 ; 4-byte Folded Reload
	buffer_load_dword v2, off, s[20:23], 0 offset:172 ; 4-byte Folded Reload
	s_load_dwordx4 s[0:3], s[4:5], 0x0
	s_ashr_i32 s4, s8, 31
	s_lshr_b32 s4, s4, 27
	s_ashr_i32 s5, s11, 31
	s_add_i32 s4, s8, s4
	s_lshr_b32 s5, s5, 27
	s_ashr_i32 s4, s4, 5
	s_add_i32 s5, s11, s5
	s_ashr_i32 s11, s5, 5
	s_mul_i32 s5, s4, s6
	s_mul_hi_i32 s7, s5, 20
	s_mul_i32 s5, s5, 20
	s_waitcnt lgkmcnt(0)
	s_add_u32 s5, s0, s5
	s_addc_u32 s7, s1, s7
	s_not_b32 s0, s6
	s_add_i32 s1, s9, s0
	s_movk_i32 s0, 0x84
	v_add_u32_e32 v7, 16, v53
	v_cvt_f64_u32_e32 v[7:8], v7
	v_mov_b32_e32 v55, 0
	v_mov_b32_e32 v70, 0
	;; [unrolled: 1-line block ×18, first 2 shown]
	s_waitcnt vmcnt(1)
	v_lshlrev_b32_e32 v0, 2, v41
	s_waitcnt vmcnt(0)
	v_min_i32_e32 v1, s1, v2
	v_add_u32_e32 v9, 8, v2
	v_mul_lo_u32 v62, v1, s4
	v_mad_u64_u32 v[64:65], s[8:9], v1, s0, v[0:1]
	v_min_i32_e32 v1, s1, v9
	v_add_u32_e32 v10, 16, v2
	v_mul_lo_u32 v65, v1, s4
	v_mad_u64_u32 v[67:68], s[8:9], v1, s0, v[0:1]
	;; [unrolled: 4-line block ×3, first 2 shown]
	v_min_i32_e32 v1, s1, v13
	v_add_u32_e32 v14, 32, v2
	v_mov_b32_e32 v42, v2
	v_mul_lo_u32 v16, v1, s4
	v_mad_u64_u32 v[17:18], s[8:9], v1, s0, v[0:1]
	v_min_i32_e32 v1, s1, v14
	v_add_u32_e32 v27, 40, v42
	v_mul_lo_u32 v69, v1, s4
	v_mad_u64_u32 v[71:72], s[8:9], v1, s0, v[0:1]
	v_min_i32_e32 v1, s1, v27
	v_add_u32_e32 v28, 48, v42
	;; [unrolled: 4-line block ×3, first 2 shown]
	v_mul_lo_u32 v19, v1, s4
	v_mad_u64_u32 v[73:74], s[8:9], v1, s0, v[0:1]
	v_min_i32_e32 v1, s1, v29
	v_mul_lo_u32 v74, v1, s4
	v_mad_u64_u32 v[20:21], s[8:9], v1, s0, v[0:1]
	v_add_u32_e32 v1, 64, v42
	v_min_i32_e32 v1, s1, v1
	v_mul_lo_u32 v21, v1, s4
	v_mad_u64_u32 v[75:76], s[8:9], v1, s0, v[0:1]
	v_add_u32_e32 v1, 0x48, v42
	;; [unrolled: 4-line block ×8, first 2 shown]
	v_min_i32_e32 v1, s1, v1
	v_mul_lo_u32 v113, v1, s4
	v_mad_u64_u32 v[80:81], s[8:9], v1, s0, v[0:1]
	v_lshrrev_b32_e32 v1, 3, v41
	buffer_store_dword v1, off, s[20:23], 0 offset:84 ; 4-byte Folded Spill
	v_lshl_add_u32 v1, v42, 2, v1
	v_min_i32_e32 v2, s1, v1
	v_ashrrev_i32_e32 v3, 31, v2
	v_lshrrev_b32_e32 v3, 30, v3
	v_and_b32_e32 v114, 7, v41
	v_mul_lo_u32 v86, v2, s4
	v_add_u32_e32 v3, v2, v3
	v_lshlrev_b32_e32 v30, 5, v2
	v_add_u32_e32 v2, 32, v1
	v_and_b32_e32 v3, -4, v3
	v_lshlrev_b32_e32 v4, 2, v114
	s_movk_i32 s8, 0x6200
	v_min_i32_e32 v2, s1, v2
	v_add3_u32 v26, v3, v4, s8
	v_ashrrev_i32_e32 v3, 31, v2
	v_lshrrev_b32_e32 v3, 30, v3
	v_mul_lo_u32 v61, v2, s4
	v_add_u32_e32 v3, v2, v3
	v_lshlrev_b32_e32 v32, 5, v2
	v_add_u32_e32 v2, 64, v1
	v_and_b32_e32 v3, -4, v3
	v_min_i32_e32 v2, s1, v2
	v_add3_u32 v31, v3, v4, s8
	v_ashrrev_i32_e32 v3, 31, v2
	v_add_u32_e32 v1, 0x60, v1
	v_lshrrev_b32_e32 v3, 30, v3
	v_min_i32_e32 v1, s1, v1
	v_mul_lo_u32 v66, v2, s4
	v_add_u32_e32 v3, v2, v3
	v_lshlrev_b32_e32 v34, 5, v2
	v_ashrrev_i32_e32 v2, 31, v1
	v_lshrrev_b32_e32 v2, 30, v2
	v_and_b32_e32 v3, -4, v3
	v_add_u32_e32 v2, v1, v2
	v_lshrrev_b32_e32 v59, 2, v41
	v_and_b32_e32 v60, 12, v0
	v_add3_u32 v33, v3, v4, s8
	v_and_b32_e32 v2, -4, v2
	s_add_i32 s1, s10, -1
	v_and_b32_e32 v3, 31, v41
	v_and_b32_e32 v37, 28, v0
	v_mov_b32_e32 v0, 0x4200
	v_mul_lo_u32 v81, v1, s4
	v_add3_u32 v35, v2, v4, s8
	v_lshlrev_b32_e32 v36, 5, v1
	v_cvt_f64_i32_e32 v[1:2], s1
	v_lshl_or_b32 v43, v3, 2, v0
	v_lshl_add_u32 v0, v42, 3, v59
	v_cvt_f64_u32_e32 v[3:4], v53
	v_and_b32_e32 v11, 63, v0
	v_or_b32_e32 v5, s15, v11
	v_min_i32_e32 v12, s1, v5
	v_add_u32_e32 v5, 8, v53
	v_cvt_f64_u32_e32 v[5:6], v5
	v_min_f64 v[3:4], v[3:4], v[1:2]
	v_and_b32_e32 v0, 3, v41
	v_mad_u64_u32 v[38:39], s[8:9], v12, s11, v[0:1]
	v_min_f64 v[5:6], v[5:6], v[1:2]
	v_min_f64 v[7:8], v[7:8], v[1:2]
	v_lshlrev_b32_e32 v0, 2, v0
	v_lshl_or_b32 v0, v11, 4, v0
	v_cvt_i32_f64_e32 v3, v[3:4]
	v_add_u32_e32 v0, 0x7280, v0
	buffer_store_dword v38, off, s[20:23], 0 offset:104 ; 4-byte Folded Spill
	s_nop 0
	buffer_store_dword v39, off, s[20:23], 0 offset:108 ; 4-byte Folded Spill
	buffer_store_dword v0, off, s[20:23], 0 ; 4-byte Folded Spill
	v_cvt_i32_f64_e32 v0, v[5:6]
	v_mul_lo_u32 v3, s11, v3
	v_lshlrev_b32_e32 v38, 7, v9
	v_lshlrev_b32_e32 v39, 7, v10
	v_mul_lo_u32 v0, s11, v0
	buffer_store_dword v3, off, s[20:23], 0 offset:4 ; 4-byte Folded Spill
	v_cvt_i32_f64_e32 v3, v[7:8]
	v_lshlrev_b32_e32 v44, 7, v42
	buffer_store_dword v0, off, s[20:23], 0 offset:8 ; 4-byte Folded Spill
	buffer_store_dword v53, off, s[20:23], 0 offset:176 ; 4-byte Folded Spill
	v_mul_lo_u32 v0, s11, v3
	s_add_i32 s8, s4, 3
	s_mov_b32 s9, 0
	buffer_store_dword v0, off, s[20:23], 0 offset:12 ; 4-byte Folded Spill
	v_add_u32_e32 v0, 24, v53
	v_cvt_f64_u32_e32 v[3:4], v0
	v_add_u32_e32 v0, 32, v53
	v_cvt_f64_u32_e32 v[5:6], v0
	v_add_u32_e32 v0, 40, v53
	v_min_f64 v[3:4], v[3:4], v[1:2]
	v_cvt_f64_u32_e32 v[7:8], v0
	v_add_u32_e32 v0, 48, v53
	v_cvt_f64_u32_e32 v[9:10], v0
	v_min_f64 v[5:6], v[5:6], v[1:2]
	v_min_f64 v[7:8], v[7:8], v[1:2]
	v_add_u32_e32 v0, 56, v53
	v_cvt_f64_u32_e32 v[11:12], v0
	v_cvt_i32_f64_e32 v40, v[3:4]
	v_min_f64 v[3:4], v[9:10], v[1:2]
	v_min_f64 v[0:1], v[11:12], v[1:2]
	v_cvt_i32_f64_e32 v5, v[5:6]
	v_cvt_i32_f64_e32 v6, v[7:8]
	v_add_u32_e32 v7, 0x60, v41
	v_and_b32_e32 v7, 0x1fc, v7
	v_mul_lo_u32 v2, s11, v40
	v_cvt_i32_f64_e32 v3, v[3:4]
	v_mul_lo_u32 v4, s11, v6
	v_cvt_i32_f64_e32 v0, v[0:1]
	v_lshlrev_b32_e32 v1, 7, v27
	v_mul_lo_u32 v3, s11, v3
	buffer_store_dword v4, off, s[20:23], 0 offset:24 ; 4-byte Folded Spill
	v_add_u32_e32 v4, 32, v41
	v_lshrrev_b32_e32 v8, 3, v4
	buffer_store_dword v8, off, s[20:23], 0 offset:148 ; 4-byte Folded Spill
	v_mov_b32_e32 v8, s3
	v_add_co_u32_e32 v27, vcc, s2, v37
	buffer_store_dword v3, off, s[20:23], 0 offset:28 ; 4-byte Folded Spill
	v_lshlrev_b32_e32 v3, 7, v28
	v_add_u32_e32 v6, 64, v41
	v_addc_co_u32_e32 v28, vcc, 0, v8, vcc
	v_lshlrev_b32_e32 v8, 5, v41
	v_add_u32_e32 v7, v8, v7
	v_and_b32_e32 v6, 0x1fc, v6
	v_add_u32_e32 v9, 0x6e00, v7
	v_add_u32_e32 v6, v8, v6
	v_and_b32_e32 v4, 0x1fc, v4
	buffer_store_dword v9, off, s[20:23], 0 offset:116 ; 4-byte Folded Spill
	v_add_u32_e32 v9, 0x6a00, v6
	v_add_u32_e32 v4, v8, v4
	buffer_store_dword v9, off, s[20:23], 0 offset:120 ; 4-byte Folded Spill
	v_add_u32_e32 v9, 0x6600, v4
	buffer_store_dword v9, off, s[20:23], 0 offset:124 ; 4-byte Folded Spill
	v_and_b32_e32 v9, 0xfc, v41
	v_mul_lo_u32 v5, s11, v5
	v_mul_lo_u32 v0, s11, v0
	v_add_u32_e32 v8, v8, v9
	v_add_u32_e32 v9, 0x6200, v8
	buffer_store_dword v9, off, s[20:23], 0 offset:132 ; 4-byte Folded Spill
	v_mov_b32_e32 v9, 0x7280
	v_lshl_add_u32 v9, v42, 4, v9
	buffer_store_dword v2, off, s[20:23], 0 offset:16 ; 4-byte Folded Spill
	buffer_store_dword v5, off, s[20:23], 0 offset:20 ; 4-byte Folded Spill
	;; [unrolled: 1-line block ×5, first 2 shown]
	v_add_u32_e32 v9, 0x4200, v44
	v_lshlrev_b32_e32 v2, 7, v13
	buffer_store_dword v9, off, s[20:23], 0 offset:40 ; 4-byte Folded Spill
	v_mad_u32_u24 v9, v41, s0, 64
	v_lshlrev_b32_e32 v5, 7, v14
	buffer_store_dword v9, off, s[20:23], 0 offset:152 ; 4-byte Folded Spill
	v_add_u32_e32 v4, 0x6610, v4
	v_add_u32_e32 v9, v43, v38
	v_add_u32_e32 v2, v43, v2
	v_add_u32_e32 v1, v43, v1
	v_lshlrev_b32_e32 v0, 7, v29
	v_add_u32_e32 v7, 0x6e10, v7
	v_add_u32_e32 v6, 0x6a10, v6
	buffer_store_dword v4, off, s[20:23], 0 offset:164 ; 4-byte Folded Spill
	v_add_u32_e32 v4, 0x6210, v8
	buffer_store_dword v9, off, s[20:23], 0 offset:44 ; 4-byte Folded Spill
	v_add_u32_e32 v9, v43, v39
	buffer_store_dword v2, off, s[20:23], 0 offset:52 ; 4-byte Folded Spill
	v_add_u32_e32 v2, v43, v5
	buffer_store_dword v1, off, s[20:23], 0 offset:60 ; 4-byte Folded Spill
	v_add_u32_e32 v1, v43, v3
	buffer_store_dword v7, off, s[20:23], 0 offset:156 ; 4-byte Folded Spill
	buffer_store_dword v6, off, s[20:23], 0 offset:160 ; 4-byte Folded Spill
	buffer_store_dword v4, off, s[20:23], 0 offset:168 ; 4-byte Folded Spill
	v_add_u32_e32 v4, v26, v30
	v_add_u32_e32 v6, v31, v32
	;; [unrolled: 1-line block ×4, first 2 shown]
	buffer_store_dword v9, off, s[20:23], 0 offset:48 ; 4-byte Folded Spill
	buffer_store_dword v2, off, s[20:23], 0 offset:56 ; 4-byte Folded Spill
	;; [unrolled: 1-line block ×4, first 2 shown]
	v_add_u32_e32 v0, v43, v0
	v_mov_b32_e32 v42, 0
	v_mov_b32_e32 v38, 0
	v_mov_b32_e32 v34, 0
	v_mov_b32_e32 v41, 0
	v_mov_b32_e32 v37, 0
	v_mov_b32_e32 v33, 0
	v_mov_b32_e32 v44, 0
	v_mov_b32_e32 v40, 0
	v_mov_b32_e32 v36, 0
	v_mov_b32_e32 v32, 0
	v_mov_b32_e32 v43, 0
	v_mov_b32_e32 v39, 0
	v_mov_b32_e32 v35, 0
	v_mov_b32_e32 v31, 0
	buffer_store_dword v0, off, s[20:23], 0 offset:68 ; 4-byte Folded Spill
	buffer_store_dword v80, off, s[20:23], 0 offset:76 ; 4-byte Folded Spill
	s_nop 0
	buffer_store_dword v81, off, s[20:23], 0 offset:80 ; 4-byte Folded Spill
	buffer_store_dword v61, off, s[20:23], 0 offset:88 ; 4-byte Folded Spill
	;; [unrolled: 1-line block ×8, first 2 shown]
	s_branch .LBB160_7
.LBB160_5:                              ;   in Loop: Header=BB160_7 Depth=1
	v_mov_b32_e32 v59, v66
	buffer_load_dword v80, off, s[20:23], 0 offset:76 ; 4-byte Folded Reload
	buffer_load_dword v81, off, s[20:23], 0 offset:80 ; 4-byte Folded Reload
	;; [unrolled: 1-line block ×9, first 2 shown]
.LBB160_6:                              ;   in Loop: Header=BB160_7 Depth=1
	s_add_i32 s9, s9, 8
	s_add_i32 s8, s8, -8
	s_cmp_ge_i32 s9, s4
	s_cbranch_scc1 .LBB160_14
.LBB160_7:                              ; =>This Loop Header: Depth=1
                                        ;     Child Loop BB160_9 Depth 2
                                        ;     Child Loop BB160_12 Depth 2
	s_mul_i32 s0, s9, 20
	s_mul_hi_u32 s1, s9, 20
	s_add_u32 s0, s5, s0
	s_addc_u32 s1, s7, s1
	v_mad_u64_u32 v[2:3], s[16:17], v59, 20, s[0:1]
	s_cmp_gt_u32 s8, 3
	v_mad_i64_i32 v[0:1], s[16:17], v62, 20, v[2:3]
	v_add_co_u32_e32 v0, vcc, v0, v60
	v_addc_co_u32_e32 v1, vcc, 0, v1, vcc
	global_load_dword v0, v[0:1], off offset:4
	s_waitcnt vmcnt(0)
	ds_write_b32 v64, v0
	v_mad_i64_i32 v[0:1], s[16:17], v65, 20, v[2:3]
	v_add_co_u32_e32 v0, vcc, v0, v60
	v_addc_co_u32_e32 v1, vcc, 0, v1, vcc
	global_load_dword v0, v[0:1], off offset:4
	s_waitcnt vmcnt(0)
	ds_write_b32 v67, v0
	;; [unrolled: 6-line block ×16, first 2 shown]
	v_mad_u64_u32 v[0:1], s[0:1], v114, 20, s[0:1]
	v_mad_i64_i32 v[2:3], s[0:1], v86, 20, v[0:1]
	global_load_dword v2, v[2:3], off
	s_waitcnt vmcnt(0)
	ds_write_b32 v4, v2
	v_mad_i64_i32 v[2:3], s[0:1], v61, 20, v[0:1]
	global_load_dword v2, v[2:3], off
	s_waitcnt vmcnt(0)
	ds_write_b32 v6, v2
	v_mad_i64_i32 v[2:3], s[0:1], v66, 20, v[0:1]
	v_mad_i64_i32 v[0:1], s[0:1], v81, 20, v[0:1]
	global_load_dword v2, v[2:3], off
	s_nop 0
	global_load_dword v0, v[0:1], off
	s_waitcnt vmcnt(1)
	ds_write_b32 v7, v2
	s_waitcnt vmcnt(0)
	ds_write_b32 v8, v0
	s_cbranch_scc0 .LBB160_6
; %bb.8:                                ;   in Loop: Header=BB160_7 Depth=1
	buffer_load_dword v0, off, s[20:23], 0 offset:104 ; 4-byte Folded Reload
	buffer_load_dword v1, off, s[20:23], 0 offset:108 ; 4-byte Folded Reload
	v_mov_b32_e32 v66, v59
	s_waitcnt vmcnt(1)
	v_add_u32_e32 v122, s9, v0
	buffer_load_dword v0, off, s[20:23], 0 offset:84 ; 4-byte Folded Reload
	s_waitcnt vmcnt(0)
	v_add_u32_e32 v2, s9, v0
	buffer_load_dword v0, off, s[20:23], 0 offset:4 ; 4-byte Folded Reload
	s_waitcnt vmcnt(0)
	v_add_u32_e32 v0, v2, v0
	v_mad_i64_i32 v[0:1], s[0:1], v0, 36, v[27:28]
	global_load_dword v0, v[0:1], off offset:4
	s_nop 0
	buffer_load_dword v1, off, s[20:23], 0 offset:100 ; 4-byte Folded Reload
	buffer_load_dword v3, off, s[20:23], 0 offset:112 ; 4-byte Folded Reload
	s_waitcnt vmcnt(0)
	v_add_u32_e32 v123, v1, v3
	ds_write_b32 v123, v0
	buffer_load_dword v0, off, s[20:23], 0 offset:8 ; 4-byte Folded Reload
	s_waitcnt vmcnt(0)
	v_add_u32_e32 v0, v2, v0
	v_mad_i64_i32 v[0:1], s[0:1], v0, 36, v[27:28]
	global_load_dword v0, v[0:1], off offset:4
	s_nop 0
	buffer_load_dword v1, off, s[20:23], 0 offset:44 ; 4-byte Folded Reload
	s_waitcnt vmcnt(0)
	ds_write_b32 v1, v0
	buffer_load_dword v0, off, s[20:23], 0 offset:12 ; 4-byte Folded Reload
	s_waitcnt vmcnt(0)
	v_add_u32_e32 v0, v2, v0
	v_mad_i64_i32 v[0:1], s[0:1], v0, 36, v[27:28]
	global_load_dword v0, v[0:1], off offset:4
	s_nop 0
	buffer_load_dword v1, off, s[20:23], 0 offset:48 ; 4-byte Folded Reload
	s_waitcnt vmcnt(0)
	;; [unrolled: 9-line block ×7, first 2 shown]
	ds_write_b32 v1, v0
	v_mad_u64_u32 v[0:1], s[0:1], v122, 36, s[2:3]
	s_mov_b32 s0, -4
	global_load_dword v0, v[0:1], off
	s_nop 0
	buffer_load_dword v1, off, s[20:23], 0  ; 4-byte Folded Reload
	s_waitcnt vmcnt(0)
	ds_write_b32 v1, v0
	s_waitcnt lgkmcnt(0)
	s_barrier
	buffer_load_dword v124, off, s[20:23], 0 offset:40 ; 4-byte Folded Reload
	buffer_load_dword v125, off, s[20:23], 0 offset:36 ; 4-byte Folded Reload
	;; [unrolled: 1-line block ×7, first 2 shown]
	s_waitcnt vmcnt(0)
	v_mul_u32_u24_e32 v99, 0x84, v0
.LBB160_9:                              ;   Parent Loop BB160_7 Depth=1
                                        ; =>  This Inner Loop Header: Depth=2
	ds_read_b128 v[2:5], v124
	ds_read_b128 v[6:9], v124 offset:16
	ds_read2_b32 v[29:30], v125 offset1:32
	ds_read_b32 v106, v126
	ds_read2_b32 v[0:1], v99 offset1:1
	s_add_i32 s0, s0, 4
	v_add_u32_e32 v126, 4, v126
	s_cmp_lt_u32 s0, 12
	s_waitcnt lgkmcnt(1)
	v_pk_mul_f16 v12, v106, v30
	s_waitcnt lgkmcnt(0)
	v_and_b32_e32 v107, 0xf0f0f0f, v0
	v_lshrrev_b32_e32 v0, 4, v0
	v_and_b32_e32 v108, 0xf0f0f0f, v0
	v_dot4_i32_i8 v0, v107, v2, 0
	v_dot4_i32_i8 v0, v108, v6, v0
	v_and_b32_e32 v109, 0xf0f0f0f, v1
	v_lshrrev_b32_e32 v1, 4, v1
	v_and_b32_e32 v110, 0xf0f0f0f, v1
	v_dot4_i32_i8 v0, v109, v3, v0
	v_dot4_i32_i8 v10, v110, v7, v0
	ds_read2_b32 v[0:1], v99 offset0:2 offset1:3
	s_waitcnt lgkmcnt(0)
	v_and_b32_e32 v53, 0xf0f0f0f, v0
	v_lshrrev_b32_e32 v0, 4, v0
	v_and_b32_e32 v105, 0xf0f0f0f, v0
	v_dot4_i32_i8 v0, v53, v4, v10
	v_dot4_i32_i8 v0, v105, v8, v0
	v_and_b32_e32 v59, 0xf0f0f0f, v1
	v_lshrrev_b32_e32 v1, 4, v1
	v_and_b32_e32 v80, 0xf0f0f0f, v1
	v_dot4_i32_i8 v0, v59, v5, v0
	v_dot4_i32_i8 v0, v80, v9, v0
	v_cvt_f32_i32_e32 v0, v0
	v_pk_mul_f16 v1, v29, v106
	v_fma_mix_f32 v0, v1, v0, v1 op_sel:[0,0,1] op_sel_hi:[1,0,1]
	v_add_f32_e32 v55, v55, v0
	v_add_u32_e32 v0, 0x1080, v99
	ds_read_b32 v91, v127
	ds_read2_b32 v[0:1], v0 offset1:1
	v_add_u32_e32 v127, 4, v127
	s_waitcnt lgkmcnt(0)
	v_and_b32_e32 v103, 0xf0f0f0f, v1
	v_lshrrev_b32_e32 v1, 4, v1
	v_and_b32_e32 v87, 0xf0f0f0f, v1
	v_add_u32_e32 v1, 0x1088, v99
	ds_read2_b32 v[10:11], v1 offset1:1
	v_and_b32_e32 v81, 0xf0f0f0f, v0
	v_lshrrev_b32_e32 v0, 4, v0
	v_and_b32_e32 v102, 0xf0f0f0f, v0
	v_dot4_i32_i8 v0, v81, v2, 0
	v_dot4_i32_i8 v0, v102, v6, v0
	;; [unrolled: 1-line block ×4, first 2 shown]
	s_waitcnt lgkmcnt(0)
	v_and_b32_e32 v89, 0xf0f0f0f, v10
	v_lshrrev_b32_e32 v1, 4, v10
	v_and_b32_e32 v1, 0xf0f0f0f, v1
	v_dot4_i32_i8 v0, v89, v4, v0
	v_dot4_i32_i8 v0, v1, v8, v0
	v_and_b32_e32 v90, 0xf0f0f0f, v11
	v_lshrrev_b32_e32 v10, 4, v11
	v_and_b32_e32 v92, 0xf0f0f0f, v10
	v_dot4_i32_i8 v0, v90, v5, v0
	v_dot4_i32_i8 v0, v92, v9, v0
	v_cvt_f32_i32_e32 v0, v0
	v_pk_mul_f16 v10, v29, v91
	v_fma_mix_f32 v0, v10, v0, v10 op_sel:[0,0,1] op_sel_hi:[1,0,1]
	v_add_f32_e32 v88, v88, v0
	v_add_u32_e32 v0, 0x2100, v99
	ds_read_b32 v93, v101
	ds_read2_b32 v[10:11], v0 offset1:1
	v_add_u32_e32 v101, 4, v101
	s_waitcnt lgkmcnt(0)
	v_and_b32_e32 v94, 0xf0f0f0f, v10
	v_lshrrev_b32_e32 v0, 4, v10
	v_lshrrev_b32_e32 v10, 4, v11
	v_and_b32_e32 v97, 0xf0f0f0f, v10
	v_add_u32_e32 v10, 0x2108, v99
	v_and_b32_e32 v96, 0xf0f0f0f, v11
	ds_read2_b32 v[10:11], v10 offset1:1
	v_and_b32_e32 v95, 0xf0f0f0f, v0
	v_dot4_i32_i8 v0, v94, v2, 0
	v_dot4_i32_i8 v0, v95, v6, v0
	v_dot4_i32_i8 v0, v96, v3, v0
	v_dot4_i32_i8 v0, v97, v7, v0
	s_waitcnt lgkmcnt(0)
	v_and_b32_e32 v98, 0xf0f0f0f, v10
	v_lshrrev_b32_e32 v10, 4, v10
	v_and_b32_e32 v115, 0xf0f0f0f, v10
	v_dot4_i32_i8 v0, v98, v4, v0
	v_dot4_i32_i8 v0, v115, v8, v0
	v_and_b32_e32 v116, 0xf0f0f0f, v11
	v_lshrrev_b32_e32 v10, 4, v11
	v_and_b32_e32 v117, 0xf0f0f0f, v10
	v_dot4_i32_i8 v0, v116, v5, v0
	v_dot4_i32_i8 v0, v117, v9, v0
	v_cvt_f32_i32_e32 v0, v0
	v_pk_mul_f16 v10, v29, v93
	v_fma_mix_f32 v0, v10, v0, v10 op_sel:[0,0,1] op_sel_hi:[1,0,1]
	v_add_f32_e32 v84, v84, v0
	v_add_u32_e32 v0, 0x3180, v99
	ds_read_b32 v26, v100
	ds_read2_b32 v[10:11], v0 offset1:1
	v_add_u32_e32 v100, 4, v100
	s_waitcnt lgkmcnt(0)
	v_and_b32_e32 v61, 0xf0f0f0f, v10
	v_lshrrev_b32_e32 v0, 4, v10
	v_and_b32_e32 v0, 0xf0f0f0f, v0
	v_dot4_i32_i8 v2, v61, v2, 0
	v_dot4_i32_i8 v2, v0, v6, v2
	v_and_b32_e32 v121, 0xf0f0f0f, v11
	v_lshrrev_b32_e32 v6, 4, v11
	v_and_b32_e32 v118, 0xf0f0f0f, v6
	v_dot4_i32_i8 v2, v121, v3, v2
	v_dot4_i32_i8 v6, v118, v7, v2
	v_add_u32_e32 v2, 0x3188, v99
	ds_read2_b32 v[2:3], v2 offset1:1
	v_add_u32_e32 v99, 16, v99
	s_waitcnt lgkmcnt(0)
	v_and_b32_e32 v10, 0xf0f0f0f, v2
	v_lshrrev_b32_e32 v2, 4, v2
	v_and_b32_e32 v104, 0xf0f0f0f, v2
	v_dot4_i32_i8 v2, v10, v4, v6
	v_dot4_i32_i8 v2, v104, v8, v2
	v_and_b32_e32 v119, 0xf0f0f0f, v3
	v_lshrrev_b32_e32 v3, 4, v3
	v_and_b32_e32 v120, 0xf0f0f0f, v3
	v_dot4_i32_i8 v2, v119, v5, v2
	v_dot4_i32_i8 v2, v120, v9, v2
	v_cvt_f32_i32_e32 v2, v2
	v_pk_mul_f16 v3, v29, v26
	v_fma_mix_f32 v2, v3, v2, v3 op_sel:[0,0,1] op_sel_hi:[1,0,1]
	v_add_f32_e32 v78, v78, v2
	ds_read_b128 v[2:5], v124 offset:1024
	ds_read_b128 v[6:9], v124 offset:1040
	s_waitcnt lgkmcnt(1)
	v_dot4_i32_i8 v11, v107, v2, 0
	s_waitcnt lgkmcnt(0)
	v_dot4_i32_i8 v11, v108, v6, v11
	v_dot4_i32_i8 v11, v109, v3, v11
	;; [unrolled: 1-line block ×7, first 2 shown]
	v_cvt_f32_i32_e32 v11, v11
	v_fma_mix_f32 v11, v11, v12, v12 op_sel:[0,0,1] op_sel_hi:[0,1,1]
	v_add_f32_e32 v70, v70, v11
	v_dot4_i32_i8 v11, v81, v2, 0
	v_dot4_i32_i8 v11, v102, v6, v11
	v_dot4_i32_i8 v11, v103, v3, v11
	v_dot4_i32_i8 v11, v87, v7, v11
	v_dot4_i32_i8 v11, v89, v4, v11
	v_dot4_i32_i8 v11, v1, v8, v11
	v_dot4_i32_i8 v11, v90, v5, v11
	v_dot4_i32_i8 v11, v92, v9, v11
	v_cvt_f32_i32_e32 v11, v11
	v_pk_mul_f16 v12, v91, v30
	v_fma_mix_f32 v11, v11, v12, v12 op_sel:[0,0,1] op_sel_hi:[0,1,1]
	v_add_f32_e32 v63, v63, v11
	v_dot4_i32_i8 v11, v94, v2, 0
	v_dot4_i32_i8 v2, v61, v2, 0
	;; [unrolled: 1-line block ×16, first 2 shown]
	v_cvt_f32_i32_e32 v11, v11
	v_cvt_f32_i32_e32 v2, v2
	v_pk_mul_f16 v12, v93, v30
	v_pk_mul_f16 v3, v26, v30
	v_fma_mix_f32 v11, v11, v12, v12 op_sel:[0,0,1] op_sel_hi:[0,1,1]
	v_fma_mix_f32 v2, v2, v3, v3 op_sel:[0,0,1] op_sel_hi:[0,1,1]
	v_add_f32_e32 v58, v58, v11
	v_add_f32_e32 v57, v57, v2
	ds_read_b128 v[4:7], v124 offset:2048
	ds_read_b128 v[11:14], v124 offset:2064
	ds_read2_b32 v[2:3], v125 offset0:64 offset1:96
	s_waitcnt lgkmcnt(2)
	v_dot4_i32_i8 v8, v107, v4, 0
	s_waitcnt lgkmcnt(1)
	v_dot4_i32_i8 v8, v108, v11, v8
	v_dot4_i32_i8 v8, v109, v5, v8
	;; [unrolled: 1-line block ×7, first 2 shown]
	v_cvt_f32_i32_e32 v8, v8
	s_waitcnt lgkmcnt(0)
	v_pk_mul_f16 v9, v106, v2
	v_fma_mix_f32 v8, v8, v9, v9 op_sel:[0,0,1] op_sel_hi:[0,1,1]
	v_add_f32_e32 v56, v56, v8
	v_dot4_i32_i8 v8, v81, v4, 0
	v_dot4_i32_i8 v8, v102, v11, v8
	;; [unrolled: 1-line block ×8, first 2 shown]
	v_cvt_f32_i32_e32 v8, v8
	v_pk_mul_f16 v9, v91, v2
	v_fma_mix_f32 v8, v8, v9, v9 op_sel:[0,0,1] op_sel_hi:[0,1,1]
	v_add_f32_e32 v54, v54, v8
	v_dot4_i32_i8 v8, v94, v4, 0
	v_dot4_i32_i8 v4, v61, v4, 0
	;; [unrolled: 1-line block ×12, first 2 shown]
	v_cvt_f32_i32_e32 v4, v4
	v_dot4_i32_i8 v8, v98, v6, v8
	v_dot4_i32_i8 v8, v115, v13, v8
	;; [unrolled: 1-line block ×3, first 2 shown]
	v_pk_mul_f16 v9, v93, v2
	v_pk_mul_f16 v2, v26, v2
	v_dot4_i32_i8 v8, v117, v14, v8
	v_fma_mix_f32 v2, v4, v2, v2 op_sel:[0,0,1] op_sel_hi:[0,1,1]
	ds_read_b128 v[4:7], v124 offset:3072
	ds_read_b128 v[11:14], v124 offset:3088
	v_add_f32_e32 v51, v51, v2
	v_cvt_f32_i32_e32 v8, v8
	s_waitcnt lgkmcnt(1)
	v_dot4_i32_i8 v2, v107, v4, 0
	s_waitcnt lgkmcnt(0)
	v_dot4_i32_i8 v2, v108, v11, v2
	v_dot4_i32_i8 v2, v109, v5, v2
	v_dot4_i32_i8 v2, v110, v12, v2
	v_dot4_i32_i8 v2, v53, v6, v2
	v_dot4_i32_i8 v2, v105, v13, v2
	v_dot4_i32_i8 v2, v59, v7, v2
	v_dot4_i32_i8 v2, v80, v14, v2
	v_cvt_f32_i32_e32 v2, v2
	v_fma_mix_f32 v8, v8, v9, v9 op_sel:[0,0,1] op_sel_hi:[0,1,1]
	v_add_f32_e32 v52, v52, v8
	v_pk_mul_f16 v8, v106, v3
	v_fma_mix_f32 v2, v2, v8, v8 op_sel:[0,0,1] op_sel_hi:[0,1,1]
	v_add_f32_e32 v50, v50, v2
	v_dot4_i32_i8 v2, v81, v4, 0
	v_dot4_i32_i8 v2, v102, v11, v2
	;; [unrolled: 1-line block ×8, first 2 shown]
	v_cvt_f32_i32_e32 v2, v2
	v_pk_mul_f16 v8, v91, v3
	v_fma_mix_f32 v2, v2, v8, v8 op_sel:[0,0,1] op_sel_hi:[0,1,1]
	v_add_f32_e32 v49, v49, v2
	v_dot4_i32_i8 v2, v94, v4, 0
	v_dot4_i32_i8 v2, v95, v11, v2
	;; [unrolled: 1-line block ×8, first 2 shown]
	v_cvt_f32_i32_e32 v2, v2
	v_pk_mul_f16 v8, v93, v3
	v_pk_mul_f16 v3, v26, v3
	v_fma_mix_f32 v2, v2, v8, v8 op_sel:[0,0,1] op_sel_hi:[0,1,1]
	v_add_f32_e32 v48, v48, v2
	v_dot4_i32_i8 v2, v61, v4, 0
	v_dot4_i32_i8 v2, v0, v11, v2
	;; [unrolled: 1-line block ×8, first 2 shown]
	v_cvt_f32_i32_e32 v2, v2
	v_fma_mix_f32 v2, v2, v3, v3 op_sel:[0,0,1] op_sel_hi:[0,1,1]
	v_add_f32_e32 v47, v47, v2
	ds_read_b128 v[2:5], v124 offset:4096
	ds_read_b128 v[6:9], v124 offset:4112
	ds_read2_b32 v[29:30], v125 offset0:128 offset1:160
	s_waitcnt lgkmcnt(2)
	v_dot4_i32_i8 v11, v107, v2, 0
	s_waitcnt lgkmcnt(1)
	v_dot4_i32_i8 v11, v108, v6, v11
	v_dot4_i32_i8 v11, v109, v3, v11
	;; [unrolled: 1-line block ×7, first 2 shown]
	v_cvt_f32_i32_e32 v11, v11
	s_waitcnt lgkmcnt(0)
	v_pk_mul_f16 v12, v106, v29
	v_fma_mix_f32 v11, v11, v12, v12 op_sel:[0,0,1] op_sel_hi:[0,1,1]
	v_add_f32_e32 v46, v46, v11
	v_dot4_i32_i8 v11, v81, v2, 0
	v_dot4_i32_i8 v11, v102, v6, v11
	;; [unrolled: 1-line block ×8, first 2 shown]
	v_cvt_f32_i32_e32 v11, v11
	v_pk_mul_f16 v12, v91, v29
	v_fma_mix_f32 v11, v11, v12, v12 op_sel:[0,0,1] op_sel_hi:[0,1,1]
	v_add_f32_e32 v45, v45, v11
	v_dot4_i32_i8 v11, v94, v2, 0
	v_dot4_i32_i8 v2, v61, v2, 0
	;; [unrolled: 1-line block ×13, first 2 shown]
	v_cvt_f32_i32_e32 v2, v2
	v_dot4_i32_i8 v11, v115, v8, v11
	v_dot4_i32_i8 v11, v116, v5, v11
	;; [unrolled: 1-line block ×3, first 2 shown]
	v_pk_mul_f16 v3, v26, v29
	v_cvt_f32_i32_e32 v11, v11
	v_fma_mix_f32 v2, v2, v3, v3 op_sel:[0,0,1] op_sel_hi:[0,1,1]
	v_add_f32_e32 v43, v43, v2
	ds_read_b128 v[2:5], v124 offset:5120
	ds_read_b128 v[6:9], v124 offset:5136
	v_pk_mul_f16 v12, v93, v29
	v_fma_mix_f32 v11, v11, v12, v12 op_sel:[0,0,1] op_sel_hi:[0,1,1]
	v_add_f32_e32 v44, v44, v11
	s_waitcnt lgkmcnt(1)
	v_dot4_i32_i8 v11, v107, v2, 0
	s_waitcnt lgkmcnt(0)
	v_dot4_i32_i8 v11, v108, v6, v11
	v_dot4_i32_i8 v11, v109, v3, v11
	;; [unrolled: 1-line block ×7, first 2 shown]
	v_cvt_f32_i32_e32 v11, v11
	v_pk_mul_f16 v12, v106, v30
	v_fma_mix_f32 v11, v11, v12, v12 op_sel:[0,0,1] op_sel_hi:[0,1,1]
	v_add_f32_e32 v42, v42, v11
	v_dot4_i32_i8 v11, v81, v2, 0
	v_dot4_i32_i8 v11, v102, v6, v11
	;; [unrolled: 1-line block ×8, first 2 shown]
	v_cvt_f32_i32_e32 v11, v11
	v_pk_mul_f16 v12, v91, v30
	v_fma_mix_f32 v11, v11, v12, v12 op_sel:[0,0,1] op_sel_hi:[0,1,1]
	v_add_f32_e32 v41, v41, v11
	v_dot4_i32_i8 v11, v94, v2, 0
	v_dot4_i32_i8 v2, v61, v2, 0
	;; [unrolled: 1-line block ×16, first 2 shown]
	v_cvt_f32_i32_e32 v11, v11
	v_cvt_f32_i32_e32 v2, v2
	v_pk_mul_f16 v12, v93, v30
	v_pk_mul_f16 v3, v26, v30
	v_fma_mix_f32 v11, v11, v12, v12 op_sel:[0,0,1] op_sel_hi:[0,1,1]
	v_fma_mix_f32 v2, v2, v3, v3 op_sel:[0,0,1] op_sel_hi:[0,1,1]
	v_add_f32_e32 v40, v40, v11
	v_add_f32_e32 v39, v39, v2
	ds_read_b128 v[4:7], v124 offset:6144
	ds_read_b128 v[11:14], v124 offset:6160
	ds_read2_b32 v[2:3], v125 offset0:192 offset1:224
	v_add_u32_e32 v125, 4, v125
	s_waitcnt lgkmcnt(2)
	v_dot4_i32_i8 v8, v107, v4, 0
	s_waitcnt lgkmcnt(1)
	v_dot4_i32_i8 v8, v108, v11, v8
	v_dot4_i32_i8 v8, v109, v5, v8
	;; [unrolled: 1-line block ×7, first 2 shown]
	v_cvt_f32_i32_e32 v8, v8
	s_waitcnt lgkmcnt(0)
	v_pk_mul_f16 v9, v106, v2
	v_fma_mix_f32 v8, v8, v9, v9 op_sel:[0,0,1] op_sel_hi:[0,1,1]
	v_add_f32_e32 v38, v38, v8
	v_dot4_i32_i8 v8, v81, v4, 0
	v_dot4_i32_i8 v8, v102, v11, v8
	;; [unrolled: 1-line block ×8, first 2 shown]
	v_cvt_f32_i32_e32 v8, v8
	v_pk_mul_f16 v9, v91, v2
	v_fma_mix_f32 v8, v8, v9, v9 op_sel:[0,0,1] op_sel_hi:[0,1,1]
	v_add_f32_e32 v37, v37, v8
	v_dot4_i32_i8 v8, v94, v4, 0
	v_dot4_i32_i8 v4, v61, v4, 0
	;; [unrolled: 1-line block ×12, first 2 shown]
	v_cvt_f32_i32_e32 v4, v4
	v_dot4_i32_i8 v8, v98, v6, v8
	v_dot4_i32_i8 v8, v115, v13, v8
	;; [unrolled: 1-line block ×3, first 2 shown]
	v_pk_mul_f16 v9, v93, v2
	v_pk_mul_f16 v2, v26, v2
	v_dot4_i32_i8 v8, v117, v14, v8
	v_fma_mix_f32 v2, v4, v2, v2 op_sel:[0,0,1] op_sel_hi:[0,1,1]
	ds_read_b128 v[4:7], v124 offset:7168
	ds_read_b128 v[11:14], v124 offset:7184
	v_add_f32_e32 v35, v35, v2
	v_cvt_f32_i32_e32 v8, v8
	v_add_u32_e32 v124, 32, v124
	s_waitcnt lgkmcnt(1)
	v_dot4_i32_i8 v2, v107, v4, 0
	s_waitcnt lgkmcnt(0)
	v_dot4_i32_i8 v2, v108, v11, v2
	v_dot4_i32_i8 v2, v109, v5, v2
	;; [unrolled: 1-line block ×7, first 2 shown]
	v_cvt_f32_i32_e32 v2, v2
	v_fma_mix_f32 v8, v8, v9, v9 op_sel:[0,0,1] op_sel_hi:[0,1,1]
	v_add_f32_e32 v36, v36, v8
	v_pk_mul_f16 v8, v106, v3
	v_fma_mix_f32 v2, v2, v8, v8 op_sel:[0,0,1] op_sel_hi:[0,1,1]
	v_add_f32_e32 v34, v34, v2
	v_dot4_i32_i8 v2, v81, v4, 0
	v_dot4_i32_i8 v2, v102, v11, v2
	v_dot4_i32_i8 v2, v103, v5, v2
	v_dot4_i32_i8 v2, v87, v12, v2
	v_dot4_i32_i8 v2, v89, v6, v2
	v_dot4_i32_i8 v1, v1, v13, v2
	v_dot4_i32_i8 v1, v90, v7, v1
	v_dot4_i32_i8 v1, v92, v14, v1
	v_cvt_f32_i32_e32 v1, v1
	v_pk_mul_f16 v2, v91, v3
	v_fma_mix_f32 v1, v1, v2, v2 op_sel:[0,0,1] op_sel_hi:[0,1,1]
	v_add_f32_e32 v33, v33, v1
	v_dot4_i32_i8 v1, v94, v4, 0
	v_dot4_i32_i8 v1, v95, v11, v1
	v_dot4_i32_i8 v1, v96, v5, v1
	v_dot4_i32_i8 v1, v97, v12, v1
	v_dot4_i32_i8 v1, v98, v6, v1
	v_dot4_i32_i8 v1, v115, v13, v1
	v_dot4_i32_i8 v1, v116, v7, v1
	v_dot4_i32_i8 v1, v117, v14, v1
	v_cvt_f32_i32_e32 v1, v1
	;; [unrolled: 12-line block ×3, first 2 shown]
	v_pk_mul_f16 v1, v26, v3
	v_fma_mix_f32 v0, v0, v1, v1 op_sel:[0,0,1] op_sel_hi:[0,1,1]
	v_add_f32_e32 v31, v31, v0
	s_cbranch_scc1 .LBB160_9
; %bb.10:                               ;   in Loop: Header=BB160_7 Depth=1
	s_and_b32 s0, s8, -4
	s_cmp_eq_u32 s0, 4
	s_barrier
	s_cbranch_scc1 .LBB160_5
; %bb.11:                               ;   in Loop: Header=BB160_7 Depth=1
	buffer_load_dword v0, off, s[20:23], 0 offset:148 ; 4-byte Folded Reload
	s_waitcnt vmcnt(0)
	v_add_u32_e32 v2, s9, v0
	buffer_load_dword v0, off, s[20:23], 0 offset:4 ; 4-byte Folded Reload
	s_waitcnt vmcnt(0)
	v_add_u32_e32 v0, v2, v0
	v_mad_i64_i32 v[0:1], s[0:1], v0, 36, v[27:28]
	global_load_dword v0, v[0:1], off offset:4
	s_waitcnt vmcnt(0)
	ds_write_b32 v123, v0
	buffer_load_dword v0, off, s[20:23], 0 offset:8 ; 4-byte Folded Reload
	s_waitcnt vmcnt(0)
	v_add_u32_e32 v0, v2, v0
	v_mad_i64_i32 v[0:1], s[0:1], v0, 36, v[27:28]
	global_load_dword v0, v[0:1], off offset:4
	s_nop 0
	buffer_load_dword v1, off, s[20:23], 0 offset:44 ; 4-byte Folded Reload
	s_waitcnt vmcnt(0)
	ds_write_b32 v1, v0
	buffer_load_dword v0, off, s[20:23], 0 offset:12 ; 4-byte Folded Reload
	s_waitcnt vmcnt(0)
	v_add_u32_e32 v0, v2, v0
	v_mad_i64_i32 v[0:1], s[0:1], v0, 36, v[27:28]
	global_load_dword v0, v[0:1], off offset:4
	s_nop 0
	buffer_load_dword v1, off, s[20:23], 0 offset:48 ; 4-byte Folded Reload
	;; [unrolled: 9-line block ×7, first 2 shown]
	s_waitcnt vmcnt(0)
	ds_write_b32 v1, v0
	v_add_u32_e32 v0, 4, v122
	v_mad_u64_u32 v[0:1], s[0:1], v0, 36, s[2:3]
	s_mov_b32 s0, 12
	global_load_dword v0, v[0:1], off
	s_nop 0
	buffer_load_dword v1, off, s[20:23], 0  ; 4-byte Folded Reload
	s_waitcnt vmcnt(0)
	ds_write_b32 v1, v0
	s_waitcnt lgkmcnt(0)
	s_barrier
	buffer_load_dword v122, off, s[20:23], 0 offset:36 ; 4-byte Folded Reload
	buffer_load_dword v123, off, s[20:23], 0 offset:40 ; 4-byte Folded Reload
	;; [unrolled: 1-line block ×7, first 2 shown]
.LBB160_12:                             ;   Parent Loop BB160_7 Depth=1
                                        ; =>  This Inner Loop Header: Depth=2
	s_waitcnt vmcnt(5)
	ds_read_b128 v[2:5], v123
	ds_read_b128 v[6:9], v123 offset:16
	ds_read2_b32 v[29:30], v122 offset1:32
	s_waitcnt vmcnt(4)
	ds_read_b32 v106, v124
	s_waitcnt vmcnt(0)
	ds_read2_b32 v[0:1], v99 offset1:1
	s_add_i32 s0, s0, 4
	v_add_u32_e32 v124, 4, v124
	s_cmp_lt_u32 s0, 28
	s_waitcnt lgkmcnt(1)
	v_pk_mul_f16 v12, v106, v30
	s_waitcnt lgkmcnt(0)
	v_and_b32_e32 v107, 0xf0f0f0f, v0
	v_lshrrev_b32_e32 v0, 4, v0
	v_and_b32_e32 v108, 0xf0f0f0f, v0
	v_dot4_i32_i8 v0, v107, v2, 0
	v_dot4_i32_i8 v0, v108, v6, v0
	v_and_b32_e32 v109, 0xf0f0f0f, v1
	v_lshrrev_b32_e32 v1, 4, v1
	v_and_b32_e32 v110, 0xf0f0f0f, v1
	v_dot4_i32_i8 v0, v109, v3, v0
	v_dot4_i32_i8 v10, v110, v7, v0
	ds_read2_b32 v[0:1], v99 offset0:2 offset1:3
	s_waitcnt lgkmcnt(0)
	v_and_b32_e32 v53, 0xf0f0f0f, v0
	v_lshrrev_b32_e32 v0, 4, v0
	v_and_b32_e32 v105, 0xf0f0f0f, v0
	v_dot4_i32_i8 v0, v53, v4, v10
	v_dot4_i32_i8 v0, v105, v8, v0
	v_and_b32_e32 v59, 0xf0f0f0f, v1
	v_lshrrev_b32_e32 v1, 4, v1
	v_and_b32_e32 v26, 0xf0f0f0f, v1
	v_dot4_i32_i8 v0, v59, v5, v0
	v_dot4_i32_i8 v0, v26, v9, v0
	v_cvt_f32_i32_e32 v0, v0
	v_pk_mul_f16 v1, v29, v106
	v_fma_mix_f32 v0, v1, v0, v1 op_sel:[0,0,1] op_sel_hi:[1,0,1]
	v_add_f32_e32 v55, v55, v0
	v_add_u32_e32 v0, 0x1080, v99
	ds_read_b32 v91, v101
	ds_read2_b32 v[0:1], v0 offset1:1
	v_add_u32_e32 v101, 4, v101
	s_waitcnt lgkmcnt(0)
	v_and_b32_e32 v103, 0xf0f0f0f, v1
	v_lshrrev_b32_e32 v1, 4, v1
	v_and_b32_e32 v87, 0xf0f0f0f, v1
	v_add_u32_e32 v1, 0x1088, v99
	ds_read2_b32 v[10:11], v1 offset1:1
	v_and_b32_e32 v81, 0xf0f0f0f, v0
	v_lshrrev_b32_e32 v0, 4, v0
	v_and_b32_e32 v102, 0xf0f0f0f, v0
	v_dot4_i32_i8 v0, v81, v2, 0
	v_dot4_i32_i8 v0, v102, v6, v0
	;; [unrolled: 1-line block ×4, first 2 shown]
	s_waitcnt lgkmcnt(0)
	v_and_b32_e32 v89, 0xf0f0f0f, v10
	v_lshrrev_b32_e32 v1, 4, v10
	v_and_b32_e32 v1, 0xf0f0f0f, v1
	v_dot4_i32_i8 v0, v89, v4, v0
	v_dot4_i32_i8 v0, v1, v8, v0
	v_and_b32_e32 v90, 0xf0f0f0f, v11
	v_lshrrev_b32_e32 v10, 4, v11
	v_and_b32_e32 v92, 0xf0f0f0f, v10
	v_dot4_i32_i8 v0, v90, v5, v0
	v_dot4_i32_i8 v0, v92, v9, v0
	v_cvt_f32_i32_e32 v0, v0
	v_pk_mul_f16 v10, v29, v91
	v_fma_mix_f32 v0, v10, v0, v10 op_sel:[0,0,1] op_sel_hi:[1,0,1]
	v_add_f32_e32 v88, v88, v0
	v_add_u32_e32 v0, 0x2100, v99
	ds_read_b32 v93, v100
	ds_read2_b32 v[10:11], v0 offset1:1
	v_add_u32_e32 v100, 4, v100
	s_waitcnt lgkmcnt(0)
	v_and_b32_e32 v94, 0xf0f0f0f, v10
	v_lshrrev_b32_e32 v0, 4, v10
	v_lshrrev_b32_e32 v10, 4, v11
	v_and_b32_e32 v97, 0xf0f0f0f, v10
	v_add_u32_e32 v10, 0x2108, v99
	v_and_b32_e32 v96, 0xf0f0f0f, v11
	ds_read2_b32 v[10:11], v10 offset1:1
	v_and_b32_e32 v95, 0xf0f0f0f, v0
	v_dot4_i32_i8 v0, v94, v2, 0
	v_dot4_i32_i8 v0, v95, v6, v0
	;; [unrolled: 1-line block ×4, first 2 shown]
	s_waitcnt lgkmcnt(0)
	v_and_b32_e32 v98, 0xf0f0f0f, v10
	v_lshrrev_b32_e32 v10, 4, v10
	v_and_b32_e32 v115, 0xf0f0f0f, v10
	v_dot4_i32_i8 v0, v98, v4, v0
	v_dot4_i32_i8 v0, v115, v8, v0
	v_and_b32_e32 v116, 0xf0f0f0f, v11
	v_lshrrev_b32_e32 v10, 4, v11
	v_and_b32_e32 v117, 0xf0f0f0f, v10
	v_dot4_i32_i8 v0, v116, v5, v0
	v_dot4_i32_i8 v0, v117, v9, v0
	v_cvt_f32_i32_e32 v0, v0
	v_pk_mul_f16 v10, v29, v93
	v_fma_mix_f32 v0, v10, v0, v10 op_sel:[0,0,1] op_sel_hi:[1,0,1]
	v_add_f32_e32 v84, v84, v0
	v_add_u32_e32 v0, 0x3180, v99
	ds_read_b32 v80, v125
	ds_read2_b32 v[10:11], v0 offset1:1
	v_add_u32_e32 v125, 4, v125
	s_waitcnt lgkmcnt(0)
	v_and_b32_e32 v61, 0xf0f0f0f, v10
	v_lshrrev_b32_e32 v0, 4, v10
	v_and_b32_e32 v0, 0xf0f0f0f, v0
	v_dot4_i32_i8 v2, v61, v2, 0
	v_dot4_i32_i8 v2, v0, v6, v2
	v_and_b32_e32 v121, 0xf0f0f0f, v11
	v_lshrrev_b32_e32 v6, 4, v11
	v_and_b32_e32 v118, 0xf0f0f0f, v6
	v_dot4_i32_i8 v2, v121, v3, v2
	v_dot4_i32_i8 v6, v118, v7, v2
	v_add_u32_e32 v2, 0x3188, v99
	ds_read2_b32 v[2:3], v2 offset1:1
	v_add_u32_e32 v99, 16, v99
	s_waitcnt lgkmcnt(0)
	v_and_b32_e32 v10, 0xf0f0f0f, v2
	v_lshrrev_b32_e32 v2, 4, v2
	v_and_b32_e32 v104, 0xf0f0f0f, v2
	v_dot4_i32_i8 v2, v10, v4, v6
	v_dot4_i32_i8 v2, v104, v8, v2
	v_and_b32_e32 v119, 0xf0f0f0f, v3
	v_lshrrev_b32_e32 v3, 4, v3
	v_and_b32_e32 v120, 0xf0f0f0f, v3
	v_dot4_i32_i8 v2, v119, v5, v2
	v_dot4_i32_i8 v2, v120, v9, v2
	v_cvt_f32_i32_e32 v2, v2
	v_pk_mul_f16 v3, v29, v80
	v_fma_mix_f32 v2, v3, v2, v3 op_sel:[0,0,1] op_sel_hi:[1,0,1]
	v_add_f32_e32 v78, v78, v2
	ds_read_b128 v[2:5], v123 offset:1024
	ds_read_b128 v[6:9], v123 offset:1040
	s_waitcnt lgkmcnt(1)
	v_dot4_i32_i8 v11, v107, v2, 0
	s_waitcnt lgkmcnt(0)
	v_dot4_i32_i8 v11, v108, v6, v11
	v_dot4_i32_i8 v11, v109, v3, v11
	;; [unrolled: 1-line block ×7, first 2 shown]
	v_cvt_f32_i32_e32 v11, v11
	v_fma_mix_f32 v11, v11, v12, v12 op_sel:[0,0,1] op_sel_hi:[0,1,1]
	v_add_f32_e32 v70, v70, v11
	v_dot4_i32_i8 v11, v81, v2, 0
	v_dot4_i32_i8 v11, v102, v6, v11
	;; [unrolled: 1-line block ×8, first 2 shown]
	v_cvt_f32_i32_e32 v11, v11
	v_pk_mul_f16 v12, v91, v30
	v_fma_mix_f32 v11, v11, v12, v12 op_sel:[0,0,1] op_sel_hi:[0,1,1]
	v_add_f32_e32 v63, v63, v11
	v_dot4_i32_i8 v11, v94, v2, 0
	v_dot4_i32_i8 v2, v61, v2, 0
	;; [unrolled: 1-line block ×16, first 2 shown]
	v_cvt_f32_i32_e32 v11, v11
	v_cvt_f32_i32_e32 v2, v2
	v_pk_mul_f16 v12, v93, v30
	v_pk_mul_f16 v3, v80, v30
	v_fma_mix_f32 v11, v11, v12, v12 op_sel:[0,0,1] op_sel_hi:[0,1,1]
	v_fma_mix_f32 v2, v2, v3, v3 op_sel:[0,0,1] op_sel_hi:[0,1,1]
	v_add_f32_e32 v58, v58, v11
	v_add_f32_e32 v57, v57, v2
	ds_read_b128 v[4:7], v123 offset:2048
	ds_read_b128 v[11:14], v123 offset:2064
	ds_read2_b32 v[2:3], v122 offset0:64 offset1:96
	s_waitcnt lgkmcnt(2)
	v_dot4_i32_i8 v8, v107, v4, 0
	s_waitcnt lgkmcnt(1)
	v_dot4_i32_i8 v8, v108, v11, v8
	v_dot4_i32_i8 v8, v109, v5, v8
	;; [unrolled: 1-line block ×7, first 2 shown]
	v_cvt_f32_i32_e32 v8, v8
	s_waitcnt lgkmcnt(0)
	v_pk_mul_f16 v9, v106, v2
	v_fma_mix_f32 v8, v8, v9, v9 op_sel:[0,0,1] op_sel_hi:[0,1,1]
	v_add_f32_e32 v56, v56, v8
	v_dot4_i32_i8 v8, v81, v4, 0
	v_dot4_i32_i8 v8, v102, v11, v8
	;; [unrolled: 1-line block ×8, first 2 shown]
	v_cvt_f32_i32_e32 v8, v8
	v_pk_mul_f16 v9, v91, v2
	v_fma_mix_f32 v8, v8, v9, v9 op_sel:[0,0,1] op_sel_hi:[0,1,1]
	v_add_f32_e32 v54, v54, v8
	v_dot4_i32_i8 v8, v94, v4, 0
	v_dot4_i32_i8 v4, v61, v4, 0
	;; [unrolled: 1-line block ×12, first 2 shown]
	v_cvt_f32_i32_e32 v4, v4
	v_dot4_i32_i8 v8, v98, v6, v8
	v_dot4_i32_i8 v8, v115, v13, v8
	;; [unrolled: 1-line block ×3, first 2 shown]
	v_pk_mul_f16 v9, v93, v2
	v_pk_mul_f16 v2, v80, v2
	v_dot4_i32_i8 v8, v117, v14, v8
	v_fma_mix_f32 v2, v4, v2, v2 op_sel:[0,0,1] op_sel_hi:[0,1,1]
	ds_read_b128 v[4:7], v123 offset:3072
	ds_read_b128 v[11:14], v123 offset:3088
	v_add_f32_e32 v51, v51, v2
	v_cvt_f32_i32_e32 v8, v8
	s_waitcnt lgkmcnt(1)
	v_dot4_i32_i8 v2, v107, v4, 0
	s_waitcnt lgkmcnt(0)
	v_dot4_i32_i8 v2, v108, v11, v2
	v_dot4_i32_i8 v2, v109, v5, v2
	;; [unrolled: 1-line block ×7, first 2 shown]
	v_cvt_f32_i32_e32 v2, v2
	v_fma_mix_f32 v8, v8, v9, v9 op_sel:[0,0,1] op_sel_hi:[0,1,1]
	v_add_f32_e32 v52, v52, v8
	v_pk_mul_f16 v8, v106, v3
	v_fma_mix_f32 v2, v2, v8, v8 op_sel:[0,0,1] op_sel_hi:[0,1,1]
	v_add_f32_e32 v50, v50, v2
	v_dot4_i32_i8 v2, v81, v4, 0
	v_dot4_i32_i8 v2, v102, v11, v2
	;; [unrolled: 1-line block ×8, first 2 shown]
	v_cvt_f32_i32_e32 v2, v2
	v_pk_mul_f16 v8, v91, v3
	v_fma_mix_f32 v2, v2, v8, v8 op_sel:[0,0,1] op_sel_hi:[0,1,1]
	v_add_f32_e32 v49, v49, v2
	v_dot4_i32_i8 v2, v94, v4, 0
	v_dot4_i32_i8 v2, v95, v11, v2
	;; [unrolled: 1-line block ×8, first 2 shown]
	v_cvt_f32_i32_e32 v2, v2
	v_pk_mul_f16 v8, v93, v3
	v_pk_mul_f16 v3, v80, v3
	v_fma_mix_f32 v2, v2, v8, v8 op_sel:[0,0,1] op_sel_hi:[0,1,1]
	v_add_f32_e32 v48, v48, v2
	v_dot4_i32_i8 v2, v61, v4, 0
	v_dot4_i32_i8 v2, v0, v11, v2
	v_dot4_i32_i8 v2, v121, v5, v2
	v_dot4_i32_i8 v2, v118, v12, v2
	v_dot4_i32_i8 v2, v10, v6, v2
	v_dot4_i32_i8 v2, v104, v13, v2
	v_dot4_i32_i8 v2, v119, v7, v2
	v_dot4_i32_i8 v2, v120, v14, v2
	v_cvt_f32_i32_e32 v2, v2
	v_fma_mix_f32 v2, v2, v3, v3 op_sel:[0,0,1] op_sel_hi:[0,1,1]
	v_add_f32_e32 v47, v47, v2
	ds_read_b128 v[2:5], v123 offset:4096
	ds_read_b128 v[6:9], v123 offset:4112
	ds_read2_b32 v[29:30], v122 offset0:128 offset1:160
	s_waitcnt lgkmcnt(2)
	v_dot4_i32_i8 v11, v107, v2, 0
	s_waitcnt lgkmcnt(1)
	v_dot4_i32_i8 v11, v108, v6, v11
	v_dot4_i32_i8 v11, v109, v3, v11
	;; [unrolled: 1-line block ×7, first 2 shown]
	v_cvt_f32_i32_e32 v11, v11
	s_waitcnt lgkmcnt(0)
	v_pk_mul_f16 v12, v106, v29
	v_fma_mix_f32 v11, v11, v12, v12 op_sel:[0,0,1] op_sel_hi:[0,1,1]
	v_add_f32_e32 v46, v46, v11
	v_dot4_i32_i8 v11, v81, v2, 0
	v_dot4_i32_i8 v11, v102, v6, v11
	;; [unrolled: 1-line block ×8, first 2 shown]
	v_cvt_f32_i32_e32 v11, v11
	v_pk_mul_f16 v12, v91, v29
	v_fma_mix_f32 v11, v11, v12, v12 op_sel:[0,0,1] op_sel_hi:[0,1,1]
	v_add_f32_e32 v45, v45, v11
	v_dot4_i32_i8 v11, v94, v2, 0
	v_dot4_i32_i8 v2, v61, v2, 0
	;; [unrolled: 1-line block ×13, first 2 shown]
	v_cvt_f32_i32_e32 v2, v2
	v_dot4_i32_i8 v11, v115, v8, v11
	v_dot4_i32_i8 v11, v116, v5, v11
	;; [unrolled: 1-line block ×3, first 2 shown]
	v_pk_mul_f16 v3, v80, v29
	v_cvt_f32_i32_e32 v11, v11
	v_fma_mix_f32 v2, v2, v3, v3 op_sel:[0,0,1] op_sel_hi:[0,1,1]
	v_add_f32_e32 v43, v43, v2
	ds_read_b128 v[2:5], v123 offset:5120
	ds_read_b128 v[6:9], v123 offset:5136
	v_pk_mul_f16 v12, v93, v29
	v_fma_mix_f32 v11, v11, v12, v12 op_sel:[0,0,1] op_sel_hi:[0,1,1]
	v_add_f32_e32 v44, v44, v11
	s_waitcnt lgkmcnt(1)
	v_dot4_i32_i8 v11, v107, v2, 0
	s_waitcnt lgkmcnt(0)
	v_dot4_i32_i8 v11, v108, v6, v11
	v_dot4_i32_i8 v11, v109, v3, v11
	;; [unrolled: 1-line block ×7, first 2 shown]
	v_cvt_f32_i32_e32 v11, v11
	v_pk_mul_f16 v12, v106, v30
	v_fma_mix_f32 v11, v11, v12, v12 op_sel:[0,0,1] op_sel_hi:[0,1,1]
	v_add_f32_e32 v42, v42, v11
	v_dot4_i32_i8 v11, v81, v2, 0
	v_dot4_i32_i8 v11, v102, v6, v11
	;; [unrolled: 1-line block ×8, first 2 shown]
	v_cvt_f32_i32_e32 v11, v11
	v_pk_mul_f16 v12, v91, v30
	v_fma_mix_f32 v11, v11, v12, v12 op_sel:[0,0,1] op_sel_hi:[0,1,1]
	v_add_f32_e32 v41, v41, v11
	v_dot4_i32_i8 v11, v94, v2, 0
	v_dot4_i32_i8 v2, v61, v2, 0
	;; [unrolled: 1-line block ×16, first 2 shown]
	v_cvt_f32_i32_e32 v11, v11
	v_cvt_f32_i32_e32 v2, v2
	v_pk_mul_f16 v12, v93, v30
	v_pk_mul_f16 v3, v80, v30
	v_fma_mix_f32 v11, v11, v12, v12 op_sel:[0,0,1] op_sel_hi:[0,1,1]
	v_fma_mix_f32 v2, v2, v3, v3 op_sel:[0,0,1] op_sel_hi:[0,1,1]
	v_add_f32_e32 v40, v40, v11
	v_add_f32_e32 v39, v39, v2
	ds_read_b128 v[4:7], v123 offset:6144
	ds_read_b128 v[11:14], v123 offset:6160
	ds_read2_b32 v[2:3], v122 offset0:192 offset1:224
	v_add_u32_e32 v122, 4, v122
	s_waitcnt lgkmcnt(2)
	v_dot4_i32_i8 v8, v107, v4, 0
	s_waitcnt lgkmcnt(1)
	v_dot4_i32_i8 v8, v108, v11, v8
	v_dot4_i32_i8 v8, v109, v5, v8
	;; [unrolled: 1-line block ×7, first 2 shown]
	v_cvt_f32_i32_e32 v8, v8
	s_waitcnt lgkmcnt(0)
	v_pk_mul_f16 v9, v106, v2
	v_fma_mix_f32 v8, v8, v9, v9 op_sel:[0,0,1] op_sel_hi:[0,1,1]
	v_add_f32_e32 v38, v38, v8
	v_dot4_i32_i8 v8, v81, v4, 0
	v_dot4_i32_i8 v8, v102, v11, v8
	;; [unrolled: 1-line block ×8, first 2 shown]
	v_cvt_f32_i32_e32 v8, v8
	v_pk_mul_f16 v9, v91, v2
	v_fma_mix_f32 v8, v8, v9, v9 op_sel:[0,0,1] op_sel_hi:[0,1,1]
	v_add_f32_e32 v37, v37, v8
	v_dot4_i32_i8 v8, v94, v4, 0
	v_dot4_i32_i8 v4, v61, v4, 0
	;; [unrolled: 1-line block ×12, first 2 shown]
	v_cvt_f32_i32_e32 v4, v4
	v_dot4_i32_i8 v8, v98, v6, v8
	v_dot4_i32_i8 v8, v115, v13, v8
	;; [unrolled: 1-line block ×3, first 2 shown]
	v_pk_mul_f16 v9, v93, v2
	v_pk_mul_f16 v2, v80, v2
	v_dot4_i32_i8 v8, v117, v14, v8
	v_fma_mix_f32 v2, v4, v2, v2 op_sel:[0,0,1] op_sel_hi:[0,1,1]
	ds_read_b128 v[4:7], v123 offset:7168
	ds_read_b128 v[11:14], v123 offset:7184
	v_add_f32_e32 v35, v35, v2
	v_cvt_f32_i32_e32 v8, v8
	v_add_u32_e32 v123, 32, v123
	s_waitcnt lgkmcnt(1)
	v_dot4_i32_i8 v2, v107, v4, 0
	s_waitcnt lgkmcnt(0)
	v_dot4_i32_i8 v2, v108, v11, v2
	v_dot4_i32_i8 v2, v109, v5, v2
	;; [unrolled: 1-line block ×7, first 2 shown]
	v_cvt_f32_i32_e32 v2, v2
	v_fma_mix_f32 v8, v8, v9, v9 op_sel:[0,0,1] op_sel_hi:[0,1,1]
	v_add_f32_e32 v36, v36, v8
	v_pk_mul_f16 v8, v106, v3
	v_fma_mix_f32 v2, v2, v8, v8 op_sel:[0,0,1] op_sel_hi:[0,1,1]
	v_add_f32_e32 v34, v34, v2
	v_dot4_i32_i8 v2, v81, v4, 0
	v_dot4_i32_i8 v2, v102, v11, v2
	v_dot4_i32_i8 v2, v103, v5, v2
	v_dot4_i32_i8 v2, v87, v12, v2
	v_dot4_i32_i8 v2, v89, v6, v2
	v_dot4_i32_i8 v1, v1, v13, v2
	v_dot4_i32_i8 v1, v90, v7, v1
	v_dot4_i32_i8 v1, v92, v14, v1
	v_cvt_f32_i32_e32 v1, v1
	v_pk_mul_f16 v2, v91, v3
	v_fma_mix_f32 v1, v1, v2, v2 op_sel:[0,0,1] op_sel_hi:[0,1,1]
	v_add_f32_e32 v33, v33, v1
	v_dot4_i32_i8 v1, v94, v4, 0
	v_dot4_i32_i8 v1, v95, v11, v1
	v_dot4_i32_i8 v1, v96, v5, v1
	v_dot4_i32_i8 v1, v97, v12, v1
	v_dot4_i32_i8 v1, v98, v6, v1
	v_dot4_i32_i8 v1, v115, v13, v1
	v_dot4_i32_i8 v1, v116, v7, v1
	v_dot4_i32_i8 v1, v117, v14, v1
	v_cvt_f32_i32_e32 v1, v1
	;; [unrolled: 12-line block ×3, first 2 shown]
	v_pk_mul_f16 v1, v80, v3
	v_fma_mix_f32 v0, v0, v1, v1 op_sel:[0,0,1] op_sel_hi:[0,1,1]
	v_add_f32_e32 v31, v31, v0
	s_cbranch_scc1 .LBB160_12
; %bb.13:                               ;   in Loop: Header=BB160_7 Depth=1
	s_barrier
	s_branch .LBB160_5
.LBB160_14:
	buffer_load_dword v0, off, s[20:23], 0 offset:176 ; 4-byte Folded Reload
.LBB160_15:
	s_waitcnt vmcnt(0)
	v_cmp_gt_u32_e32 vcc, s10, v0
	s_and_saveexec_b64 s[0:1], vcc
	s_cbranch_execz .LBB160_66
; %bb.16:
	v_mul_lo_u32 v4, v0, s14
	buffer_load_dword v0, off, s[20:23], 0 offset:72 ; 4-byte Folded Reload
	s_waitcnt vmcnt(0)
	v_add_u32_e32 v0, s6, v0
	v_cmp_gt_u32_e64 s[0:1], s14, v0
	s_and_saveexec_b64 s[2:3], s[0:1]
	s_cbranch_execz .LBB160_18
; %bb.17:
	v_bfe_u32 v1, v55, 16, 1
	s_movk_i32 s4, 0x7fff
	v_add3_u32 v1, v55, v1, s4
	v_cmp_o_f32_e32 vcc, v55, v55
	v_mov_b32_e32 v2, 0x7fc0
	v_cndmask_b32_sdwa v3, v2, v1, vcc dst_sel:DWORD dst_unused:UNUSED_PAD src0_sel:DWORD src1_sel:WORD_1
	v_add_u32_e32 v1, v0, v4
	v_mov_b32_e32 v2, 0
	v_lshlrev_b64 v[1:2], 1, v[1:2]
	s_waitcnt lgkmcnt(0)
	v_mov_b32_e32 v5, s13
	v_add_co_u32_e32 v1, vcc, s12, v1
	v_addc_co_u32_e32 v2, vcc, v5, v2, vcc
	global_store_short v[1:2], v3, off
.LBB160_18:
	s_or_b64 exec, exec, s[2:3]
	v_add_u32_e32 v1, 32, v0
	v_cmp_gt_u32_e64 s[2:3], s14, v1
	s_and_saveexec_b64 s[4:5], s[2:3]
	s_cbranch_execz .LBB160_20
; %bb.19:
	v_bfe_u32 v2, v88, 16, 1
	s_movk_i32 s6, 0x7fff
	v_add3_u32 v2, v88, v2, s6
	v_cmp_o_f32_e32 vcc, v88, v88
	v_mov_b32_e32 v3, 0x7fc0
	v_cndmask_b32_sdwa v5, v3, v2, vcc dst_sel:DWORD dst_unused:UNUSED_PAD src0_sel:DWORD src1_sel:WORD_1
	v_add_u32_e32 v2, v1, v4
	v_mov_b32_e32 v3, 0
	v_lshlrev_b64 v[2:3], 1, v[2:3]
	s_waitcnt lgkmcnt(0)
	v_mov_b32_e32 v6, s13
	v_add_co_u32_e32 v2, vcc, s12, v2
	v_addc_co_u32_e32 v3, vcc, v6, v3, vcc
	global_store_short v[2:3], v5, off
.LBB160_20:
	s_or_b64 exec, exec, s[4:5]
	;; [unrolled: 21-line block ×4, first 2 shown]
	buffer_load_dword v4, off, s[20:23], 0 offset:172 ; 4-byte Folded Reload
	s_waitcnt vmcnt(0)
	v_add3_u32 v4, v4, s15, 8
	v_cmp_gt_u32_e32 vcc, s10, v4
	s_and_b64 exec, exec, vcc
	s_cbranch_execz .LBB160_66
; %bb.25:
	v_mul_lo_u32 v4, v4, s14
	s_and_saveexec_b64 s[8:9], s[0:1]
	s_cbranch_execnz .LBB160_67
; %bb.26:
	s_or_b64 exec, exec, s[8:9]
	s_and_saveexec_b64 s[8:9], s[2:3]
	s_cbranch_execnz .LBB160_68
.LBB160_27:
	s_or_b64 exec, exec, s[8:9]
	s_and_saveexec_b64 s[8:9], s[4:5]
	s_cbranch_execnz .LBB160_69
.LBB160_28:
	s_or_b64 exec, exec, s[8:9]
	s_and_saveexec_b64 s[8:9], s[6:7]
	s_cbranch_execz .LBB160_30
.LBB160_29:
	v_bfe_u32 v5, v57, 16, 1
	s_movk_i32 s11, 0x7fff
	v_add3_u32 v5, v57, v5, s11
	v_cmp_o_f32_e32 vcc, v57, v57
	v_mov_b32_e32 v6, 0x7fc0
	v_cndmask_b32_sdwa v6, v6, v5, vcc dst_sel:DWORD dst_unused:UNUSED_PAD src0_sel:DWORD src1_sel:WORD_1
	v_add_u32_e32 v4, v4, v3
	v_mov_b32_e32 v5, 0
	v_lshlrev_b64 v[4:5], 1, v[4:5]
	s_waitcnt lgkmcnt(0)
	v_mov_b32_e32 v7, s13
	v_add_co_u32_e32 v4, vcc, s12, v4
	v_addc_co_u32_e32 v5, vcc, v7, v5, vcc
	global_store_short v[4:5], v6, off
.LBB160_30:
	s_or_b64 exec, exec, s[8:9]
	buffer_load_dword v4, off, s[20:23], 0 offset:172 ; 4-byte Folded Reload
	s_waitcnt vmcnt(0)
	v_add3_u32 v4, v4, s15, 16
	v_cmp_gt_u32_e32 vcc, s10, v4
	s_and_b64 exec, exec, vcc
	s_cbranch_execz .LBB160_66
; %bb.31:
	v_mul_lo_u32 v4, v4, s14
	s_and_saveexec_b64 s[8:9], s[0:1]
	s_cbranch_execnz .LBB160_70
; %bb.32:
	s_or_b64 exec, exec, s[8:9]
	s_and_saveexec_b64 s[8:9], s[2:3]
	s_cbranch_execnz .LBB160_71
.LBB160_33:
	s_or_b64 exec, exec, s[8:9]
	s_and_saveexec_b64 s[8:9], s[4:5]
	s_cbranch_execnz .LBB160_72
.LBB160_34:
	s_or_b64 exec, exec, s[8:9]
	s_and_saveexec_b64 s[8:9], s[6:7]
	s_cbranch_execz .LBB160_36
.LBB160_35:
	v_bfe_u32 v5, v51, 16, 1
	s_movk_i32 s11, 0x7fff
	v_add3_u32 v5, v51, v5, s11
	v_cmp_o_f32_e32 vcc, v51, v51
	v_mov_b32_e32 v6, 0x7fc0
	v_cndmask_b32_sdwa v6, v6, v5, vcc dst_sel:DWORD dst_unused:UNUSED_PAD src0_sel:DWORD src1_sel:WORD_1
	v_add_u32_e32 v4, v4, v3
	v_mov_b32_e32 v5, 0
	v_lshlrev_b64 v[4:5], 1, v[4:5]
	s_waitcnt lgkmcnt(0)
	v_mov_b32_e32 v7, s13
	v_add_co_u32_e32 v4, vcc, s12, v4
	v_addc_co_u32_e32 v5, vcc, v7, v5, vcc
	global_store_short v[4:5], v6, off
.LBB160_36:
	s_or_b64 exec, exec, s[8:9]
	buffer_load_dword v4, off, s[20:23], 0 offset:172 ; 4-byte Folded Reload
	s_waitcnt vmcnt(0)
	v_add3_u32 v4, v4, s15, 24
	v_cmp_gt_u32_e32 vcc, s10, v4
	s_and_b64 exec, exec, vcc
	s_cbranch_execz .LBB160_66
; %bb.37:
	v_mul_lo_u32 v4, v4, s14
	s_and_saveexec_b64 s[8:9], s[0:1]
	s_cbranch_execnz .LBB160_73
; %bb.38:
	s_or_b64 exec, exec, s[8:9]
	s_and_saveexec_b64 s[8:9], s[2:3]
	s_cbranch_execnz .LBB160_74
.LBB160_39:
	s_or_b64 exec, exec, s[8:9]
	s_and_saveexec_b64 s[8:9], s[4:5]
	s_cbranch_execnz .LBB160_75
.LBB160_40:
	s_or_b64 exec, exec, s[8:9]
	s_and_saveexec_b64 s[8:9], s[6:7]
	s_cbranch_execz .LBB160_42
.LBB160_41:
	v_bfe_u32 v5, v47, 16, 1
	s_movk_i32 s11, 0x7fff
	v_add3_u32 v5, v47, v5, s11
	v_cmp_o_f32_e32 vcc, v47, v47
	v_mov_b32_e32 v6, 0x7fc0
	v_cndmask_b32_sdwa v6, v6, v5, vcc dst_sel:DWORD dst_unused:UNUSED_PAD src0_sel:DWORD src1_sel:WORD_1
	v_add_u32_e32 v4, v4, v3
	v_mov_b32_e32 v5, 0
	v_lshlrev_b64 v[4:5], 1, v[4:5]
	s_waitcnt lgkmcnt(0)
	v_mov_b32_e32 v7, s13
	v_add_co_u32_e32 v4, vcc, s12, v4
	v_addc_co_u32_e32 v5, vcc, v7, v5, vcc
	global_store_short v[4:5], v6, off
.LBB160_42:
	s_or_b64 exec, exec, s[8:9]
	buffer_load_dword v4, off, s[20:23], 0 offset:172 ; 4-byte Folded Reload
	s_waitcnt vmcnt(0)
	v_add3_u32 v4, v4, s15, 32
	v_cmp_gt_u32_e32 vcc, s10, v4
	s_and_b64 exec, exec, vcc
	s_cbranch_execz .LBB160_66
; %bb.43:
	v_mul_lo_u32 v4, v4, s14
	s_and_saveexec_b64 s[8:9], s[0:1]
	s_cbranch_execnz .LBB160_76
; %bb.44:
	s_or_b64 exec, exec, s[8:9]
	s_and_saveexec_b64 s[8:9], s[2:3]
	s_cbranch_execnz .LBB160_77
.LBB160_45:
	s_or_b64 exec, exec, s[8:9]
	s_and_saveexec_b64 s[8:9], s[4:5]
	s_cbranch_execnz .LBB160_78
.LBB160_46:
	s_or_b64 exec, exec, s[8:9]
	s_and_saveexec_b64 s[8:9], s[6:7]
	s_cbranch_execz .LBB160_48
.LBB160_47:
	v_bfe_u32 v5, v43, 16, 1
	s_movk_i32 s11, 0x7fff
	v_add3_u32 v5, v43, v5, s11
	v_cmp_o_f32_e32 vcc, v43, v43
	v_mov_b32_e32 v6, 0x7fc0
	v_cndmask_b32_sdwa v6, v6, v5, vcc dst_sel:DWORD dst_unused:UNUSED_PAD src0_sel:DWORD src1_sel:WORD_1
	v_add_u32_e32 v4, v4, v3
	v_mov_b32_e32 v5, 0
	v_lshlrev_b64 v[4:5], 1, v[4:5]
	s_waitcnt lgkmcnt(0)
	v_mov_b32_e32 v7, s13
	v_add_co_u32_e32 v4, vcc, s12, v4
	v_addc_co_u32_e32 v5, vcc, v7, v5, vcc
	global_store_short v[4:5], v6, off
.LBB160_48:
	s_or_b64 exec, exec, s[8:9]
	buffer_load_dword v4, off, s[20:23], 0 offset:172 ; 4-byte Folded Reload
	s_waitcnt vmcnt(0)
	v_add3_u32 v4, v4, s15, 40
	v_cmp_gt_u32_e32 vcc, s10, v4
	s_and_b64 exec, exec, vcc
	s_cbranch_execz .LBB160_66
; %bb.49:
	v_mul_lo_u32 v4, v4, s14
	s_and_saveexec_b64 s[8:9], s[0:1]
	s_cbranch_execnz .LBB160_79
; %bb.50:
	s_or_b64 exec, exec, s[8:9]
	s_and_saveexec_b64 s[8:9], s[2:3]
	s_cbranch_execnz .LBB160_80
.LBB160_51:
	s_or_b64 exec, exec, s[8:9]
	s_and_saveexec_b64 s[8:9], s[4:5]
	s_cbranch_execnz .LBB160_81
.LBB160_52:
	s_or_b64 exec, exec, s[8:9]
	s_and_saveexec_b64 s[8:9], s[6:7]
	s_cbranch_execz .LBB160_54
.LBB160_53:
	v_bfe_u32 v5, v39, 16, 1
	s_movk_i32 s11, 0x7fff
	v_add3_u32 v5, v39, v5, s11
	v_cmp_o_f32_e32 vcc, v39, v39
	v_mov_b32_e32 v6, 0x7fc0
	v_cndmask_b32_sdwa v6, v6, v5, vcc dst_sel:DWORD dst_unused:UNUSED_PAD src0_sel:DWORD src1_sel:WORD_1
	v_add_u32_e32 v4, v4, v3
	v_mov_b32_e32 v5, 0
	v_lshlrev_b64 v[4:5], 1, v[4:5]
	s_waitcnt lgkmcnt(0)
	v_mov_b32_e32 v7, s13
	v_add_co_u32_e32 v4, vcc, s12, v4
	v_addc_co_u32_e32 v5, vcc, v7, v5, vcc
	global_store_short v[4:5], v6, off
.LBB160_54:
	s_or_b64 exec, exec, s[8:9]
	buffer_load_dword v4, off, s[20:23], 0 offset:172 ; 4-byte Folded Reload
	s_waitcnt vmcnt(0)
	v_add3_u32 v4, v4, s15, 48
	v_cmp_gt_u32_e32 vcc, s10, v4
	s_and_b64 exec, exec, vcc
	s_cbranch_execz .LBB160_66
; %bb.55:
	v_mul_lo_u32 v4, v4, s14
	s_and_saveexec_b64 s[8:9], s[0:1]
	s_cbranch_execnz .LBB160_82
; %bb.56:
	s_or_b64 exec, exec, s[8:9]
	s_and_saveexec_b64 s[8:9], s[2:3]
	s_cbranch_execnz .LBB160_83
.LBB160_57:
	s_or_b64 exec, exec, s[8:9]
	s_and_saveexec_b64 s[8:9], s[4:5]
	s_cbranch_execnz .LBB160_84
.LBB160_58:
	s_or_b64 exec, exec, s[8:9]
	s_and_saveexec_b64 s[8:9], s[6:7]
	s_cbranch_execz .LBB160_60
.LBB160_59:
	v_bfe_u32 v5, v35, 16, 1
	s_movk_i32 s11, 0x7fff
	v_add3_u32 v5, v35, v5, s11
	v_cmp_o_f32_e32 vcc, v35, v35
	v_mov_b32_e32 v6, 0x7fc0
	v_cndmask_b32_sdwa v6, v6, v5, vcc dst_sel:DWORD dst_unused:UNUSED_PAD src0_sel:DWORD src1_sel:WORD_1
	v_add_u32_e32 v4, v4, v3
	v_mov_b32_e32 v5, 0
	v_lshlrev_b64 v[4:5], 1, v[4:5]
	s_waitcnt lgkmcnt(0)
	v_mov_b32_e32 v7, s13
	v_add_co_u32_e32 v4, vcc, s12, v4
	v_addc_co_u32_e32 v5, vcc, v7, v5, vcc
	global_store_short v[4:5], v6, off
.LBB160_60:
	s_or_b64 exec, exec, s[8:9]
	buffer_load_dword v4, off, s[20:23], 0 offset:172 ; 4-byte Folded Reload
	s_waitcnt vmcnt(0)
	v_add3_u32 v4, v4, s15, 56
	v_cmp_gt_u32_e32 vcc, s10, v4
	s_and_b64 exec, exec, vcc
	s_cbranch_execz .LBB160_66
; %bb.61:
	v_mul_lo_u32 v4, v4, s14
	s_and_saveexec_b64 s[8:9], s[0:1]
	s_cbranch_execnz .LBB160_85
; %bb.62:
	s_or_b64 exec, exec, s[8:9]
	s_and_saveexec_b64 s[0:1], s[2:3]
	s_cbranch_execnz .LBB160_86
.LBB160_63:
	s_or_b64 exec, exec, s[0:1]
	s_and_saveexec_b64 s[0:1], s[4:5]
	s_cbranch_execnz .LBB160_87
.LBB160_64:
	s_or_b64 exec, exec, s[0:1]
	s_and_b64 exec, exec, s[6:7]
	s_cbranch_execz .LBB160_66
.LBB160_65:
	v_bfe_u32 v0, v31, 16, 1
	s_movk_i32 s0, 0x7fff
	v_add3_u32 v0, v31, v0, s0
	v_cmp_o_f32_e32 vcc, v31, v31
	v_mov_b32_e32 v1, 0x7fc0
	v_cndmask_b32_sdwa v2, v1, v0, vcc dst_sel:DWORD dst_unused:UNUSED_PAD src0_sel:DWORD src1_sel:WORD_1
	v_add_u32_e32 v0, v4, v3
	v_mov_b32_e32 v1, 0
	v_lshlrev_b64 v[0:1], 1, v[0:1]
	s_waitcnt lgkmcnt(0)
	v_mov_b32_e32 v3, s13
	v_add_co_u32_e32 v0, vcc, s12, v0
	v_addc_co_u32_e32 v1, vcc, v3, v1, vcc
	global_store_short v[0:1], v2, off
.LBB160_66:
	s_endpgm
.LBB160_67:
	v_bfe_u32 v5, v70, 16, 1
	s_movk_i32 s11, 0x7fff
	v_add3_u32 v5, v70, v5, s11
	v_cmp_o_f32_e32 vcc, v70, v70
	v_mov_b32_e32 v6, 0x7fc0
	v_cndmask_b32_sdwa v7, v6, v5, vcc dst_sel:DWORD dst_unused:UNUSED_PAD src0_sel:DWORD src1_sel:WORD_1
	v_add_u32_e32 v5, v4, v0
	v_mov_b32_e32 v6, 0
	v_lshlrev_b64 v[5:6], 1, v[5:6]
	s_waitcnt lgkmcnt(0)
	v_mov_b32_e32 v8, s13
	v_add_co_u32_e32 v5, vcc, s12, v5
	v_addc_co_u32_e32 v6, vcc, v8, v6, vcc
	global_store_short v[5:6], v7, off
	s_or_b64 exec, exec, s[8:9]
	s_and_saveexec_b64 s[8:9], s[2:3]
	s_cbranch_execz .LBB160_27
.LBB160_68:
	v_bfe_u32 v5, v63, 16, 1
	s_movk_i32 s11, 0x7fff
	v_add3_u32 v5, v63, v5, s11
	v_cmp_o_f32_e32 vcc, v63, v63
	v_mov_b32_e32 v6, 0x7fc0
	v_cndmask_b32_sdwa v7, v6, v5, vcc dst_sel:DWORD dst_unused:UNUSED_PAD src0_sel:DWORD src1_sel:WORD_1
	v_add_u32_e32 v5, v4, v1
	v_mov_b32_e32 v6, 0
	v_lshlrev_b64 v[5:6], 1, v[5:6]
	s_waitcnt lgkmcnt(0)
	v_mov_b32_e32 v8, s13
	v_add_co_u32_e32 v5, vcc, s12, v5
	v_addc_co_u32_e32 v6, vcc, v8, v6, vcc
	global_store_short v[5:6], v7, off
	s_or_b64 exec, exec, s[8:9]
	s_and_saveexec_b64 s[8:9], s[4:5]
	s_cbranch_execz .LBB160_28
.LBB160_69:
	v_bfe_u32 v5, v58, 16, 1
	s_movk_i32 s11, 0x7fff
	v_add3_u32 v5, v58, v5, s11
	v_cmp_o_f32_e32 vcc, v58, v58
	v_mov_b32_e32 v6, 0x7fc0
	v_cndmask_b32_sdwa v7, v6, v5, vcc dst_sel:DWORD dst_unused:UNUSED_PAD src0_sel:DWORD src1_sel:WORD_1
	v_add_u32_e32 v5, v4, v2
	v_mov_b32_e32 v6, 0
	v_lshlrev_b64 v[5:6], 1, v[5:6]
	s_waitcnt lgkmcnt(0)
	v_mov_b32_e32 v8, s13
	v_add_co_u32_e32 v5, vcc, s12, v5
	v_addc_co_u32_e32 v6, vcc, v8, v6, vcc
	global_store_short v[5:6], v7, off
	s_or_b64 exec, exec, s[8:9]
	s_and_saveexec_b64 s[8:9], s[6:7]
	s_cbranch_execnz .LBB160_29
	s_branch .LBB160_30
.LBB160_70:
	v_bfe_u32 v5, v56, 16, 1
	s_movk_i32 s11, 0x7fff
	v_add3_u32 v5, v56, v5, s11
	v_cmp_o_f32_e32 vcc, v56, v56
	v_mov_b32_e32 v6, 0x7fc0
	v_cndmask_b32_sdwa v7, v6, v5, vcc dst_sel:DWORD dst_unused:UNUSED_PAD src0_sel:DWORD src1_sel:WORD_1
	v_add_u32_e32 v5, v4, v0
	v_mov_b32_e32 v6, 0
	v_lshlrev_b64 v[5:6], 1, v[5:6]
	s_waitcnt lgkmcnt(0)
	v_mov_b32_e32 v8, s13
	v_add_co_u32_e32 v5, vcc, s12, v5
	v_addc_co_u32_e32 v6, vcc, v8, v6, vcc
	global_store_short v[5:6], v7, off
	s_or_b64 exec, exec, s[8:9]
	s_and_saveexec_b64 s[8:9], s[2:3]
	s_cbranch_execz .LBB160_33
.LBB160_71:
	v_bfe_u32 v5, v54, 16, 1
	s_movk_i32 s11, 0x7fff
	v_add3_u32 v5, v54, v5, s11
	v_cmp_o_f32_e32 vcc, v54, v54
	v_mov_b32_e32 v6, 0x7fc0
	v_cndmask_b32_sdwa v7, v6, v5, vcc dst_sel:DWORD dst_unused:UNUSED_PAD src0_sel:DWORD src1_sel:WORD_1
	v_add_u32_e32 v5, v4, v1
	v_mov_b32_e32 v6, 0
	v_lshlrev_b64 v[5:6], 1, v[5:6]
	s_waitcnt lgkmcnt(0)
	v_mov_b32_e32 v8, s13
	v_add_co_u32_e32 v5, vcc, s12, v5
	v_addc_co_u32_e32 v6, vcc, v8, v6, vcc
	global_store_short v[5:6], v7, off
	s_or_b64 exec, exec, s[8:9]
	s_and_saveexec_b64 s[8:9], s[4:5]
	s_cbranch_execz .LBB160_34
.LBB160_72:
	v_bfe_u32 v5, v52, 16, 1
	s_movk_i32 s11, 0x7fff
	v_add3_u32 v5, v52, v5, s11
	v_cmp_o_f32_e32 vcc, v52, v52
	v_mov_b32_e32 v6, 0x7fc0
	v_cndmask_b32_sdwa v7, v6, v5, vcc dst_sel:DWORD dst_unused:UNUSED_PAD src0_sel:DWORD src1_sel:WORD_1
	v_add_u32_e32 v5, v4, v2
	v_mov_b32_e32 v6, 0
	v_lshlrev_b64 v[5:6], 1, v[5:6]
	s_waitcnt lgkmcnt(0)
	v_mov_b32_e32 v8, s13
	v_add_co_u32_e32 v5, vcc, s12, v5
	v_addc_co_u32_e32 v6, vcc, v8, v6, vcc
	global_store_short v[5:6], v7, off
	s_or_b64 exec, exec, s[8:9]
	s_and_saveexec_b64 s[8:9], s[6:7]
	s_cbranch_execnz .LBB160_35
	s_branch .LBB160_36
.LBB160_73:
	v_bfe_u32 v5, v50, 16, 1
	s_movk_i32 s11, 0x7fff
	v_add3_u32 v5, v50, v5, s11
	v_cmp_o_f32_e32 vcc, v50, v50
	v_mov_b32_e32 v6, 0x7fc0
	v_cndmask_b32_sdwa v7, v6, v5, vcc dst_sel:DWORD dst_unused:UNUSED_PAD src0_sel:DWORD src1_sel:WORD_1
	v_add_u32_e32 v5, v4, v0
	v_mov_b32_e32 v6, 0
	v_lshlrev_b64 v[5:6], 1, v[5:6]
	s_waitcnt lgkmcnt(0)
	v_mov_b32_e32 v8, s13
	v_add_co_u32_e32 v5, vcc, s12, v5
	v_addc_co_u32_e32 v6, vcc, v8, v6, vcc
	global_store_short v[5:6], v7, off
	s_or_b64 exec, exec, s[8:9]
	s_and_saveexec_b64 s[8:9], s[2:3]
	s_cbranch_execz .LBB160_39
.LBB160_74:
	v_bfe_u32 v5, v49, 16, 1
	s_movk_i32 s11, 0x7fff
	v_add3_u32 v5, v49, v5, s11
	v_cmp_o_f32_e32 vcc, v49, v49
	v_mov_b32_e32 v6, 0x7fc0
	v_cndmask_b32_sdwa v7, v6, v5, vcc dst_sel:DWORD dst_unused:UNUSED_PAD src0_sel:DWORD src1_sel:WORD_1
	v_add_u32_e32 v5, v4, v1
	v_mov_b32_e32 v6, 0
	v_lshlrev_b64 v[5:6], 1, v[5:6]
	s_waitcnt lgkmcnt(0)
	v_mov_b32_e32 v8, s13
	v_add_co_u32_e32 v5, vcc, s12, v5
	v_addc_co_u32_e32 v6, vcc, v8, v6, vcc
	global_store_short v[5:6], v7, off
	s_or_b64 exec, exec, s[8:9]
	s_and_saveexec_b64 s[8:9], s[4:5]
	s_cbranch_execz .LBB160_40
.LBB160_75:
	v_bfe_u32 v5, v48, 16, 1
	s_movk_i32 s11, 0x7fff
	v_add3_u32 v5, v48, v5, s11
	v_cmp_o_f32_e32 vcc, v48, v48
	v_mov_b32_e32 v6, 0x7fc0
	v_cndmask_b32_sdwa v7, v6, v5, vcc dst_sel:DWORD dst_unused:UNUSED_PAD src0_sel:DWORD src1_sel:WORD_1
	v_add_u32_e32 v5, v4, v2
	v_mov_b32_e32 v6, 0
	v_lshlrev_b64 v[5:6], 1, v[5:6]
	s_waitcnt lgkmcnt(0)
	v_mov_b32_e32 v8, s13
	v_add_co_u32_e32 v5, vcc, s12, v5
	v_addc_co_u32_e32 v6, vcc, v8, v6, vcc
	global_store_short v[5:6], v7, off
	s_or_b64 exec, exec, s[8:9]
	s_and_saveexec_b64 s[8:9], s[6:7]
	s_cbranch_execnz .LBB160_41
	s_branch .LBB160_42
.LBB160_76:
	v_bfe_u32 v5, v46, 16, 1
	s_movk_i32 s11, 0x7fff
	v_add3_u32 v5, v46, v5, s11
	v_cmp_o_f32_e32 vcc, v46, v46
	v_mov_b32_e32 v6, 0x7fc0
	v_cndmask_b32_sdwa v7, v6, v5, vcc dst_sel:DWORD dst_unused:UNUSED_PAD src0_sel:DWORD src1_sel:WORD_1
	v_add_u32_e32 v5, v4, v0
	v_mov_b32_e32 v6, 0
	v_lshlrev_b64 v[5:6], 1, v[5:6]
	s_waitcnt lgkmcnt(0)
	v_mov_b32_e32 v8, s13
	v_add_co_u32_e32 v5, vcc, s12, v5
	v_addc_co_u32_e32 v6, vcc, v8, v6, vcc
	global_store_short v[5:6], v7, off
	s_or_b64 exec, exec, s[8:9]
	s_and_saveexec_b64 s[8:9], s[2:3]
	s_cbranch_execz .LBB160_45
.LBB160_77:
	v_bfe_u32 v5, v45, 16, 1
	s_movk_i32 s11, 0x7fff
	v_add3_u32 v5, v45, v5, s11
	v_cmp_o_f32_e32 vcc, v45, v45
	v_mov_b32_e32 v6, 0x7fc0
	v_cndmask_b32_sdwa v7, v6, v5, vcc dst_sel:DWORD dst_unused:UNUSED_PAD src0_sel:DWORD src1_sel:WORD_1
	v_add_u32_e32 v5, v4, v1
	v_mov_b32_e32 v6, 0
	v_lshlrev_b64 v[5:6], 1, v[5:6]
	s_waitcnt lgkmcnt(0)
	v_mov_b32_e32 v8, s13
	v_add_co_u32_e32 v5, vcc, s12, v5
	v_addc_co_u32_e32 v6, vcc, v8, v6, vcc
	global_store_short v[5:6], v7, off
	s_or_b64 exec, exec, s[8:9]
	s_and_saveexec_b64 s[8:9], s[4:5]
	s_cbranch_execz .LBB160_46
.LBB160_78:
	v_bfe_u32 v5, v44, 16, 1
	s_movk_i32 s11, 0x7fff
	v_add3_u32 v5, v44, v5, s11
	v_cmp_o_f32_e32 vcc, v44, v44
	v_mov_b32_e32 v6, 0x7fc0
	v_cndmask_b32_sdwa v7, v6, v5, vcc dst_sel:DWORD dst_unused:UNUSED_PAD src0_sel:DWORD src1_sel:WORD_1
	v_add_u32_e32 v5, v4, v2
	v_mov_b32_e32 v6, 0
	v_lshlrev_b64 v[5:6], 1, v[5:6]
	s_waitcnt lgkmcnt(0)
	v_mov_b32_e32 v8, s13
	v_add_co_u32_e32 v5, vcc, s12, v5
	v_addc_co_u32_e32 v6, vcc, v8, v6, vcc
	global_store_short v[5:6], v7, off
	s_or_b64 exec, exec, s[8:9]
	s_and_saveexec_b64 s[8:9], s[6:7]
	s_cbranch_execnz .LBB160_47
	s_branch .LBB160_48
.LBB160_79:
	v_bfe_u32 v5, v42, 16, 1
	s_movk_i32 s11, 0x7fff
	v_add3_u32 v5, v42, v5, s11
	v_cmp_o_f32_e32 vcc, v42, v42
	v_mov_b32_e32 v6, 0x7fc0
	v_cndmask_b32_sdwa v7, v6, v5, vcc dst_sel:DWORD dst_unused:UNUSED_PAD src0_sel:DWORD src1_sel:WORD_1
	v_add_u32_e32 v5, v4, v0
	v_mov_b32_e32 v6, 0
	v_lshlrev_b64 v[5:6], 1, v[5:6]
	s_waitcnt lgkmcnt(0)
	v_mov_b32_e32 v8, s13
	v_add_co_u32_e32 v5, vcc, s12, v5
	v_addc_co_u32_e32 v6, vcc, v8, v6, vcc
	global_store_short v[5:6], v7, off
	s_or_b64 exec, exec, s[8:9]
	s_and_saveexec_b64 s[8:9], s[2:3]
	s_cbranch_execz .LBB160_51
.LBB160_80:
	v_bfe_u32 v5, v41, 16, 1
	s_movk_i32 s11, 0x7fff
	v_add3_u32 v5, v41, v5, s11
	v_cmp_o_f32_e32 vcc, v41, v41
	v_mov_b32_e32 v6, 0x7fc0
	v_cndmask_b32_sdwa v7, v6, v5, vcc dst_sel:DWORD dst_unused:UNUSED_PAD src0_sel:DWORD src1_sel:WORD_1
	v_add_u32_e32 v5, v4, v1
	v_mov_b32_e32 v6, 0
	v_lshlrev_b64 v[5:6], 1, v[5:6]
	s_waitcnt lgkmcnt(0)
	v_mov_b32_e32 v8, s13
	v_add_co_u32_e32 v5, vcc, s12, v5
	v_addc_co_u32_e32 v6, vcc, v8, v6, vcc
	global_store_short v[5:6], v7, off
	s_or_b64 exec, exec, s[8:9]
	s_and_saveexec_b64 s[8:9], s[4:5]
	s_cbranch_execz .LBB160_52
.LBB160_81:
	v_bfe_u32 v5, v40, 16, 1
	s_movk_i32 s11, 0x7fff
	v_add3_u32 v5, v40, v5, s11
	v_cmp_o_f32_e32 vcc, v40, v40
	v_mov_b32_e32 v6, 0x7fc0
	v_cndmask_b32_sdwa v7, v6, v5, vcc dst_sel:DWORD dst_unused:UNUSED_PAD src0_sel:DWORD src1_sel:WORD_1
	v_add_u32_e32 v5, v4, v2
	v_mov_b32_e32 v6, 0
	v_lshlrev_b64 v[5:6], 1, v[5:6]
	s_waitcnt lgkmcnt(0)
	v_mov_b32_e32 v8, s13
	v_add_co_u32_e32 v5, vcc, s12, v5
	v_addc_co_u32_e32 v6, vcc, v8, v6, vcc
	global_store_short v[5:6], v7, off
	s_or_b64 exec, exec, s[8:9]
	s_and_saveexec_b64 s[8:9], s[6:7]
	s_cbranch_execnz .LBB160_53
	s_branch .LBB160_54
.LBB160_82:
	v_bfe_u32 v5, v38, 16, 1
	s_movk_i32 s11, 0x7fff
	v_add3_u32 v5, v38, v5, s11
	v_cmp_o_f32_e32 vcc, v38, v38
	v_mov_b32_e32 v6, 0x7fc0
	v_cndmask_b32_sdwa v7, v6, v5, vcc dst_sel:DWORD dst_unused:UNUSED_PAD src0_sel:DWORD src1_sel:WORD_1
	v_add_u32_e32 v5, v4, v0
	v_mov_b32_e32 v6, 0
	v_lshlrev_b64 v[5:6], 1, v[5:6]
	s_waitcnt lgkmcnt(0)
	v_mov_b32_e32 v8, s13
	v_add_co_u32_e32 v5, vcc, s12, v5
	v_addc_co_u32_e32 v6, vcc, v8, v6, vcc
	global_store_short v[5:6], v7, off
	s_or_b64 exec, exec, s[8:9]
	s_and_saveexec_b64 s[8:9], s[2:3]
	s_cbranch_execz .LBB160_57
.LBB160_83:
	v_bfe_u32 v5, v37, 16, 1
	s_movk_i32 s11, 0x7fff
	v_add3_u32 v5, v37, v5, s11
	v_cmp_o_f32_e32 vcc, v37, v37
	v_mov_b32_e32 v6, 0x7fc0
	v_cndmask_b32_sdwa v7, v6, v5, vcc dst_sel:DWORD dst_unused:UNUSED_PAD src0_sel:DWORD src1_sel:WORD_1
	v_add_u32_e32 v5, v4, v1
	v_mov_b32_e32 v6, 0
	v_lshlrev_b64 v[5:6], 1, v[5:6]
	s_waitcnt lgkmcnt(0)
	v_mov_b32_e32 v8, s13
	v_add_co_u32_e32 v5, vcc, s12, v5
	v_addc_co_u32_e32 v6, vcc, v8, v6, vcc
	global_store_short v[5:6], v7, off
	s_or_b64 exec, exec, s[8:9]
	s_and_saveexec_b64 s[8:9], s[4:5]
	s_cbranch_execz .LBB160_58
.LBB160_84:
	v_bfe_u32 v5, v36, 16, 1
	s_movk_i32 s11, 0x7fff
	v_add3_u32 v5, v36, v5, s11
	v_cmp_o_f32_e32 vcc, v36, v36
	v_mov_b32_e32 v6, 0x7fc0
	v_cndmask_b32_sdwa v7, v6, v5, vcc dst_sel:DWORD dst_unused:UNUSED_PAD src0_sel:DWORD src1_sel:WORD_1
	v_add_u32_e32 v5, v4, v2
	v_mov_b32_e32 v6, 0
	v_lshlrev_b64 v[5:6], 1, v[5:6]
	s_waitcnt lgkmcnt(0)
	v_mov_b32_e32 v8, s13
	v_add_co_u32_e32 v5, vcc, s12, v5
	v_addc_co_u32_e32 v6, vcc, v8, v6, vcc
	global_store_short v[5:6], v7, off
	s_or_b64 exec, exec, s[8:9]
	s_and_saveexec_b64 s[8:9], s[6:7]
	s_cbranch_execnz .LBB160_59
	s_branch .LBB160_60
.LBB160_85:
	v_bfe_u32 v5, v34, 16, 1
	s_movk_i32 s0, 0x7fff
	v_add3_u32 v5, v34, v5, s0
	v_cmp_o_f32_e32 vcc, v34, v34
	v_mov_b32_e32 v6, 0x7fc0
	v_cndmask_b32_sdwa v7, v6, v5, vcc dst_sel:DWORD dst_unused:UNUSED_PAD src0_sel:DWORD src1_sel:WORD_1
	v_add_u32_e32 v5, v4, v0
	v_mov_b32_e32 v6, 0
	v_lshlrev_b64 v[5:6], 1, v[5:6]
	s_waitcnt lgkmcnt(0)
	v_mov_b32_e32 v0, s13
	v_add_co_u32_e32 v5, vcc, s12, v5
	v_addc_co_u32_e32 v6, vcc, v0, v6, vcc
	global_store_short v[5:6], v7, off
	s_or_b64 exec, exec, s[8:9]
	s_and_saveexec_b64 s[0:1], s[2:3]
	s_cbranch_execz .LBB160_63
.LBB160_86:
	v_bfe_u32 v0, v33, 16, 1
	s_movk_i32 s2, 0x7fff
	v_add3_u32 v0, v33, v0, s2
	v_cmp_o_f32_e32 vcc, v33, v33
	v_mov_b32_e32 v5, 0x7fc0
	v_cndmask_b32_sdwa v5, v5, v0, vcc dst_sel:DWORD dst_unused:UNUSED_PAD src0_sel:DWORD src1_sel:WORD_1
	v_add_u32_e32 v0, v4, v1
	v_mov_b32_e32 v1, 0
	v_lshlrev_b64 v[0:1], 1, v[0:1]
	s_waitcnt lgkmcnt(0)
	v_mov_b32_e32 v6, s13
	v_add_co_u32_e32 v0, vcc, s12, v0
	v_addc_co_u32_e32 v1, vcc, v6, v1, vcc
	global_store_short v[0:1], v5, off
	s_or_b64 exec, exec, s[0:1]
	s_and_saveexec_b64 s[0:1], s[4:5]
	s_cbranch_execz .LBB160_64
.LBB160_87:
	v_bfe_u32 v0, v32, 16, 1
	s_movk_i32 s2, 0x7fff
	v_add3_u32 v0, v32, v0, s2
	v_cmp_o_f32_e32 vcc, v32, v32
	v_mov_b32_e32 v1, 0x7fc0
	v_cndmask_b32_sdwa v5, v1, v0, vcc dst_sel:DWORD dst_unused:UNUSED_PAD src0_sel:DWORD src1_sel:WORD_1
	v_add_u32_e32 v0, v4, v2
	v_mov_b32_e32 v1, 0
	v_lshlrev_b64 v[0:1], 1, v[0:1]
	s_waitcnt lgkmcnt(0)
	v_mov_b32_e32 v2, s13
	v_add_co_u32_e32 v0, vcc, s12, v0
	v_addc_co_u32_e32 v1, vcc, v2, v1, vcc
	global_store_short v[0:1], v5, off
	s_or_b64 exec, exec, s[0:1]
	s_and_b64 exec, exec, s[6:7]
	s_cbranch_execnz .LBB160_65
	s_branch .LBB160_66
	.section	.rodata,"a",@progbits
	.p2align	6, 0x0
	.amdhsa_kernel _ZL12mul_mat_q4_1IN3c108BFloat16ELb1EEvPKvS3_PT_iiiii
		.amdhsa_group_segment_fixed_size 30336
		.amdhsa_private_segment_fixed_size 184
		.amdhsa_kernarg_size 44
		.amdhsa_user_sgpr_count 6
		.amdhsa_user_sgpr_private_segment_buffer 1
		.amdhsa_user_sgpr_dispatch_ptr 0
		.amdhsa_user_sgpr_queue_ptr 0
		.amdhsa_user_sgpr_kernarg_segment_ptr 1
		.amdhsa_user_sgpr_dispatch_id 0
		.amdhsa_user_sgpr_flat_scratch_init 0
		.amdhsa_user_sgpr_private_segment_size 0
		.amdhsa_uses_dynamic_stack 0
		.amdhsa_system_sgpr_private_segment_wavefront_offset 1
		.amdhsa_system_sgpr_workgroup_id_x 1
		.amdhsa_system_sgpr_workgroup_id_y 1
		.amdhsa_system_sgpr_workgroup_id_z 0
		.amdhsa_system_sgpr_workgroup_info 0
		.amdhsa_system_vgpr_workitem_id 1
		.amdhsa_next_free_vgpr 128
		.amdhsa_next_free_sgpr 98
		.amdhsa_reserve_vcc 1
		.amdhsa_reserve_flat_scratch 0
		.amdhsa_float_round_mode_32 0
		.amdhsa_float_round_mode_16_64 0
		.amdhsa_float_denorm_mode_32 3
		.amdhsa_float_denorm_mode_16_64 3
		.amdhsa_dx10_clamp 1
		.amdhsa_ieee_mode 1
		.amdhsa_fp16_overflow 0
		.amdhsa_exception_fp_ieee_invalid_op 0
		.amdhsa_exception_fp_denorm_src 0
		.amdhsa_exception_fp_ieee_div_zero 0
		.amdhsa_exception_fp_ieee_overflow 0
		.amdhsa_exception_fp_ieee_underflow 0
		.amdhsa_exception_fp_ieee_inexact 0
		.amdhsa_exception_int_div_zero 0
	.end_amdhsa_kernel
	.section	.text._ZL12mul_mat_q4_1IN3c108BFloat16ELb1EEvPKvS3_PT_iiiii,"axG",@progbits,_ZL12mul_mat_q4_1IN3c108BFloat16ELb1EEvPKvS3_PT_iiiii,comdat
.Lfunc_end160:
	.size	_ZL12mul_mat_q4_1IN3c108BFloat16ELb1EEvPKvS3_PT_iiiii, .Lfunc_end160-_ZL12mul_mat_q4_1IN3c108BFloat16ELb1EEvPKvS3_PT_iiiii
                                        ; -- End function
	.set _ZL12mul_mat_q4_1IN3c108BFloat16ELb1EEvPKvS3_PT_iiiii.num_vgpr, 128
	.set _ZL12mul_mat_q4_1IN3c108BFloat16ELb1EEvPKvS3_PT_iiiii.num_agpr, 0
	.set _ZL12mul_mat_q4_1IN3c108BFloat16ELb1EEvPKvS3_PT_iiiii.numbered_sgpr, 24
	.set _ZL12mul_mat_q4_1IN3c108BFloat16ELb1EEvPKvS3_PT_iiiii.num_named_barrier, 0
	.set _ZL12mul_mat_q4_1IN3c108BFloat16ELb1EEvPKvS3_PT_iiiii.private_seg_size, 184
	.set _ZL12mul_mat_q4_1IN3c108BFloat16ELb1EEvPKvS3_PT_iiiii.uses_vcc, 1
	.set _ZL12mul_mat_q4_1IN3c108BFloat16ELb1EEvPKvS3_PT_iiiii.uses_flat_scratch, 0
	.set _ZL12mul_mat_q4_1IN3c108BFloat16ELb1EEvPKvS3_PT_iiiii.has_dyn_sized_stack, 0
	.set _ZL12mul_mat_q4_1IN3c108BFloat16ELb1EEvPKvS3_PT_iiiii.has_recursion, 0
	.set _ZL12mul_mat_q4_1IN3c108BFloat16ELb1EEvPKvS3_PT_iiiii.has_indirect_call, 0
	.section	.AMDGPU.csdata,"",@progbits
; Kernel info:
; codeLenInByte = 14836
; TotalNumSgprs: 28
; NumVgprs: 128
; ScratchSize: 184
; MemoryBound: 0
; FloatMode: 240
; IeeeMode: 1
; LDSByteSize: 30336 bytes/workgroup (compile time only)
; SGPRBlocks: 12
; VGPRBlocks: 31
; NumSGPRsForWavesPerEU: 102
; NumVGPRsForWavesPerEU: 128
; Occupancy: 2
; WaveLimiterHint : 0
; COMPUTE_PGM_RSRC2:SCRATCH_EN: 1
; COMPUTE_PGM_RSRC2:USER_SGPR: 6
; COMPUTE_PGM_RSRC2:TRAP_HANDLER: 0
; COMPUTE_PGM_RSRC2:TGID_X_EN: 1
; COMPUTE_PGM_RSRC2:TGID_Y_EN: 1
; COMPUTE_PGM_RSRC2:TGID_Z_EN: 0
; COMPUTE_PGM_RSRC2:TIDIG_COMP_CNT: 1
	.section	.text._ZL12mul_mat_q5_0IN3c108BFloat16ELb0EEvPKvS3_PT_iiiii,"axG",@progbits,_ZL12mul_mat_q5_0IN3c108BFloat16ELb0EEvPKvS3_PT_iiiii,comdat
	.globl	_ZL12mul_mat_q5_0IN3c108BFloat16ELb0EEvPKvS3_PT_iiiii ; -- Begin function _ZL12mul_mat_q5_0IN3c108BFloat16ELb0EEvPKvS3_PT_iiiii
	.p2align	8
	.type	_ZL12mul_mat_q5_0IN3c108BFloat16ELb0EEvPKvS3_PT_iiiii,@function
_ZL12mul_mat_q5_0IN3c108BFloat16ELb0EEvPKvS3_PT_iiiii: ; @_ZL12mul_mat_q5_0IN3c108BFloat16ELb0EEvPKvS3_PT_iiiii
; %bb.0:
	s_load_dword s14, s[4:5], 0x18
	s_load_dwordx4 s[8:11], s[4:5], 0x20
	s_waitcnt lgkmcnt(0)
	s_lshl_b32 s11, s7, 6
	v_add_u32_e32 v60, s11, v1
	s_cmp_gt_i32 s14, 31
	s_cbranch_scc1 .LBB161_2
; %bb.1:
	v_add_u32_e32 v2, s11, v1
	s_mov_b64 s[0:1], 0
	s_branch .LBB161_3
.LBB161_2:
	s_mov_b64 s[0:1], -1
                                        ; implicit-def: $vgpr2
.LBB161_3:
	s_load_dwordx2 s[12:13], s[4:5], 0x10
	s_lshl_b32 s6, s6, 7
	v_mov_b32_e32 v37, 0
	s_andn2_b64 vcc, exec, s[0:1]
	v_mov_b32_e32 v41, 0
	v_mov_b32_e32 v45, 0
	;; [unrolled: 1-line block ×31, first 2 shown]
	s_cbranch_vccnz .LBB161_14
; %bb.4:
	s_load_dwordx4 s[0:3], s[4:5], 0x0
	s_ashr_i32 s4, s14, 31
	s_lshr_b32 s4, s4, 27
	s_ashr_i32 s5, s9, 31
	s_add_i32 s14, s14, s4
	s_lshr_b32 s5, s5, 27
	s_ashr_i32 s4, s14, 5
	s_add_i32 s5, s9, s5
	s_ashr_i32 s16, s5, 5
	s_mul_i32 s5, s4, s6
	v_mul_lo_u32 v69, s4, v1
	s_mul_hi_i32 s7, s5, 22
	s_mul_i32 s5, s5, 22
	s_waitcnt lgkmcnt(0)
	s_add_u32 s5, s0, s5
	s_addc_u32 s7, s1, s7
	s_lshl_b32 s1, s4, 3
	v_add_u32_e32 v71, s1, v69
	v_add_u32_e32 v73, s1, v71
	;; [unrolled: 1-line block ×12, first 2 shown]
	v_lshlrev_b32_e32 v3, 3, v0
	s_movk_i32 s0, 0x104
	v_add_u32_e32 v96, s1, v94
	v_lshrrev_b32_e32 v103, 3, v0
	v_mad_u32_u24 v70, v1, s0, v3
	v_add_u32_e32 v98, s1, v96
	v_and_b32_e32 v102, 7, v0
	v_lshl_add_u32 v3, v1, 2, v103
	v_add_u32_e32 v100, s1, v98
	v_and_b32_e32 v4, 0x7fc, v3
	v_lshlrev_b32_e32 v5, 2, v102
	s_mov_b32 s1, 0xa200
	v_add3_u32 v16, v4, v5, s1
	v_add_u32_e32 v4, 32, v3
	v_mul_lo_u32 v104, s4, v3
	v_lshlrev_b32_e32 v17, 5, v3
	v_and_b32_e32 v6, 0xffc, v4
	v_lshlrev_b32_e32 v19, 5, v4
	v_add_u32_e32 v4, 64, v3
	v_add_u32_e32 v3, 0x60, v3
	v_add3_u32 v18, v6, v5, s1
	v_and_b32_e32 v6, 0xffc, v4
	v_lshlrev_b32_e32 v21, 5, v4
	v_and_b32_e32 v4, 0xffc, v3
	v_add3_u32 v20, v6, v5, s1
	v_add3_u32 v22, v4, v5, s1
	s_add_i32 s1, s8, -1
	v_lshlrev_b32_e32 v6, 2, v0
	v_lshrrev_b32_e32 v66, 2, v0
	v_lshlrev_b32_e32 v23, 5, v3
	v_cvt_f64_i32_e32 v[4:5], s1
	v_and_b32_e32 v3, 31, v0
	v_and_b32_e32 v24, 28, v6
	v_mov_b32_e32 v8, 0x8200
	v_cvt_f64_u32_e32 v[6:7], v60
	v_lshl_or_b32 v110, v3, 2, v8
	v_lshl_add_u32 v3, v1, 3, v66
	v_and_b32_e32 v12, 63, v3
	v_add_u32_e32 v3, 8, v60
	v_cvt_f64_u32_e32 v[8:9], v3
	v_add_u32_e32 v3, 16, v60
	v_min_f64 v[6:7], v[6:7], v[4:5]
	v_cvt_f64_u32_e32 v[10:11], v3
	v_min_f64 v[8:9], v[8:9], v[4:5]
	s_andn2_b32 s14, s14, 31
	v_add_u32_e32 v106, s14, v104
	v_min_f64 v[10:11], v[10:11], v[4:5]
	v_or_b32_e32 v3, s11, v12
	v_and_b32_e32 v2, 3, v0
	v_add_u32_e32 v107, s14, v106
	v_min_i32_e32 v3, s1, v3
	v_cvt_i32_f64_e32 v6, v[6:7]
	v_lshlrev_b32_e32 v67, 2, v2
	v_add_u32_e32 v108, s14, v107
	v_mad_u64_u32 v[2:3], s[14:15], v3, s16, v[2:3]
	v_lshl_or_b32 v3, v12, 4, v67
	v_add_u32_e32 v111, 0xb280, v3
	v_cvt_i32_f64_e32 v3, v[8:9]
	v_mul_lo_u32 v112, s16, v6
	v_cvt_i32_f64_e32 v6, v[10:11]
	v_lshlrev_b32_e32 v113, 7, v1
	v_mul_lo_u32 v114, s16, v3
	v_add_u32_e32 v3, 24, v60
	v_mul_lo_u32 v115, s16, v6
	v_cvt_f64_u32_e32 v[6:7], v3
	v_add_u32_e32 v3, 32, v60
	v_cvt_f64_u32_e32 v[8:9], v3
	v_add_u32_e32 v3, 40, v60
	v_min_f64 v[6:7], v[6:7], v[4:5]
	v_cvt_f64_u32_e32 v[10:11], v3
	v_add_u32_e32 v3, 48, v60
	v_cvt_f64_u32_e32 v[12:13], v3
	v_add_u32_e32 v3, 56, v60
	v_cvt_f64_u32_e32 v[14:15], v3
	v_min_f64 v[8:9], v[8:9], v[4:5]
	v_min_f64 v[10:11], v[10:11], v[4:5]
	v_cvt_i32_f64_e32 v27, v[6:7]
	v_min_f64 v[6:7], v[12:13], v[4:5]
	v_min_f64 v[3:4], v[14:15], v[4:5]
	v_add_u32_e32 v12, 0x60, v0
	v_mul_lo_u32 v116, s16, v27
	v_lshlrev_b32_e32 v13, 5, v0
	v_cvt_i32_f64_e32 v8, v[8:9]
	v_cvt_i32_f64_e32 v9, v[10:11]
	v_add_u32_e32 v10, 32, v0
	v_cvt_i32_f64_e32 v6, v[6:7]
	v_cvt_i32_f64_e32 v3, v[3:4]
	v_mul_lo_u32 v117, s16, v8
	v_mul_lo_u32 v118, s16, v9
	;; [unrolled: 1-line block ×4, first 2 shown]
	v_add_u32_e32 v11, 64, v0
	v_lshrrev_b32_e32 v122, 3, v10
	v_and_b32_e32 v10, 0x1fc, v10
	v_and_b32_e32 v12, 0x1fc, v12
	;; [unrolled: 1-line block ×3, first 2 shown]
	v_add_u32_e32 v10, v13, v10
	v_and_b32_e32 v14, 0xfc, v0
	v_add_u32_e32 v25, 0x400, v113
	v_add_u32_e32 v26, 0x800, v113
	;; [unrolled: 1-line block ×7, first 2 shown]
	v_mov_b32_e32 v4, s3
	v_add_co_u32_e32 v3, vcc, s2, v24
	v_add_u32_e32 v12, v13, v12
	v_add_u32_e32 v11, v13, v11
	;; [unrolled: 1-line block ×4, first 2 shown]
	v_mov_b32_e32 v14, 0xb280
	v_add_u32_e32 v131, 0xa610, v10
	v_mov_b32_e32 v10, 0x80
	v_mov_b32_e32 v62, 0
	v_add_u32_e32 v72, 0x820, v70
	v_add_u32_e32 v74, 0x1040, v70
	;; [unrolled: 1-line block ×15, first 2 shown]
	s_add_i32 s9, s4, 3
	v_mul_u32_u24_e32 v121, 0x104, v0
	v_addc_co_u32_e32 v4, vcc, 0, v4, vcc
	v_add_u32_e32 v123, 0xae00, v12
	v_add_u32_e32 v124, 0xaa00, v11
	;; [unrolled: 1-line block ×3, first 2 shown]
	v_lshl_add_u32 v127, v1, 4, v14
	v_add_u32_e32 v128, 0x8200, v113
	v_add_u32_e32 v129, 0xae10, v12
	;; [unrolled: 1-line block ×4, first 2 shown]
	v_mad_u32_u24 v133, v0, s0, v10
	s_mov_b32 s14, 0
	s_movk_i32 s15, 0x1f00
	s_mov_b32 s16, 0xc0c0105
	v_add_u32_e32 v134, v16, v17
	v_add_u32_e32 v135, v18, v19
	;; [unrolled: 1-line block ×4, first 2 shown]
	v_mov_b32_e32 v138, 8
	v_add_u32_e32 v139, v110, v25
	v_add_u32_e32 v140, v110, v26
	;; [unrolled: 1-line block ×7, first 2 shown]
	v_mov_b32_e32 v68, 0
	v_mov_b32_e32 v61, 0
	;; [unrolled: 1-line block ×31, first 2 shown]
	s_branch .LBB161_6
.LBB161_5:                              ;   in Loop: Header=BB161_6 Depth=1
	s_add_i32 s14, s14, 8
	s_add_i32 s9, s9, -8
	s_cmp_ge_i32 s14, s4
	s_cbranch_scc1 .LBB161_13
.LBB161_6:                              ; =>This Loop Header: Depth=1
                                        ;     Child Loop BB161_8 Depth 2
                                        ;     Child Loop BB161_11 Depth 2
	s_mul_i32 s0, s14, 22
	s_mul_hi_u32 s1, s14, 22
	s_add_u32 s0, s5, s0
	s_addc_u32 s1, s7, s1
	v_mad_u64_u32 v[5:6], s[18:19], v66, 22, s[0:1]
	s_cmp_gt_u32 s9, 3
	v_mad_u64_u32 v[7:8], s[18:19], v69, 22, v[5:6]
	v_mad_u64_u32 v[13:14], s[18:19], v75, 22, v[5:6]
	v_add_co_u32_e32 v9, vcc, v7, v67
	v_addc_co_u32_e32 v10, vcc, 0, v8, vcc
	v_mad_u64_u32 v[11:12], s[18:19], v73, 22, v[5:6]
	v_mad_u64_u32 v[15:16], s[18:19], v71, 22, v[5:6]
	global_load_dword v17, v[9:10], off offset:6
	global_load_dword v23, v[13:14], off offset:2
                                        ; kill: killed $vgpr9 killed $vgpr10
	global_load_dword v18, v[11:12], off offset:2
	global_load_dword v19, v[15:16], off offset:2
	;; [unrolled: 1-line block ×3, first 2 shown]
	v_add_co_u32_e32 v7, vcc, v15, v67
	v_addc_co_u32_e32 v8, vcc, 0, v16, vcc
	global_load_dword v15, v[7:8], off offset:6
	v_add_co_u32_e32 v7, vcc, v11, v67
	v_addc_co_u32_e32 v8, vcc, 0, v12, vcc
	v_add_co_u32_e32 v9, vcc, v13, v67
	v_addc_co_u32_e32 v10, vcc, 0, v14, vcc
	global_load_dword v24, v[7:8], off offset:6
	global_load_dword v25, v[9:10], off offset:6
	s_waitcnt vmcnt(7)
	v_and_b32_e32 v8, 0xf0f0f0f, v17
	v_lshrrev_b32_e32 v9, 4, v17
	v_and_b32_e32 v9, 0xf0f0f0f, v9
	s_waitcnt vmcnt(4)
	v_ashrrev_i32_e32 v10, v67, v19
	s_waitcnt vmcnt(3)
	v_ashrrev_i32_e32 v7, v67, v20
	v_lshlrev_b32_e32 v12, 4, v7
	v_lshlrev_b32_e32 v13, 11, v7
	;; [unrolled: 1-line block ×4, first 2 shown]
	v_lshrrev_b32_e32 v17, 12, v7
	v_lshrrev_b32_e32 v19, 5, v7
	v_lshlrev_b32_e32 v20, 2, v7
	v_lshlrev_b32_e32 v7, 9, v7
	v_and_b32_e32 v12, 16, v12
	v_and_b32_e32 v13, 0x1000, v13
	;; [unrolled: 1-line block ×8, first 2 shown]
	v_or3_b32 v12, v12, v8, v13
	v_or3_b32 v8, v8, v14, v16
	;; [unrolled: 1-line block ×4, first 2 shown]
	v_and_b32_e32 v14, 0x1f00, v12
	v_lshlrev_b16_e32 v12, 8, v12
	v_and_b32_sdwa v16, v8, s15 dst_sel:DWORD dst_unused:UNUSED_PAD src0_sel:WORD_1 src1_sel:DWORD
	v_lshlrev_b16_sdwa v8, v138, v8 dst_sel:DWORD dst_unused:UNUSED_PAD src0_sel:DWORD src1_sel:WORD_1
	v_and_b32_e32 v19, 0x1f00, v13
	v_lshlrev_b16_e32 v13, 8, v13
	v_and_b32_sdwa v17, v7, s15 dst_sel:DWORD dst_unused:UNUSED_PAD src0_sel:WORD_1 src1_sel:DWORD
	v_lshlrev_b16_sdwa v7, v138, v7 dst_sel:DWORD dst_unused:UNUSED_PAD src0_sel:DWORD src1_sel:WORD_1
	v_add_u16_e32 v14, 0xf000, v14
	v_add_u16_e32 v12, 0xf000, v12
	;; [unrolled: 1-line block ×5, first 2 shown]
	v_lshlrev_b32_e32 v21, 4, v10
	v_lshlrev_b32_e32 v22, 11, v10
	v_add_u16_e32 v17, 0xf000, v17
	v_add_u16_e32 v7, 0xf000, v7
	v_perm_b32 v12, v12, v14, s16
	v_perm_b32 v8, v8, v16, s16
	v_or_b32_sdwa v13, v19, v13 dst_sel:DWORD dst_unused:UNUSED_PAD src0_sel:DWORD src1_sel:BYTE_1
	s_waitcnt vmcnt(2)
	v_and_b32_e32 v11, 0xf0f0f0f, v15
	v_lshlrev_b32_e32 v26, 18, v10
	v_lshlrev_b32_e32 v27, 25, v10
	v_and_b32_e32 v21, 16, v21
	v_and_b32_e32 v22, 0x1000, v22
	v_perm_b32 v7, v7, v17, s16
	v_lshl_or_b32 v8, v8, 16, v12
	v_add_u16_e32 v12, 0xf000, v13
	v_and_b32_e32 v26, 0x100000, v26
	v_and_b32_e32 v27, 0x10000000, v27
	v_or3_b32 v9, v21, v11, v22
	v_lshl_or_b32 v7, v7, 16, v12
	v_or3_b32 v11, v11, v26, v27
	ds_write2_b32 v70, v8, v7 offset1:1
	v_lshlrev_b16_e32 v8, 8, v9
	v_and_b32_sdwa v20, v11, s15 dst_sel:DWORD dst_unused:UNUSED_PAD src0_sel:WORD_1 src1_sel:DWORD
	v_lshlrev_b16_sdwa v11, v138, v11 dst_sel:DWORD dst_unused:UNUSED_PAD src0_sel:DWORD src1_sel:WORD_1
	v_and_b32_e32 v7, 0x1f00, v9
	v_add_u16_e32 v8, 0xf000, v8
	v_add_u16_e32 v20, 0xf000, v20
	;; [unrolled: 1-line block ×3, first 2 shown]
	v_or_b32_sdwa v7, v7, v8 dst_sel:DWORD dst_unused:UNUSED_PAD src0_sel:DWORD src1_sel:BYTE_1
	v_perm_b32 v11, v11, v20, s16
	v_add_u16_e32 v7, 0xf000, v7
	v_lshl_or_b32 v7, v11, 16, v7
	v_lshrrev_b32_e32 v8, 4, v15
	v_lshrrev_b32_e32 v9, 12, v10
	;; [unrolled: 1-line block ×3, first 2 shown]
	v_and_b32_e32 v8, 0xf0f0f0f, v8
	v_and_b32_e32 v9, 16, v9
	;; [unrolled: 1-line block ×3, first 2 shown]
	v_or3_b32 v9, v9, v8, v11
	v_lshlrev_b32_e32 v11, 2, v10
	v_lshlrev_b32_e32 v10, 9, v10
	v_and_b32_e32 v11, 0x100000, v11
	v_and_b32_e32 v10, 0x10000000, v10
	v_or3_b32 v8, v8, v11, v10
	v_and_b32_e32 v10, 0x1f00, v9
	v_lshlrev_b16_e32 v9, 8, v9
	v_add_u16_e32 v10, 0xf000, v10
	v_add_u16_e32 v9, 0xf000, v9
	v_perm_b32 v9, v9, v10, s16
	v_and_b32_sdwa v10, v8, s15 dst_sel:DWORD dst_unused:UNUSED_PAD src0_sel:WORD_1 src1_sel:DWORD
	v_lshlrev_b16_sdwa v8, v138, v8 dst_sel:DWORD dst_unused:UNUSED_PAD src0_sel:DWORD src1_sel:WORD_1
	v_add_u16_e32 v10, 0xf000, v10
	v_add_u16_e32 v8, 0xf000, v8
	v_perm_b32 v8, v8, v10, s16
	v_lshl_or_b32 v8, v8, 16, v9
	v_ashrrev_i32_e32 v26, v67, v18
	ds_write2_b32 v72, v7, v8 offset1:1
	v_lshlrev_b32_e32 v8, 4, v26
	v_lshlrev_b32_e32 v9, 11, v26
	s_waitcnt vmcnt(1)
	v_and_b32_e32 v7, 0xf0f0f0f, v24
	v_and_b32_e32 v8, 16, v8
	;; [unrolled: 1-line block ×3, first 2 shown]
	v_or3_b32 v27, v8, v7, v9
	v_lshlrev_b32_e32 v8, 18, v26
	v_lshlrev_b32_e32 v9, 25, v26
	v_and_b32_e32 v8, 0x100000, v8
	v_and_b32_e32 v9, 0x10000000, v9
	v_or3_b32 v7, v7, v8, v9
	v_and_b32_sdwa v8, v7, s15 dst_sel:DWORD dst_unused:UNUSED_PAD src0_sel:WORD_1 src1_sel:DWORD
	v_add_u16_e32 v28, 0xf000, v8
	v_lshlrev_b16_sdwa v29, v138, v7 dst_sel:DWORD dst_unused:UNUSED_PAD src0_sel:DWORD src1_sel:WORD_1
	v_mad_u64_u32 v[7:8], s[18:19], v77, 22, v[5:6]
	v_mad_u64_u32 v[9:10], s[18:19], v79, 22, v[5:6]
	v_add_co_u32_e32 v11, vcc, v7, v67
	v_mad_u64_u32 v[15:16], s[18:19], v81, 22, v[5:6]
	v_addc_co_u32_e32 v12, vcc, 0, v8, vcc
	v_add_co_u32_e32 v13, vcc, v9, v67
	v_mad_u64_u32 v[17:18], s[18:19], v83, 22, v[5:6]
	v_addc_co_u32_e32 v14, vcc, 0, v10, vcc
	v_add_co_u32_e32 v19, vcc, v15, v67
	v_addc_co_u32_e32 v20, vcc, 0, v16, vcc
	v_add_co_u32_e32 v21, vcc, v17, v67
	v_addc_co_u32_e32 v22, vcc, 0, v18, vcc
	global_load_dword v11, v[11:12], off offset:6
	s_nop 0
	global_load_dword v12, v[13:14], off offset:6
	global_load_dword v30, v[19:20], off offset:6
	;; [unrolled: 1-line block ×4, first 2 shown]
	s_nop 0
	global_load_dword v13, v[15:16], off offset:2
	s_nop 0
	global_load_dword v9, v[9:10], off offset:2
	;; [unrolled: 2-line block ×3, first 2 shown]
	v_lshlrev_b16_e32 v14, 8, v27
	v_and_b32_e32 v10, 0x1f00, v27
	v_add_u16_e32 v14, 0xf000, v14
	v_add_u16_e32 v8, 0xf000, v29
	v_or_b32_sdwa v10, v10, v14 dst_sel:DWORD dst_unused:UNUSED_PAD src0_sel:DWORD src1_sel:BYTE_1
	v_perm_b32 v8, v8, v28, s16
	v_add_u16_e32 v10, 0xf000, v10
	v_lshl_or_b32 v8, v8, 16, v10
	v_lshrrev_b32_e32 v10, 4, v24
	v_lshrrev_b32_e32 v14, 12, v26
	;; [unrolled: 1-line block ×3, first 2 shown]
	v_and_b32_e32 v10, 0xf0f0f0f, v10
	v_and_b32_e32 v14, 16, v14
	;; [unrolled: 1-line block ×3, first 2 shown]
	v_or3_b32 v14, v14, v10, v15
	v_lshlrev_b32_e32 v15, 2, v26
	v_lshlrev_b32_e32 v16, 9, v26
	v_and_b32_e32 v15, 0x100000, v15
	v_and_b32_e32 v16, 0x10000000, v16
	v_or3_b32 v10, v10, v15, v16
	v_and_b32_e32 v15, 0x1f00, v14
	v_lshlrev_b16_e32 v14, 8, v14
	v_add_u16_e32 v15, 0xf000, v15
	v_add_u16_e32 v14, 0xf000, v14
	v_perm_b32 v14, v14, v15, s16
	v_and_b32_sdwa v15, v10, s15 dst_sel:DWORD dst_unused:UNUSED_PAD src0_sel:WORD_1 src1_sel:DWORD
	v_lshlrev_b16_sdwa v10, v138, v10 dst_sel:DWORD dst_unused:UNUSED_PAD src0_sel:DWORD src1_sel:WORD_1
	v_add_u16_e32 v15, 0xf000, v15
	v_add_u16_e32 v10, 0xf000, v10
	v_perm_b32 v10, v10, v15, s16
	v_lshl_or_b32 v10, v10, 16, v14
	ds_write2_b32 v74, v8, v10 offset1:1
	v_ashrrev_i32_e32 v8, v67, v23
	v_lshlrev_b32_e32 v14, 4, v8
	v_lshlrev_b32_e32 v15, 11, v8
	s_waitcnt vmcnt(8)
	v_and_b32_e32 v10, 0xf0f0f0f, v25
	v_and_b32_e32 v14, 16, v14
	;; [unrolled: 1-line block ×3, first 2 shown]
	v_or3_b32 v14, v14, v10, v15
	v_lshlrev_b32_e32 v15, 18, v8
	v_lshlrev_b32_e32 v16, 25, v8
	v_and_b32_e32 v15, 0x100000, v15
	v_and_b32_e32 v16, 0x10000000, v16
	v_or3_b32 v10, v10, v15, v16
	v_and_b32_sdwa v15, v10, s15 dst_sel:DWORD dst_unused:UNUSED_PAD src0_sel:WORD_1 src1_sel:DWORD
	v_lshlrev_b16_sdwa v10, v138, v10 dst_sel:DWORD dst_unused:UNUSED_PAD src0_sel:DWORD src1_sel:WORD_1
	v_add_u16_e32 v15, 0xf000, v15
	v_add_u16_e32 v10, 0xf000, v10
	v_perm_b32 v10, v10, v15, s16
	v_and_b32_e32 v15, 0x1f00, v14
	v_lshlrev_b16_e32 v14, 8, v14
	v_add_u16_e32 v14, 0xf000, v14
	v_or_b32_sdwa v14, v15, v14 dst_sel:DWORD dst_unused:UNUSED_PAD src0_sel:DWORD src1_sel:BYTE_1
	v_add_u16_e32 v14, 0xf000, v14
	v_lshl_or_b32 v10, v10, 16, v14
	v_lshrrev_b32_e32 v14, 4, v25
	v_lshrrev_b32_e32 v15, 12, v8
	;; [unrolled: 1-line block ×3, first 2 shown]
	v_and_b32_e32 v14, 0xf0f0f0f, v14
	v_and_b32_e32 v15, 16, v15
	;; [unrolled: 1-line block ×3, first 2 shown]
	v_or3_b32 v15, v15, v14, v16
	v_lshlrev_b32_e32 v16, 2, v8
	v_lshlrev_b32_e32 v8, 9, v8
	v_and_b32_e32 v16, 0x100000, v16
	v_and_b32_e32 v8, 0x10000000, v8
	v_or3_b32 v8, v14, v16, v8
	v_and_b32_e32 v14, 0x1f00, v15
	v_lshlrev_b16_e32 v15, 8, v15
	v_add_u16_e32 v14, 0xf000, v14
	v_add_u16_e32 v15, 0xf000, v15
	v_perm_b32 v14, v15, v14, s16
	v_and_b32_sdwa v15, v8, s15 dst_sel:DWORD dst_unused:UNUSED_PAD src0_sel:WORD_1 src1_sel:DWORD
	v_lshlrev_b16_sdwa v8, v138, v8 dst_sel:DWORD dst_unused:UNUSED_PAD src0_sel:DWORD src1_sel:WORD_1
	v_add_u16_e32 v15, 0xf000, v15
	v_add_u16_e32 v8, 0xf000, v8
	v_perm_b32 v8, v8, v15, s16
	v_lshl_or_b32 v8, v8, 16, v14
	ds_write2_b32 v76, v10, v8 offset1:1
	s_waitcnt vmcnt(0)
	v_ashrrev_i32_e32 v7, v67, v7
	v_lshlrev_b32_e32 v10, 4, v7
	v_lshlrev_b32_e32 v14, 11, v7
	v_and_b32_e32 v8, 0xf0f0f0f, v11
	v_and_b32_e32 v10, 16, v10
	v_and_b32_e32 v14, 0x1000, v14
	v_or3_b32 v10, v10, v8, v14
	v_lshlrev_b32_e32 v14, 18, v7
	v_lshlrev_b32_e32 v15, 25, v7
	v_and_b32_e32 v14, 0x100000, v14
	v_and_b32_e32 v15, 0x10000000, v15
	v_or3_b32 v8, v8, v14, v15
	v_and_b32_sdwa v14, v8, s15 dst_sel:DWORD dst_unused:UNUSED_PAD src0_sel:WORD_1 src1_sel:DWORD
	v_lshlrev_b16_sdwa v8, v138, v8 dst_sel:DWORD dst_unused:UNUSED_PAD src0_sel:DWORD src1_sel:WORD_1
	v_add_u16_e32 v14, 0xf000, v14
	v_add_u16_e32 v8, 0xf000, v8
	v_perm_b32 v8, v8, v14, s16
	v_and_b32_e32 v14, 0x1f00, v10
	v_lshlrev_b16_e32 v10, 8, v10
	v_add_u16_e32 v10, 0xf000, v10
	v_or_b32_sdwa v10, v14, v10 dst_sel:DWORD dst_unused:UNUSED_PAD src0_sel:DWORD src1_sel:BYTE_1
	v_add_u16_e32 v10, 0xf000, v10
	v_lshl_or_b32 v8, v8, 16, v10
	v_lshrrev_b32_e32 v10, 4, v11
	v_lshrrev_b32_e32 v11, 12, v7
	;; [unrolled: 1-line block ×3, first 2 shown]
	v_and_b32_e32 v10, 0xf0f0f0f, v10
	v_and_b32_e32 v11, 16, v11
	;; [unrolled: 1-line block ×3, first 2 shown]
	v_or3_b32 v11, v11, v10, v14
	v_lshlrev_b32_e32 v14, 2, v7
	v_lshlrev_b32_e32 v7, 9, v7
	v_and_b32_e32 v14, 0x100000, v14
	v_and_b32_e32 v7, 0x10000000, v7
	v_or3_b32 v7, v10, v14, v7
	v_and_b32_e32 v10, 0x1f00, v11
	v_lshlrev_b16_e32 v11, 8, v11
	v_add_u16_e32 v10, 0xf000, v10
	v_add_u16_e32 v11, 0xf000, v11
	v_perm_b32 v10, v11, v10, s16
	v_and_b32_sdwa v11, v7, s15 dst_sel:DWORD dst_unused:UNUSED_PAD src0_sel:WORD_1 src1_sel:DWORD
	v_lshlrev_b16_sdwa v7, v138, v7 dst_sel:DWORD dst_unused:UNUSED_PAD src0_sel:DWORD src1_sel:WORD_1
	v_add_u16_e32 v11, 0xf000, v11
	v_add_u16_e32 v7, 0xf000, v7
	v_perm_b32 v7, v7, v11, s16
	v_lshl_or_b32 v7, v7, 16, v10
	ds_write2_b32 v78, v8, v7 offset1:1
	v_ashrrev_i32_e32 v7, v67, v9
	v_lshlrev_b32_e32 v9, 4, v7
	v_lshlrev_b32_e32 v10, 11, v7
	v_and_b32_e32 v8, 0xf0f0f0f, v12
	v_and_b32_e32 v9, 16, v9
	;; [unrolled: 1-line block ×3, first 2 shown]
	v_or3_b32 v9, v9, v8, v10
	v_lshlrev_b32_e32 v10, 18, v7
	v_lshlrev_b32_e32 v11, 25, v7
	v_and_b32_e32 v10, 0x100000, v10
	v_and_b32_e32 v11, 0x10000000, v11
	v_or3_b32 v8, v8, v10, v11
	v_and_b32_sdwa v10, v8, s15 dst_sel:DWORD dst_unused:UNUSED_PAD src0_sel:WORD_1 src1_sel:DWORD
	v_lshlrev_b16_sdwa v8, v138, v8 dst_sel:DWORD dst_unused:UNUSED_PAD src0_sel:DWORD src1_sel:WORD_1
	v_add_u16_e32 v10, 0xf000, v10
	v_add_u16_e32 v8, 0xf000, v8
	v_perm_b32 v8, v8, v10, s16
	v_and_b32_e32 v10, 0x1f00, v9
	v_lshlrev_b16_e32 v9, 8, v9
	v_add_u16_e32 v9, 0xf000, v9
	v_or_b32_sdwa v9, v10, v9 dst_sel:DWORD dst_unused:UNUSED_PAD src0_sel:DWORD src1_sel:BYTE_1
	v_add_u16_e32 v9, 0xf000, v9
	v_lshl_or_b32 v8, v8, 16, v9
	v_lshrrev_b32_e32 v9, 4, v12
	v_lshrrev_b32_e32 v10, 12, v7
	;; [unrolled: 1-line block ×3, first 2 shown]
	v_and_b32_e32 v9, 0xf0f0f0f, v9
	v_and_b32_e32 v10, 16, v10
	;; [unrolled: 1-line block ×3, first 2 shown]
	v_or3_b32 v10, v10, v9, v11
	v_lshlrev_b32_e32 v11, 2, v7
	v_lshlrev_b32_e32 v7, 9, v7
	v_and_b32_e32 v11, 0x100000, v11
	v_and_b32_e32 v7, 0x10000000, v7
	v_or3_b32 v7, v9, v11, v7
	v_and_b32_e32 v9, 0x1f00, v10
	v_lshlrev_b16_e32 v10, 8, v10
	v_add_u16_e32 v9, 0xf000, v9
	v_add_u16_e32 v10, 0xf000, v10
	v_perm_b32 v9, v10, v9, s16
	v_and_b32_sdwa v10, v7, s15 dst_sel:DWORD dst_unused:UNUSED_PAD src0_sel:WORD_1 src1_sel:DWORD
	v_lshlrev_b16_sdwa v7, v138, v7 dst_sel:DWORD dst_unused:UNUSED_PAD src0_sel:DWORD src1_sel:WORD_1
	v_add_u16_e32 v10, 0xf000, v10
	v_add_u16_e32 v7, 0xf000, v7
	v_perm_b32 v7, v7, v10, s16
	v_lshl_or_b32 v7, v7, 16, v9
	v_ashrrev_i32_e32 v23, v67, v13
	ds_write2_b32 v80, v8, v7 offset1:1
	v_lshlrev_b32_e32 v8, 4, v23
	v_lshlrev_b32_e32 v9, 11, v23
	v_and_b32_e32 v7, 0xf0f0f0f, v30
	v_and_b32_e32 v8, 16, v8
	;; [unrolled: 1-line block ×3, first 2 shown]
	v_or3_b32 v8, v8, v7, v9
	v_lshlrev_b32_e32 v9, 18, v23
	v_lshlrev_b32_e32 v10, 25, v23
	v_and_b32_e32 v9, 0x100000, v9
	v_and_b32_e32 v10, 0x10000000, v10
	v_or3_b32 v24, v7, v9, v10
	v_and_b32_e32 v7, 0x1f00, v8
	v_add_u16_e32 v25, 0xf000, v7
	v_lshlrev_b16_e32 v26, 8, v8
	v_mad_u64_u32 v[7:8], s[18:19], v85, 22, v[5:6]
	v_mad_u64_u32 v[9:10], s[18:19], v87, 22, v[5:6]
	v_add_co_u32_e32 v11, vcc, v7, v67
	v_mad_u64_u32 v[15:16], s[18:19], v89, 22, v[5:6]
	v_addc_co_u32_e32 v12, vcc, 0, v8, vcc
	v_add_co_u32_e32 v13, vcc, v9, v67
	v_mad_u64_u32 v[17:18], s[18:19], v92, 22, v[5:6]
	v_addc_co_u32_e32 v14, vcc, 0, v10, vcc
	v_add_co_u32_e32 v19, vcc, v15, v67
	v_addc_co_u32_e32 v20, vcc, 0, v16, vcc
	v_add_co_u32_e32 v21, vcc, v17, v67
	v_addc_co_u32_e32 v22, vcc, 0, v18, vcc
	global_load_dword v11, v[11:12], off offset:6
	s_nop 0
	global_load_dword v12, v[13:14], off offset:6
	global_load_dword v27, v[19:20], off offset:6
	s_nop 0
	global_load_dword v21, v[21:22], off offset:6
	s_nop 0
	global_load_dword v22, v[17:18], off offset:2
	global_load_dword v13, v[15:16], off offset:2
	s_nop 0
	global_load_dword v9, v[9:10], off offset:2
	s_nop 0
	global_load_dword v7, v[7:8], off offset:2
	v_and_b32_sdwa v10, v24, s15 dst_sel:DWORD dst_unused:UNUSED_PAD src0_sel:WORD_1 src1_sel:DWORD
	v_lshlrev_b16_sdwa v14, v138, v24 dst_sel:DWORD dst_unused:UNUSED_PAD src0_sel:DWORD src1_sel:WORD_1
	v_add_u16_e32 v8, 0xf000, v26
	v_add_u16_e32 v10, 0xf000, v10
	;; [unrolled: 1-line block ×3, first 2 shown]
	v_perm_b32 v8, v8, v25, s16
	v_perm_b32 v10, v14, v10, s16
	v_lshl_or_b32 v8, v10, 16, v8
	v_lshrrev_b32_e32 v10, 4, v30
	v_lshrrev_b32_e32 v14, 12, v23
	;; [unrolled: 1-line block ×3, first 2 shown]
	v_and_b32_e32 v10, 0xf0f0f0f, v10
	v_and_b32_e32 v14, 16, v14
	;; [unrolled: 1-line block ×3, first 2 shown]
	v_or3_b32 v14, v14, v10, v15
	v_lshlrev_b32_e32 v15, 2, v23
	v_lshlrev_b32_e32 v16, 9, v23
	v_and_b32_e32 v15, 0x100000, v15
	v_and_b32_e32 v16, 0x10000000, v16
	v_or3_b32 v10, v10, v15, v16
	v_and_b32_sdwa v15, v10, s15 dst_sel:DWORD dst_unused:UNUSED_PAD src0_sel:WORD_1 src1_sel:DWORD
	v_lshlrev_b16_sdwa v10, v138, v10 dst_sel:DWORD dst_unused:UNUSED_PAD src0_sel:DWORD src1_sel:WORD_1
	v_add_u16_e32 v15, 0xf000, v15
	v_add_u16_e32 v10, 0xf000, v10
	v_perm_b32 v10, v10, v15, s16
	v_and_b32_e32 v15, 0x1f00, v14
	v_lshlrev_b16_e32 v14, 8, v14
	v_add_u16_e32 v14, 0xf000, v14
	v_or_b32_sdwa v14, v15, v14 dst_sel:DWORD dst_unused:UNUSED_PAD src0_sel:DWORD src1_sel:BYTE_1
	v_add_u16_e32 v14, 0xf000, v14
	v_lshl_or_b32 v10, v10, 16, v14
	ds_write2_b32 v82, v8, v10 offset1:1
	v_ashrrev_i32_e32 v8, v67, v32
	v_lshlrev_b32_e32 v14, 4, v8
	v_lshlrev_b32_e32 v15, 11, v8
	v_and_b32_e32 v10, 0xf0f0f0f, v31
	v_and_b32_e32 v14, 16, v14
	;; [unrolled: 1-line block ×3, first 2 shown]
	v_or3_b32 v14, v14, v10, v15
	v_lshlrev_b32_e32 v15, 18, v8
	v_lshlrev_b32_e32 v16, 25, v8
	v_and_b32_e32 v15, 0x100000, v15
	v_and_b32_e32 v16, 0x10000000, v16
	v_or3_b32 v10, v10, v15, v16
	v_and_b32_e32 v15, 0x1f00, v14
	v_lshlrev_b16_e32 v14, 8, v14
	v_add_u16_e32 v15, 0xf000, v15
	v_add_u16_e32 v14, 0xf000, v14
	v_perm_b32 v14, v14, v15, s16
	v_and_b32_sdwa v15, v10, s15 dst_sel:DWORD dst_unused:UNUSED_PAD src0_sel:WORD_1 src1_sel:DWORD
	v_lshlrev_b16_sdwa v10, v138, v10 dst_sel:DWORD dst_unused:UNUSED_PAD src0_sel:DWORD src1_sel:WORD_1
	v_add_u16_e32 v15, 0xf000, v15
	v_add_u16_e32 v10, 0xf000, v10
	v_perm_b32 v10, v10, v15, s16
	v_lshl_or_b32 v10, v10, 16, v14
	v_lshrrev_b32_e32 v14, 4, v31
	v_lshrrev_b32_e32 v15, 12, v8
	;; [unrolled: 1-line block ×3, first 2 shown]
	v_and_b32_e32 v14, 0xf0f0f0f, v14
	v_and_b32_e32 v15, 16, v15
	;; [unrolled: 1-line block ×3, first 2 shown]
	v_or3_b32 v15, v15, v14, v16
	v_lshlrev_b32_e32 v16, 2, v8
	v_lshlrev_b32_e32 v8, 9, v8
	v_and_b32_e32 v16, 0x100000, v16
	v_and_b32_e32 v8, 0x10000000, v8
	v_or3_b32 v8, v14, v16, v8
	v_and_b32_sdwa v14, v8, s15 dst_sel:DWORD dst_unused:UNUSED_PAD src0_sel:WORD_1 src1_sel:DWORD
	v_lshlrev_b16_sdwa v8, v138, v8 dst_sel:DWORD dst_unused:UNUSED_PAD src0_sel:DWORD src1_sel:WORD_1
	v_add_u16_e32 v14, 0xf000, v14
	v_add_u16_e32 v8, 0xf000, v8
	v_perm_b32 v8, v8, v14, s16
	v_and_b32_e32 v14, 0x1f00, v15
	v_lshlrev_b16_e32 v15, 8, v15
	v_add_u16_e32 v15, 0xf000, v15
	v_or_b32_sdwa v14, v14, v15 dst_sel:DWORD dst_unused:UNUSED_PAD src0_sel:DWORD src1_sel:BYTE_1
	v_add_u16_e32 v14, 0xf000, v14
	v_lshl_or_b32 v8, v8, 16, v14
	ds_write2_b32 v84, v10, v8 offset1:1
	s_waitcnt vmcnt(0)
	v_ashrrev_i32_e32 v7, v67, v7
	v_lshlrev_b32_e32 v10, 4, v7
	v_lshlrev_b32_e32 v14, 11, v7
	v_and_b32_e32 v8, 0xf0f0f0f, v11
	v_and_b32_e32 v10, 16, v10
	;; [unrolled: 1-line block ×3, first 2 shown]
	v_or3_b32 v10, v10, v8, v14
	v_lshlrev_b32_e32 v14, 18, v7
	v_lshlrev_b32_e32 v15, 25, v7
	v_and_b32_e32 v14, 0x100000, v14
	v_and_b32_e32 v15, 0x10000000, v15
	v_or3_b32 v8, v8, v14, v15
	v_and_b32_e32 v14, 0x1f00, v10
	v_lshlrev_b16_e32 v10, 8, v10
	v_add_u16_e32 v14, 0xf000, v14
	v_add_u16_e32 v10, 0xf000, v10
	v_perm_b32 v10, v10, v14, s16
	v_and_b32_sdwa v14, v8, s15 dst_sel:DWORD dst_unused:UNUSED_PAD src0_sel:WORD_1 src1_sel:DWORD
	v_lshlrev_b16_sdwa v8, v138, v8 dst_sel:DWORD dst_unused:UNUSED_PAD src0_sel:DWORD src1_sel:WORD_1
	v_add_u16_e32 v14, 0xf000, v14
	v_add_u16_e32 v8, 0xf000, v8
	v_perm_b32 v8, v8, v14, s16
	v_lshl_or_b32 v8, v8, 16, v10
	v_lshrrev_b32_e32 v10, 4, v11
	v_lshrrev_b32_e32 v11, 12, v7
	;; [unrolled: 1-line block ×3, first 2 shown]
	v_and_b32_e32 v10, 0xf0f0f0f, v10
	v_and_b32_e32 v11, 16, v11
	v_and_b32_e32 v14, 0x1000, v14
	v_or3_b32 v11, v11, v10, v14
	v_lshlrev_b32_e32 v14, 2, v7
	v_lshlrev_b32_e32 v7, 9, v7
	v_and_b32_e32 v14, 0x100000, v14
	v_and_b32_e32 v7, 0x10000000, v7
	v_or3_b32 v7, v10, v14, v7
	v_and_b32_sdwa v10, v7, s15 dst_sel:DWORD dst_unused:UNUSED_PAD src0_sel:WORD_1 src1_sel:DWORD
	v_lshlrev_b16_sdwa v7, v138, v7 dst_sel:DWORD dst_unused:UNUSED_PAD src0_sel:DWORD src1_sel:WORD_1
	v_add_u16_e32 v10, 0xf000, v10
	v_add_u16_e32 v7, 0xf000, v7
	v_perm_b32 v7, v7, v10, s16
	v_and_b32_e32 v10, 0x1f00, v11
	v_lshlrev_b16_e32 v11, 8, v11
	v_add_u16_e32 v11, 0xf000, v11
	v_or_b32_sdwa v10, v10, v11 dst_sel:DWORD dst_unused:UNUSED_PAD src0_sel:DWORD src1_sel:BYTE_1
	v_add_u16_e32 v10, 0xf000, v10
	v_lshl_or_b32 v7, v7, 16, v10
	ds_write2_b32 v86, v8, v7 offset1:1
	v_ashrrev_i32_e32 v7, v67, v9
	v_lshlrev_b32_e32 v9, 4, v7
	v_lshlrev_b32_e32 v10, 11, v7
	v_and_b32_e32 v8, 0xf0f0f0f, v12
	v_and_b32_e32 v9, 16, v9
	;; [unrolled: 1-line block ×3, first 2 shown]
	v_or3_b32 v9, v9, v8, v10
	v_lshlrev_b32_e32 v10, 18, v7
	v_lshlrev_b32_e32 v11, 25, v7
	v_and_b32_e32 v10, 0x100000, v10
	v_and_b32_e32 v11, 0x10000000, v11
	v_or3_b32 v8, v8, v10, v11
	v_and_b32_e32 v10, 0x1f00, v9
	v_lshlrev_b16_e32 v9, 8, v9
	v_add_u16_e32 v10, 0xf000, v10
	v_add_u16_e32 v9, 0xf000, v9
	v_perm_b32 v9, v9, v10, s16
	v_and_b32_sdwa v10, v8, s15 dst_sel:DWORD dst_unused:UNUSED_PAD src0_sel:WORD_1 src1_sel:DWORD
	v_lshlrev_b16_sdwa v8, v138, v8 dst_sel:DWORD dst_unused:UNUSED_PAD src0_sel:DWORD src1_sel:WORD_1
	v_add_u16_e32 v10, 0xf000, v10
	v_add_u16_e32 v8, 0xf000, v8
	v_perm_b32 v8, v8, v10, s16
	v_lshl_or_b32 v8, v8, 16, v9
	v_lshrrev_b32_e32 v9, 4, v12
	v_lshrrev_b32_e32 v10, 12, v7
	;; [unrolled: 1-line block ×3, first 2 shown]
	v_and_b32_e32 v9, 0xf0f0f0f, v9
	v_and_b32_e32 v10, 16, v10
	v_and_b32_e32 v11, 0x1000, v11
	v_or3_b32 v10, v10, v9, v11
	v_lshlrev_b32_e32 v11, 2, v7
	v_lshlrev_b32_e32 v7, 9, v7
	v_and_b32_e32 v11, 0x100000, v11
	v_and_b32_e32 v7, 0x10000000, v7
	v_or3_b32 v7, v9, v11, v7
	v_and_b32_sdwa v9, v7, s15 dst_sel:DWORD dst_unused:UNUSED_PAD src0_sel:WORD_1 src1_sel:DWORD
	v_lshlrev_b16_sdwa v7, v138, v7 dst_sel:DWORD dst_unused:UNUSED_PAD src0_sel:DWORD src1_sel:WORD_1
	v_add_u16_e32 v9, 0xf000, v9
	v_add_u16_e32 v7, 0xf000, v7
	v_perm_b32 v7, v7, v9, s16
	v_and_b32_e32 v9, 0x1f00, v10
	v_lshlrev_b16_e32 v10, 8, v10
	v_add_u16_e32 v10, 0xf000, v10
	v_or_b32_sdwa v9, v9, v10 dst_sel:DWORD dst_unused:UNUSED_PAD src0_sel:DWORD src1_sel:BYTE_1
	v_add_u16_e32 v9, 0xf000, v9
	v_lshl_or_b32 v7, v7, 16, v9
	v_ashrrev_i32_e32 v23, v67, v13
	ds_write2_b32 v88, v8, v7 offset1:1
	v_lshlrev_b32_e32 v8, 4, v23
	v_lshlrev_b32_e32 v9, 11, v23
	v_and_b32_e32 v7, 0xf0f0f0f, v27
	v_and_b32_e32 v8, 16, v8
	;; [unrolled: 1-line block ×3, first 2 shown]
	v_or3_b32 v8, v8, v7, v9
	v_lshlrev_b32_e32 v9, 18, v23
	v_lshlrev_b32_e32 v10, 25, v23
	v_and_b32_e32 v9, 0x100000, v9
	v_and_b32_e32 v10, 0x10000000, v10
	v_or3_b32 v24, v7, v9, v10
	v_and_b32_e32 v7, 0x1f00, v8
	v_add_u16_e32 v25, 0xf000, v7
	v_lshlrev_b16_e32 v26, 8, v8
	v_mad_u64_u32 v[7:8], s[18:19], v94, 22, v[5:6]
	v_mad_u64_u32 v[9:10], s[18:19], v96, 22, v[5:6]
	v_add_co_u32_e32 v11, vcc, v7, v67
	v_mad_u64_u32 v[15:16], s[18:19], v98, 22, v[5:6]
	v_addc_co_u32_e32 v12, vcc, 0, v8, vcc
	v_add_co_u32_e32 v13, vcc, v9, v67
	v_mad_u64_u32 v[5:6], s[18:19], v100, 22, v[5:6]
	v_addc_co_u32_e32 v14, vcc, 0, v10, vcc
	v_add_co_u32_e32 v17, vcc, v15, v67
	v_addc_co_u32_e32 v18, vcc, 0, v16, vcc
	v_add_co_u32_e32 v19, vcc, v5, v67
	v_addc_co_u32_e32 v20, vcc, 0, v6, vcc
	global_load_dword v11, v[11:12], off offset:6
	s_nop 0
	global_load_dword v12, v[13:14], off offset:6
	s_nop 0
	global_load_dword v13, v[17:18], off offset:6
	global_load_dword v14, v[19:20], off offset:6
	s_nop 0
	global_load_dword v17, v[5:6], off offset:2
	s_nop 0
	global_load_dword v5, v[15:16], off offset:2
	global_load_dword v6, v[9:10], off offset:2
	s_nop 0
	global_load_dword v7, v[7:8], off offset:2
	v_and_b32_sdwa v9, v24, s15 dst_sel:DWORD dst_unused:UNUSED_PAD src0_sel:WORD_1 src1_sel:DWORD
	v_lshlrev_b16_sdwa v10, v138, v24 dst_sel:DWORD dst_unused:UNUSED_PAD src0_sel:DWORD src1_sel:WORD_1
	v_add_u16_e32 v8, 0xf000, v26
	v_add_u16_e32 v9, 0xf000, v9
	;; [unrolled: 1-line block ×3, first 2 shown]
	v_perm_b32 v8, v8, v25, s16
	v_perm_b32 v9, v10, v9, s16
	v_lshl_or_b32 v8, v9, 16, v8
	v_lshrrev_b32_e32 v9, 4, v27
	v_lshrrev_b32_e32 v10, 12, v23
	;; [unrolled: 1-line block ×3, first 2 shown]
	v_and_b32_e32 v9, 0xf0f0f0f, v9
	v_and_b32_e32 v10, 16, v10
	;; [unrolled: 1-line block ×3, first 2 shown]
	v_or3_b32 v10, v10, v9, v15
	v_lshlrev_b32_e32 v15, 2, v23
	v_lshlrev_b32_e32 v16, 9, v23
	v_and_b32_e32 v15, 0x100000, v15
	v_and_b32_e32 v16, 0x10000000, v16
	v_or3_b32 v9, v9, v15, v16
	v_and_b32_sdwa v15, v9, s15 dst_sel:DWORD dst_unused:UNUSED_PAD src0_sel:WORD_1 src1_sel:DWORD
	v_lshlrev_b16_sdwa v9, v138, v9 dst_sel:DWORD dst_unused:UNUSED_PAD src0_sel:DWORD src1_sel:WORD_1
	v_add_u16_e32 v15, 0xf000, v15
	v_add_u16_e32 v9, 0xf000, v9
	v_perm_b32 v9, v9, v15, s16
	v_and_b32_e32 v15, 0x1f00, v10
	v_lshlrev_b16_e32 v10, 8, v10
	v_add_u16_e32 v10, 0xf000, v10
	v_or_b32_sdwa v10, v15, v10 dst_sel:DWORD dst_unused:UNUSED_PAD src0_sel:DWORD src1_sel:BYTE_1
	v_add_u16_e32 v10, 0xf000, v10
	v_lshl_or_b32 v9, v9, 16, v10
	ds_write2_b32 v90, v8, v9 offset1:1
	v_ashrrev_i32_e32 v8, v67, v22
	v_lshlrev_b32_e32 v10, 4, v8
	v_lshlrev_b32_e32 v15, 11, v8
	v_and_b32_e32 v9, 0xf0f0f0f, v21
	v_and_b32_e32 v10, 16, v10
	;; [unrolled: 1-line block ×3, first 2 shown]
	v_or3_b32 v10, v10, v9, v15
	v_lshlrev_b32_e32 v15, 18, v8
	v_lshlrev_b32_e32 v16, 25, v8
	v_and_b32_e32 v15, 0x100000, v15
	v_and_b32_e32 v16, 0x10000000, v16
	v_or3_b32 v9, v9, v15, v16
	v_and_b32_e32 v15, 0x1f00, v10
	v_lshlrev_b16_e32 v10, 8, v10
	v_add_u16_e32 v15, 0xf000, v15
	v_add_u16_e32 v10, 0xf000, v10
	v_perm_b32 v10, v10, v15, s16
	v_and_b32_sdwa v15, v9, s15 dst_sel:DWORD dst_unused:UNUSED_PAD src0_sel:WORD_1 src1_sel:DWORD
	v_lshlrev_b16_sdwa v9, v138, v9 dst_sel:DWORD dst_unused:UNUSED_PAD src0_sel:DWORD src1_sel:WORD_1
	v_add_u16_e32 v15, 0xf000, v15
	v_add_u16_e32 v9, 0xf000, v9
	v_perm_b32 v9, v9, v15, s16
	v_lshl_or_b32 v9, v9, 16, v10
	v_lshrrev_b32_e32 v10, 4, v21
	v_lshrrev_b32_e32 v15, 12, v8
	;; [unrolled: 1-line block ×3, first 2 shown]
	v_and_b32_e32 v10, 0xf0f0f0f, v10
	v_and_b32_e32 v15, 16, v15
	;; [unrolled: 1-line block ×3, first 2 shown]
	v_or3_b32 v15, v15, v10, v16
	v_lshlrev_b32_e32 v16, 2, v8
	v_lshlrev_b32_e32 v8, 9, v8
	v_and_b32_e32 v16, 0x100000, v16
	v_and_b32_e32 v8, 0x10000000, v8
	v_or3_b32 v8, v10, v16, v8
	v_and_b32_sdwa v10, v8, s15 dst_sel:DWORD dst_unused:UNUSED_PAD src0_sel:WORD_1 src1_sel:DWORD
	v_lshlrev_b16_sdwa v8, v138, v8 dst_sel:DWORD dst_unused:UNUSED_PAD src0_sel:DWORD src1_sel:WORD_1
	v_add_u16_e32 v10, 0xf000, v10
	v_add_u16_e32 v8, 0xf000, v8
	v_perm_b32 v8, v8, v10, s16
	v_and_b32_e32 v10, 0x1f00, v15
	v_lshlrev_b16_e32 v15, 8, v15
	v_add_u16_e32 v15, 0xf000, v15
	v_or_b32_sdwa v10, v10, v15 dst_sel:DWORD dst_unused:UNUSED_PAD src0_sel:DWORD src1_sel:BYTE_1
	v_add_u16_e32 v10, 0xf000, v10
	v_lshl_or_b32 v8, v8, 16, v10
	ds_write2_b32 v93, v9, v8 offset1:1
	s_waitcnt vmcnt(0)
	v_ashrrev_i32_e32 v7, v67, v7
	v_lshlrev_b32_e32 v9, 4, v7
	v_lshlrev_b32_e32 v10, 11, v7
	v_and_b32_e32 v8, 0xf0f0f0f, v11
	v_and_b32_e32 v9, 16, v9
	;; [unrolled: 1-line block ×3, first 2 shown]
	v_or3_b32 v9, v9, v8, v10
	v_lshlrev_b32_e32 v10, 18, v7
	v_lshlrev_b32_e32 v15, 25, v7
	v_and_b32_e32 v10, 0x100000, v10
	v_and_b32_e32 v15, 0x10000000, v15
	v_or3_b32 v8, v8, v10, v15
	v_and_b32_e32 v10, 0x1f00, v9
	v_lshlrev_b16_e32 v9, 8, v9
	v_add_u16_e32 v10, 0xf000, v10
	v_add_u16_e32 v9, 0xf000, v9
	v_perm_b32 v9, v9, v10, s16
	v_and_b32_sdwa v10, v8, s15 dst_sel:DWORD dst_unused:UNUSED_PAD src0_sel:WORD_1 src1_sel:DWORD
	v_lshlrev_b16_sdwa v8, v138, v8 dst_sel:DWORD dst_unused:UNUSED_PAD src0_sel:DWORD src1_sel:WORD_1
	v_add_u16_e32 v10, 0xf000, v10
	v_add_u16_e32 v8, 0xf000, v8
	v_perm_b32 v8, v8, v10, s16
	v_lshl_or_b32 v8, v8, 16, v9
	v_lshrrev_b32_e32 v9, 4, v11
	v_lshrrev_b32_e32 v10, 12, v7
	;; [unrolled: 1-line block ×3, first 2 shown]
	v_and_b32_e32 v9, 0xf0f0f0f, v9
	v_and_b32_e32 v10, 16, v10
	v_and_b32_e32 v11, 0x1000, v11
	v_or3_b32 v10, v10, v9, v11
	v_lshlrev_b32_e32 v11, 2, v7
	v_lshlrev_b32_e32 v7, 9, v7
	v_and_b32_e32 v11, 0x100000, v11
	v_and_b32_e32 v7, 0x10000000, v7
	v_or3_b32 v7, v9, v11, v7
	v_and_b32_sdwa v9, v7, s15 dst_sel:DWORD dst_unused:UNUSED_PAD src0_sel:WORD_1 src1_sel:DWORD
	v_lshlrev_b16_sdwa v7, v138, v7 dst_sel:DWORD dst_unused:UNUSED_PAD src0_sel:DWORD src1_sel:WORD_1
	v_add_u16_e32 v9, 0xf000, v9
	v_add_u16_e32 v7, 0xf000, v7
	v_perm_b32 v7, v7, v9, s16
	v_and_b32_e32 v9, 0x1f00, v10
	v_lshlrev_b16_e32 v10, 8, v10
	v_add_u16_e32 v10, 0xf000, v10
	v_or_b32_sdwa v9, v9, v10 dst_sel:DWORD dst_unused:UNUSED_PAD src0_sel:DWORD src1_sel:BYTE_1
	v_add_u16_e32 v9, 0xf000, v9
	v_lshl_or_b32 v7, v7, 16, v9
	v_ashrrev_i32_e32 v6, v67, v6
	ds_write2_b32 v95, v8, v7 offset1:1
	v_lshlrev_b32_e32 v8, 4, v6
	v_lshlrev_b32_e32 v9, 11, v6
	v_and_b32_e32 v7, 0xf0f0f0f, v12
	v_and_b32_e32 v8, 16, v8
	v_and_b32_e32 v9, 0x1000, v9
	v_or3_b32 v8, v8, v7, v9
	v_lshlrev_b32_e32 v9, 18, v6
	v_lshlrev_b32_e32 v10, 25, v6
	v_and_b32_e32 v9, 0x100000, v9
	v_and_b32_e32 v10, 0x10000000, v10
	v_or3_b32 v7, v7, v9, v10
	v_and_b32_e32 v9, 0x1f00, v8
	v_lshlrev_b16_e32 v8, 8, v8
	v_add_u16_e32 v9, 0xf000, v9
	v_add_u16_e32 v8, 0xf000, v8
	v_perm_b32 v8, v8, v9, s16
	v_and_b32_sdwa v9, v7, s15 dst_sel:DWORD dst_unused:UNUSED_PAD src0_sel:WORD_1 src1_sel:DWORD
	v_lshlrev_b16_sdwa v7, v138, v7 dst_sel:DWORD dst_unused:UNUSED_PAD src0_sel:DWORD src1_sel:WORD_1
	v_add_u16_e32 v9, 0xf000, v9
	v_add_u16_e32 v7, 0xf000, v7
	v_perm_b32 v7, v7, v9, s16
	v_lshl_or_b32 v7, v7, 16, v8
	v_lshrrev_b32_e32 v8, 4, v12
	v_lshrrev_b32_e32 v9, 12, v6
	;; [unrolled: 1-line block ×3, first 2 shown]
	v_and_b32_e32 v8, 0xf0f0f0f, v8
	v_and_b32_e32 v9, 16, v9
	;; [unrolled: 1-line block ×3, first 2 shown]
	v_or3_b32 v9, v9, v8, v10
	v_lshlrev_b32_e32 v10, 2, v6
	v_lshlrev_b32_e32 v6, 9, v6
	v_and_b32_e32 v10, 0x100000, v10
	v_and_b32_e32 v6, 0x10000000, v6
	v_or3_b32 v6, v8, v10, v6
	v_and_b32_sdwa v8, v6, s15 dst_sel:DWORD dst_unused:UNUSED_PAD src0_sel:WORD_1 src1_sel:DWORD
	v_lshlrev_b16_sdwa v6, v138, v6 dst_sel:DWORD dst_unused:UNUSED_PAD src0_sel:DWORD src1_sel:WORD_1
	v_add_u16_e32 v8, 0xf000, v8
	v_add_u16_e32 v6, 0xf000, v6
	v_perm_b32 v6, v6, v8, s16
	v_and_b32_e32 v8, 0x1f00, v9
	v_lshlrev_b16_e32 v9, 8, v9
	v_add_u16_e32 v9, 0xf000, v9
	v_or_b32_sdwa v8, v8, v9 dst_sel:DWORD dst_unused:UNUSED_PAD src0_sel:DWORD src1_sel:BYTE_1
	v_add_u16_e32 v8, 0xf000, v8
	v_lshl_or_b32 v6, v6, 16, v8
	v_ashrrev_i32_e32 v11, v67, v5
	ds_write2_b32 v97, v7, v6 offset1:1
	v_lshlrev_b32_e32 v6, 4, v11
	v_lshlrev_b32_e32 v7, 11, v11
	v_and_b32_e32 v5, 0xf0f0f0f, v13
	v_and_b32_e32 v6, 16, v6
	;; [unrolled: 1-line block ×3, first 2 shown]
	v_or3_b32 v7, v6, v5, v7
	v_lshlrev_b32_e32 v6, 18, v11
	v_lshlrev_b32_e32 v8, 25, v11
	v_and_b32_e32 v6, 0x100000, v6
	v_and_b32_e32 v8, 0x10000000, v8
	v_or3_b32 v12, v5, v6, v8
	v_mad_u64_u32 v[5:6], s[0:1], v102, 22, s[0:1]
	v_and_b32_e32 v8, 0x1f00, v7
	v_add_u16_e32 v9, 0xf000, v8
	v_lshlrev_b16_e32 v10, 8, v7
	v_mad_u64_u32 v[7:8], s[0:1], v104, 22, v[5:6]
	v_add_u16_e32 v10, 0xf000, v10
	v_perm_b32 v15, v10, v9, s16
	global_load_ushort v18, v[7:8], off
	v_mad_u64_u32 v[7:8], s[0:1], v106, 22, v[5:6]
	v_mad_u64_u32 v[9:10], s[0:1], v107, 22, v[5:6]
	;; [unrolled: 1-line block ×3, first 2 shown]
	global_load_ushort v7, v[7:8], off
	s_nop 0
	global_load_ushort v8, v[9:10], off
	v_and_b32_sdwa v16, v12, s15 dst_sel:DWORD dst_unused:UNUSED_PAD src0_sel:WORD_1 src1_sel:DWORD
	global_load_ushort v5, v[5:6], off
	v_lshlrev_b16_sdwa v6, v138, v12 dst_sel:DWORD dst_unused:UNUSED_PAD src0_sel:DWORD src1_sel:WORD_1
	v_add_u16_e32 v9, 0xf000, v16
	v_add_u16_e32 v6, 0xf000, v6
	v_perm_b32 v6, v6, v9, s16
	v_lshrrev_b32_e32 v9, 4, v13
	v_lshrrev_b32_e32 v10, 12, v11
	;; [unrolled: 1-line block ×3, first 2 shown]
	v_and_b32_e32 v9, 0xf0f0f0f, v9
	v_and_b32_e32 v10, 16, v10
	;; [unrolled: 1-line block ×3, first 2 shown]
	v_or3_b32 v10, v10, v9, v12
	v_lshlrev_b32_e32 v12, 2, v11
	v_lshlrev_b32_e32 v11, 9, v11
	v_and_b32_e32 v12, 0x100000, v12
	v_and_b32_e32 v11, 0x10000000, v11
	v_or3_b32 v9, v9, v12, v11
	v_and_b32_sdwa v11, v9, s15 dst_sel:DWORD dst_unused:UNUSED_PAD src0_sel:WORD_1 src1_sel:DWORD
	v_lshlrev_b16_sdwa v9, v138, v9 dst_sel:DWORD dst_unused:UNUSED_PAD src0_sel:DWORD src1_sel:WORD_1
	v_add_u16_e32 v11, 0xf000, v11
	v_add_u16_e32 v9, 0xf000, v9
	v_perm_b32 v9, v9, v11, s16
	v_and_b32_e32 v11, 0x1f00, v10
	v_lshlrev_b16_e32 v10, 8, v10
	v_add_u16_e32 v10, 0xf000, v10
	v_or_b32_sdwa v10, v11, v10 dst_sel:DWORD dst_unused:UNUSED_PAD src0_sel:DWORD src1_sel:BYTE_1
	v_add_u16_e32 v10, 0xf000, v10
	v_lshl_or_b32 v6, v6, 16, v15
	v_lshl_or_b32 v9, v9, 16, v10
	ds_write2_b32 v99, v6, v9 offset1:1
	v_ashrrev_i32_e32 v6, v67, v17
	v_lshlrev_b32_e32 v10, 4, v6
	v_lshlrev_b32_e32 v11, 11, v6
	v_and_b32_e32 v9, 0xf0f0f0f, v14
	v_and_b32_e32 v10, 16, v10
	;; [unrolled: 1-line block ×3, first 2 shown]
	v_or3_b32 v10, v10, v9, v11
	v_lshlrev_b32_e32 v11, 18, v6
	v_lshlrev_b32_e32 v12, 25, v6
	v_and_b32_e32 v11, 0x100000, v11
	v_and_b32_e32 v12, 0x10000000, v12
	v_or3_b32 v9, v9, v11, v12
	v_and_b32_e32 v11, 0x1f00, v10
	v_lshlrev_b16_e32 v10, 8, v10
	v_add_u16_e32 v11, 0xf000, v11
	v_add_u16_e32 v10, 0xf000, v10
	v_perm_b32 v10, v10, v11, s16
	v_and_b32_sdwa v11, v9, s15 dst_sel:DWORD dst_unused:UNUSED_PAD src0_sel:WORD_1 src1_sel:DWORD
	v_lshlrev_b16_sdwa v9, v138, v9 dst_sel:DWORD dst_unused:UNUSED_PAD src0_sel:DWORD src1_sel:WORD_1
	v_add_u16_e32 v11, 0xf000, v11
	v_add_u16_e32 v9, 0xf000, v9
	v_perm_b32 v9, v9, v11, s16
	v_lshl_or_b32 v9, v9, 16, v10
	v_lshrrev_b32_e32 v10, 4, v14
	v_lshrrev_b32_e32 v11, 12, v6
	;; [unrolled: 1-line block ×3, first 2 shown]
	v_and_b32_e32 v10, 0xf0f0f0f, v10
	v_and_b32_e32 v11, 16, v11
	;; [unrolled: 1-line block ×3, first 2 shown]
	v_or3_b32 v11, v11, v10, v12
	v_lshlrev_b32_e32 v12, 2, v6
	v_lshlrev_b32_e32 v6, 9, v6
	v_and_b32_e32 v12, 0x100000, v12
	v_and_b32_e32 v6, 0x10000000, v6
	v_or3_b32 v6, v10, v12, v6
	v_and_b32_sdwa v10, v6, s15 dst_sel:DWORD dst_unused:UNUSED_PAD src0_sel:WORD_1 src1_sel:DWORD
	v_lshlrev_b16_sdwa v6, v138, v6 dst_sel:DWORD dst_unused:UNUSED_PAD src0_sel:DWORD src1_sel:WORD_1
	v_add_u16_e32 v10, 0xf000, v10
	v_add_u16_e32 v6, 0xf000, v6
	v_perm_b32 v6, v6, v10, s16
	v_and_b32_e32 v10, 0x1f00, v11
	v_lshlrev_b16_e32 v11, 8, v11
	v_add_u16_e32 v11, 0xf000, v11
	v_or_b32_sdwa v10, v10, v11 dst_sel:DWORD dst_unused:UNUSED_PAD src0_sel:DWORD src1_sel:BYTE_1
	v_add_u16_e32 v10, 0xf000, v10
	v_lshl_or_b32 v6, v6, 16, v10
	s_waitcnt vmcnt(3)
	v_cvt_f32_f16_e32 v10, v18
	ds_write2_b32 v101, v9, v6 offset1:1
	s_waitcnt vmcnt(2)
	v_cvt_f32_f16_e32 v6, v7
	s_waitcnt vmcnt(1)
	v_cvt_f32_f16_e32 v7, v8
	;; [unrolled: 2-line block ×3, first 2 shown]
	ds_write_b32 v134, v10
	ds_write_b32 v135, v6
	;; [unrolled: 1-line block ×4, first 2 shown]
	s_cbranch_scc0 .LBB161_5
; %bb.7:                                ;   in Loop: Header=BB161_6 Depth=1
	v_add_u32_e32 v146, s14, v2
	v_add_u32_e32 v21, s14, v103
	;; [unrolled: 1-line block ×3, first 2 shown]
	v_mad_u64_u32 v[19:20], s[0:1], v146, 36, s[2:3]
	v_mad_i64_i32 v[5:6], s[0:1], v5, 36, v[3:4]
	v_add_u32_e32 v7, v21, v114
	v_mad_i64_i32 v[7:8], s[0:1], v7, 36, v[3:4]
	v_add_u32_e32 v9, v21, v115
	v_add_u32_e32 v11, v21, v116
	v_mad_i64_i32 v[9:10], s[0:1], v9, 36, v[3:4]
	v_mad_i64_i32 v[11:12], s[0:1], v11, 36, v[3:4]
	v_add_u32_e32 v13, v21, v117
	v_add_u32_e32 v15, v21, v118
	;; [unrolled: 1-line block ×4, first 2 shown]
	v_mad_i64_i32 v[13:14], s[0:1], v13, 36, v[3:4]
	v_mad_i64_i32 v[15:16], s[0:1], v15, 36, v[3:4]
	;; [unrolled: 1-line block ×4, first 2 shown]
	global_load_dword v19, v[19:20], off
	s_nop 0
	global_load_dword v5, v[5:6], off offset:4
	s_nop 0
	global_load_dword v6, v[7:8], off offset:4
	;; [unrolled: 2-line block ×3, first 2 shown]
	global_load_dword v8, v[11:12], off offset:4
	s_nop 0
	global_load_dword v9, v[13:14], off offset:4
	global_load_dword v10, v[15:16], off offset:4
	;; [unrolled: 1-line block ×4, first 2 shown]
	v_add_u32_e32 v147, v110, v113
	s_mov_b32 s0, -4
	v_mov_b32_e32 v148, v128
	v_mov_b32_e32 v149, v121
	v_mov_b32_e32 v150, v127
	v_mov_b32_e32 v151, v126
	v_mov_b32_e32 v152, v125
	v_mov_b32_e32 v153, v124
	v_mov_b32_e32 v154, v123
	s_waitcnt vmcnt(8)
	v_cvt_f32_f16_e32 v13, v19
	s_waitcnt vmcnt(7)
	ds_write_b32 v147, v5
	s_waitcnt vmcnt(6)
	ds_write_b32 v139, v6
	;; [unrolled: 2-line block ×8, first 2 shown]
	ds_write_b32 v111, v13
	s_waitcnt lgkmcnt(0)
	s_barrier
.LBB161_8:                              ;   Parent Loop BB161_6 Depth=1
                                        ; =>  This Inner Loop Header: Depth=2
	ds_read_b128 v[159:162], v148
	ds_read_b128 v[163:166], v148 offset:16
	ds_read2_b32 v[167:168], v150 offset1:32
	ds_read_b32 v155, v151
	ds_read2_b32 v[5:6], v149 offset1:1
	s_add_i32 s0, s0, 4
	v_add_u32_e32 v151, 4, v151
	s_cmp_lt_u32 s0, 12
	s_waitcnt lgkmcnt(1)
	v_mul_f32_e32 v14, v167, v155
	s_waitcnt lgkmcnt(0)
	v_dot4_i32_i8 v7, v5, v159, 0
	v_dot4_i32_i8 v9, v6, v163, v7
	ds_read2_b32 v[7:8], v149 offset0:2 offset1:3
	v_mul_f32_e32 v169, v155, v168
	s_waitcnt lgkmcnt(0)
	v_dot4_i32_i8 v9, v7, v160, v9
	v_dot4_i32_i8 v11, v8, v164, v9
	ds_read2_b32 v[9:10], v149 offset0:4 offset1:5
	s_waitcnt lgkmcnt(0)
	v_dot4_i32_i8 v11, v9, v161, v11
	v_dot4_i32_i8 v13, v10, v165, v11
	ds_read2_b32 v[11:12], v149 offset0:6 offset1:7
	s_waitcnt lgkmcnt(0)
	v_dot4_i32_i8 v13, v11, v162, v13
	v_dot4_i32_i8 v13, v12, v166, v13
	v_cvt_f32_i32_e32 v13, v13
	v_fmac_f32_e32 v62, v14, v13
	v_add_u32_e32 v13, 0x2080, v149
	ds_read_b32 v156, v152
	ds_read2_b32 v[13:14], v13 offset1:1
	v_add_u32_e32 v152, 4, v152
	s_waitcnt lgkmcnt(1)
	v_mul_f32_e32 v22, v167, v156
	s_waitcnt lgkmcnt(0)
	v_dot4_i32_i8 v15, v13, v159, 0
	v_dot4_i32_i8 v17, v14, v163, v15
	v_add_u32_e32 v15, 0x2088, v149
	ds_read2_b32 v[15:16], v15 offset1:1
	s_waitcnt lgkmcnt(0)
	v_dot4_i32_i8 v17, v15, v160, v17
	v_dot4_i32_i8 v19, v16, v164, v17
	v_add_u32_e32 v17, 0x2090, v149
	ds_read2_b32 v[17:18], v17 offset1:1
	s_waitcnt lgkmcnt(0)
	v_dot4_i32_i8 v19, v17, v161, v19
	v_dot4_i32_i8 v21, v18, v165, v19
	v_add_u32_e32 v19, 0x2098, v149
	ds_read2_b32 v[19:20], v19 offset1:1
	s_waitcnt lgkmcnt(0)
	v_dot4_i32_i8 v21, v19, v162, v21
	v_dot4_i32_i8 v21, v20, v166, v21
	v_cvt_f32_i32_e32 v21, v21
	v_fmac_f32_e32 v109, v22, v21
	v_add_u32_e32 v21, 0x4100, v149
	ds_read_b32 v157, v153
	ds_read2_b32 v[21:22], v21 offset1:1
	v_add_u32_e32 v153, 4, v153
	s_waitcnt lgkmcnt(1)
	v_mul_f32_e32 v30, v167, v157
	s_waitcnt lgkmcnt(0)
	v_dot4_i32_i8 v23, v21, v159, 0
	v_dot4_i32_i8 v25, v22, v163, v23
	v_add_u32_e32 v23, 0x4108, v149
	ds_read2_b32 v[23:24], v23 offset1:1
	s_waitcnt lgkmcnt(0)
	v_dot4_i32_i8 v25, v23, v160, v25
	v_dot4_i32_i8 v27, v24, v164, v25
	v_add_u32_e32 v25, 0x4110, v149
	ds_read2_b32 v[25:26], v25 offset1:1
	;; [unrolled: 5-line block ×3, first 2 shown]
	s_waitcnt lgkmcnt(0)
	v_dot4_i32_i8 v29, v27, v162, v29
	v_dot4_i32_i8 v29, v28, v166, v29
	v_cvt_f32_i32_e32 v29, v29
	v_fmac_f32_e32 v105, v30, v29
	v_add_u32_e32 v29, 0x6180, v149
	ds_read_b32 v158, v154
	ds_read2_b32 v[29:30], v29 offset1:1
	v_add_u32_e32 v154, 4, v154
	s_waitcnt lgkmcnt(0)
	v_dot4_i32_i8 v31, v29, v159, 0
	v_dot4_i32_i8 v33, v30, v163, v31
	v_add_u32_e32 v31, 0x6188, v149
	ds_read2_b32 v[31:32], v31 offset1:1
	s_waitcnt lgkmcnt(0)
	v_dot4_i32_i8 v33, v31, v160, v33
	v_dot4_i32_i8 v35, v32, v164, v33
	v_add_u32_e32 v33, 0x6190, v149
	ds_read2_b32 v[33:34], v33 offset1:1
	v_mul_f32_e32 v160, v167, v158
	s_waitcnt lgkmcnt(0)
	v_dot4_i32_i8 v35, v33, v161, v35
	v_dot4_i32_i8 v159, v34, v165, v35
	v_add_u32_e32 v35, 0x6198, v149
	ds_read2_b32 v[35:36], v35 offset1:1
	v_add_u32_e32 v149, 32, v149
	s_waitcnt lgkmcnt(0)
	v_dot4_i32_i8 v159, v35, v162, v159
	v_dot4_i32_i8 v159, v36, v166, v159
	v_cvt_f32_i32_e32 v159, v159
	v_fmac_f32_e32 v91, v160, v159
	ds_read_b128 v[159:162], v148 offset:1024
	ds_read_b128 v[163:166], v148 offset:1040
	s_waitcnt lgkmcnt(1)
	v_dot4_i32_i8 v167, v5, v159, 0
	s_waitcnt lgkmcnt(0)
	v_dot4_i32_i8 v167, v6, v163, v167
	v_dot4_i32_i8 v167, v7, v160, v167
	;; [unrolled: 1-line block ×7, first 2 shown]
	v_cvt_f32_i32_e32 v167, v167
	v_fmac_f32_e32 v68, v169, v167
	v_dot4_i32_i8 v167, v13, v159, 0
	v_dot4_i32_i8 v167, v14, v163, v167
	;; [unrolled: 1-line block ×8, first 2 shown]
	v_cvt_f32_i32_e32 v167, v167
	v_mul_f32_e32 v169, v156, v168
	v_fmac_f32_e32 v65, v169, v167
	v_dot4_i32_i8 v167, v21, v159, 0
	v_dot4_i32_i8 v159, v29, v159, 0
	;; [unrolled: 1-line block ×16, first 2 shown]
	v_cvt_f32_i32_e32 v167, v167
	v_cvt_f32_i32_e32 v159, v159
	v_mul_f32_e32 v169, v157, v168
	v_mul_f32_e32 v160, v158, v168
	v_fmac_f32_e32 v64, v169, v167
	v_fmac_f32_e32 v63, v160, v159
	ds_read_b128 v[159:162], v148 offset:2048
	ds_read_b128 v[163:166], v148 offset:2064
	ds_read2_b32 v[167:168], v150 offset0:64 offset1:96
	s_waitcnt lgkmcnt(2)
	v_dot4_i32_i8 v169, v5, v159, 0
	s_waitcnt lgkmcnt(1)
	v_dot4_i32_i8 v169, v6, v163, v169
	v_dot4_i32_i8 v169, v7, v160, v169
	;; [unrolled: 1-line block ×7, first 2 shown]
	v_cvt_f32_i32_e32 v169, v169
	s_waitcnt lgkmcnt(0)
	v_mul_f32_e32 v170, v155, v167
	v_fmac_f32_e32 v61, v170, v169
	v_dot4_i32_i8 v169, v13, v159, 0
	v_dot4_i32_i8 v169, v14, v163, v169
	;; [unrolled: 1-line block ×8, first 2 shown]
	v_cvt_f32_i32_e32 v169, v169
	v_mul_f32_e32 v170, v156, v167
	v_fmac_f32_e32 v59, v170, v169
	v_dot4_i32_i8 v169, v21, v159, 0
	v_dot4_i32_i8 v159, v29, v159, 0
	;; [unrolled: 1-line block ×12, first 2 shown]
	v_cvt_f32_i32_e32 v159, v159
	v_dot4_i32_i8 v169, v25, v161, v169
	v_dot4_i32_i8 v169, v26, v165, v169
	;; [unrolled: 1-line block ×3, first 2 shown]
	v_mul_f32_e32 v160, v158, v167
	v_dot4_i32_i8 v169, v28, v166, v169
	v_fmac_f32_e32 v57, v160, v159
	ds_read_b128 v[159:162], v148 offset:3072
	ds_read_b128 v[163:166], v148 offset:3088
	v_mul_f32_e32 v170, v157, v167
	v_cvt_f32_i32_e32 v169, v169
	s_waitcnt lgkmcnt(1)
	v_dot4_i32_i8 v167, v5, v159, 0
	s_waitcnt lgkmcnt(0)
	v_dot4_i32_i8 v167, v6, v163, v167
	v_dot4_i32_i8 v167, v7, v160, v167
	;; [unrolled: 1-line block ×7, first 2 shown]
	v_cvt_f32_i32_e32 v167, v167
	v_fmac_f32_e32 v58, v170, v169
	v_mul_f32_e32 v169, v155, v168
	v_fmac_f32_e32 v56, v169, v167
	v_dot4_i32_i8 v167, v13, v159, 0
	v_dot4_i32_i8 v167, v14, v163, v167
	;; [unrolled: 1-line block ×8, first 2 shown]
	v_cvt_f32_i32_e32 v167, v167
	v_mul_f32_e32 v169, v156, v168
	v_fmac_f32_e32 v55, v169, v167
	v_dot4_i32_i8 v167, v21, v159, 0
	v_dot4_i32_i8 v159, v29, v159, 0
	;; [unrolled: 1-line block ×16, first 2 shown]
	v_cvt_f32_i32_e32 v167, v167
	v_cvt_f32_i32_e32 v159, v159
	v_mul_f32_e32 v169, v157, v168
	v_mul_f32_e32 v160, v158, v168
	v_fmac_f32_e32 v54, v169, v167
	v_fmac_f32_e32 v53, v160, v159
	ds_read_b128 v[159:162], v148 offset:4096
	ds_read_b128 v[163:166], v148 offset:4112
	ds_read2_b32 v[167:168], v150 offset0:128 offset1:160
	s_waitcnt lgkmcnt(2)
	v_dot4_i32_i8 v169, v5, v159, 0
	s_waitcnt lgkmcnt(1)
	v_dot4_i32_i8 v169, v6, v163, v169
	v_dot4_i32_i8 v169, v7, v160, v169
	;; [unrolled: 1-line block ×7, first 2 shown]
	v_cvt_f32_i32_e32 v169, v169
	s_waitcnt lgkmcnt(0)
	v_mul_f32_e32 v170, v155, v167
	v_fmac_f32_e32 v52, v170, v169
	v_dot4_i32_i8 v169, v13, v159, 0
	v_dot4_i32_i8 v169, v14, v163, v169
	;; [unrolled: 1-line block ×8, first 2 shown]
	v_cvt_f32_i32_e32 v169, v169
	v_mul_f32_e32 v170, v156, v167
	v_fmac_f32_e32 v51, v170, v169
	v_dot4_i32_i8 v169, v21, v159, 0
	v_dot4_i32_i8 v159, v29, v159, 0
	;; [unrolled: 1-line block ×12, first 2 shown]
	v_cvt_f32_i32_e32 v159, v159
	v_dot4_i32_i8 v169, v25, v161, v169
	v_dot4_i32_i8 v169, v26, v165, v169
	;; [unrolled: 1-line block ×3, first 2 shown]
	v_mul_f32_e32 v160, v158, v167
	v_dot4_i32_i8 v169, v28, v166, v169
	v_fmac_f32_e32 v49, v160, v159
	ds_read_b128 v[159:162], v148 offset:5120
	ds_read_b128 v[163:166], v148 offset:5136
	v_mul_f32_e32 v170, v157, v167
	v_cvt_f32_i32_e32 v169, v169
	s_waitcnt lgkmcnt(1)
	v_dot4_i32_i8 v167, v5, v159, 0
	s_waitcnt lgkmcnt(0)
	v_dot4_i32_i8 v167, v6, v163, v167
	v_dot4_i32_i8 v167, v7, v160, v167
	;; [unrolled: 1-line block ×7, first 2 shown]
	v_cvt_f32_i32_e32 v167, v167
	v_fmac_f32_e32 v50, v170, v169
	v_mul_f32_e32 v169, v155, v168
	v_fmac_f32_e32 v48, v169, v167
	v_dot4_i32_i8 v167, v13, v159, 0
	v_dot4_i32_i8 v167, v14, v163, v167
	;; [unrolled: 1-line block ×8, first 2 shown]
	v_cvt_f32_i32_e32 v167, v167
	v_mul_f32_e32 v169, v156, v168
	v_fmac_f32_e32 v47, v169, v167
	v_dot4_i32_i8 v167, v21, v159, 0
	v_dot4_i32_i8 v159, v29, v159, 0
	;; [unrolled: 1-line block ×16, first 2 shown]
	v_cvt_f32_i32_e32 v167, v167
	v_cvt_f32_i32_e32 v159, v159
	v_mul_f32_e32 v169, v157, v168
	v_mul_f32_e32 v160, v158, v168
	v_fmac_f32_e32 v46, v169, v167
	v_fmac_f32_e32 v45, v160, v159
	ds_read_b128 v[159:162], v148 offset:6144
	ds_read_b128 v[163:166], v148 offset:6160
	ds_read2_b32 v[167:168], v150 offset0:192 offset1:224
	v_add_u32_e32 v150, 4, v150
	s_waitcnt lgkmcnt(2)
	v_dot4_i32_i8 v169, v5, v159, 0
	s_waitcnt lgkmcnt(1)
	v_dot4_i32_i8 v169, v6, v163, v169
	v_dot4_i32_i8 v169, v7, v160, v169
	;; [unrolled: 1-line block ×7, first 2 shown]
	v_cvt_f32_i32_e32 v169, v169
	s_waitcnt lgkmcnt(0)
	v_mul_f32_e32 v170, v155, v167
	v_fmac_f32_e32 v44, v170, v169
	v_dot4_i32_i8 v169, v13, v159, 0
	v_dot4_i32_i8 v169, v14, v163, v169
	;; [unrolled: 1-line block ×8, first 2 shown]
	v_cvt_f32_i32_e32 v169, v169
	v_mul_f32_e32 v170, v156, v167
	v_fmac_f32_e32 v43, v170, v169
	v_dot4_i32_i8 v169, v21, v159, 0
	v_dot4_i32_i8 v159, v29, v159, 0
	;; [unrolled: 1-line block ×12, first 2 shown]
	v_cvt_f32_i32_e32 v159, v159
	v_dot4_i32_i8 v169, v25, v161, v169
	v_dot4_i32_i8 v169, v26, v165, v169
	;; [unrolled: 1-line block ×3, first 2 shown]
	v_mul_f32_e32 v160, v158, v167
	v_dot4_i32_i8 v169, v28, v166, v169
	v_fmac_f32_e32 v41, v160, v159
	ds_read_b128 v[159:162], v148 offset:7168
	ds_read_b128 v[163:166], v148 offset:7184
	v_cvt_f32_i32_e32 v169, v169
	v_mul_f32_e32 v170, v157, v167
	v_add_u32_e32 v148, 32, v148
	s_waitcnt lgkmcnt(1)
	v_dot4_i32_i8 v5, v5, v159, 0
	s_waitcnt lgkmcnt(0)
	v_dot4_i32_i8 v5, v6, v163, v5
	v_dot4_i32_i8 v5, v7, v160, v5
	;; [unrolled: 1-line block ×7, first 2 shown]
	v_cvt_f32_i32_e32 v5, v5
	v_mul_f32_e32 v6, v155, v168
	v_fmac_f32_e32 v42, v170, v169
	v_fmac_f32_e32 v40, v6, v5
	v_dot4_i32_i8 v5, v13, v159, 0
	v_dot4_i32_i8 v5, v14, v163, v5
	v_dot4_i32_i8 v5, v15, v160, v5
	v_dot4_i32_i8 v5, v16, v164, v5
	v_dot4_i32_i8 v5, v17, v161, v5
	v_dot4_i32_i8 v5, v18, v165, v5
	v_dot4_i32_i8 v5, v19, v162, v5
	v_dot4_i32_i8 v5, v20, v166, v5
	v_cvt_f32_i32_e32 v5, v5
	v_mul_f32_e32 v6, v156, v168
	v_fmac_f32_e32 v39, v6, v5
	v_dot4_i32_i8 v5, v21, v159, 0
	v_dot4_i32_i8 v5, v22, v163, v5
	v_dot4_i32_i8 v5, v23, v160, v5
	v_dot4_i32_i8 v5, v24, v164, v5
	v_dot4_i32_i8 v5, v25, v161, v5
	v_dot4_i32_i8 v5, v26, v165, v5
	v_dot4_i32_i8 v5, v27, v162, v5
	v_dot4_i32_i8 v5, v28, v166, v5
	v_cvt_f32_i32_e32 v5, v5
	v_mul_f32_e32 v6, v157, v168
	;; [unrolled: 11-line block ×3, first 2 shown]
	v_fmac_f32_e32 v37, v6, v5
	s_cbranch_scc1 .LBB161_8
; %bb.9:                                ;   in Loop: Header=BB161_6 Depth=1
	s_and_b32 s0, s9, -4
	s_cmp_eq_u32 s0, 4
	s_barrier
	s_cbranch_scc1 .LBB161_5
; %bb.10:                               ;   in Loop: Header=BB161_6 Depth=1
	v_add_u32_e32 v21, s14, v122
	v_add_u32_e32 v19, 4, v146
	;; [unrolled: 1-line block ×3, first 2 shown]
	v_mad_u64_u32 v[19:20], s[0:1], v19, 36, s[2:3]
	v_mad_i64_i32 v[5:6], s[0:1], v5, 36, v[3:4]
	v_add_u32_e32 v7, v21, v114
	v_mad_i64_i32 v[7:8], s[0:1], v7, 36, v[3:4]
	v_add_u32_e32 v9, v21, v115
	v_add_u32_e32 v11, v21, v116
	v_mad_i64_i32 v[9:10], s[0:1], v9, 36, v[3:4]
	v_mad_i64_i32 v[11:12], s[0:1], v11, 36, v[3:4]
	v_add_u32_e32 v13, v21, v117
	v_add_u32_e32 v15, v21, v118
	;; [unrolled: 1-line block ×4, first 2 shown]
	v_mad_i64_i32 v[13:14], s[0:1], v13, 36, v[3:4]
	v_mad_i64_i32 v[15:16], s[0:1], v15, 36, v[3:4]
	;; [unrolled: 1-line block ×4, first 2 shown]
	global_load_dword v19, v[19:20], off
	s_nop 0
	global_load_dword v5, v[5:6], off offset:4
	s_nop 0
	global_load_dword v6, v[7:8], off offset:4
	;; [unrolled: 2-line block ×3, first 2 shown]
	global_load_dword v8, v[11:12], off offset:4
	s_nop 0
	global_load_dword v9, v[13:14], off offset:4
	global_load_dword v10, v[15:16], off offset:4
	;; [unrolled: 1-line block ×4, first 2 shown]
	s_mov_b32 s0, 12
	v_mov_b32_e32 v146, v127
	v_mov_b32_e32 v148, v128
	;; [unrolled: 1-line block ×6, first 2 shown]
	s_waitcnt vmcnt(8)
	v_cvt_f32_f16_e32 v13, v19
	s_waitcnt vmcnt(7)
	ds_write_b32 v147, v5
	s_waitcnt vmcnt(6)
	ds_write_b32 v139, v6
	s_waitcnt vmcnt(5)
	ds_write_b32 v140, v7
	s_waitcnt vmcnt(4)
	ds_write_b32 v141, v8
	s_waitcnt vmcnt(3)
	ds_write_b32 v142, v9
	s_waitcnt vmcnt(2)
	ds_write_b32 v143, v10
	s_waitcnt vmcnt(1)
	ds_write_b32 v144, v11
	s_waitcnt vmcnt(0)
	ds_write_b32 v145, v12
	ds_write_b32 v111, v13
	v_mov_b32_e32 v147, v129
	s_waitcnt lgkmcnt(0)
	s_barrier
.LBB161_11:                             ;   Parent Loop BB161_6 Depth=1
                                        ; =>  This Inner Loop Header: Depth=2
	ds_read_b128 v[157:160], v148
	ds_read_b128 v[161:164], v148 offset:16
	ds_read2_b32 v[165:166], v146 offset1:32
	ds_read_b32 v153, v150
	ds_read2_b32 v[5:6], v149 offset1:1
	s_add_i32 s0, s0, 4
	v_add_u32_e32 v150, 4, v150
	s_cmp_lt_u32 s0, 28
	s_waitcnt lgkmcnt(1)
	v_mul_f32_e32 v14, v165, v153
	s_waitcnt lgkmcnt(0)
	v_dot4_i32_i8 v7, v5, v157, 0
	v_dot4_i32_i8 v9, v6, v161, v7
	ds_read2_b32 v[7:8], v149 offset0:2 offset1:3
	v_mul_f32_e32 v167, v153, v166
	s_waitcnt lgkmcnt(0)
	v_dot4_i32_i8 v9, v7, v158, v9
	v_dot4_i32_i8 v11, v8, v162, v9
	ds_read2_b32 v[9:10], v149 offset0:4 offset1:5
	s_waitcnt lgkmcnt(0)
	v_dot4_i32_i8 v11, v9, v159, v11
	v_dot4_i32_i8 v13, v10, v163, v11
	ds_read2_b32 v[11:12], v149 offset0:6 offset1:7
	s_waitcnt lgkmcnt(0)
	v_dot4_i32_i8 v13, v11, v160, v13
	v_dot4_i32_i8 v13, v12, v164, v13
	v_cvt_f32_i32_e32 v13, v13
	v_fmac_f32_e32 v62, v14, v13
	v_add_u32_e32 v13, 0x2080, v149
	ds_read_b32 v154, v151
	ds_read2_b32 v[13:14], v13 offset1:1
	v_add_u32_e32 v151, 4, v151
	s_waitcnt lgkmcnt(1)
	v_mul_f32_e32 v22, v165, v154
	s_waitcnt lgkmcnt(0)
	v_dot4_i32_i8 v15, v13, v157, 0
	v_dot4_i32_i8 v17, v14, v161, v15
	v_add_u32_e32 v15, 0x2088, v149
	ds_read2_b32 v[15:16], v15 offset1:1
	s_waitcnt lgkmcnt(0)
	v_dot4_i32_i8 v17, v15, v158, v17
	v_dot4_i32_i8 v19, v16, v162, v17
	v_add_u32_e32 v17, 0x2090, v149
	ds_read2_b32 v[17:18], v17 offset1:1
	;; [unrolled: 5-line block ×3, first 2 shown]
	s_waitcnt lgkmcnt(0)
	v_dot4_i32_i8 v21, v19, v160, v21
	v_dot4_i32_i8 v21, v20, v164, v21
	v_cvt_f32_i32_e32 v21, v21
	v_fmac_f32_e32 v109, v22, v21
	v_add_u32_e32 v21, 0x4100, v149
	ds_read_b32 v155, v152
	ds_read2_b32 v[21:22], v21 offset1:1
	v_add_u32_e32 v152, 4, v152
	s_waitcnt lgkmcnt(1)
	v_mul_f32_e32 v30, v165, v155
	s_waitcnt lgkmcnt(0)
	v_dot4_i32_i8 v23, v21, v157, 0
	v_dot4_i32_i8 v25, v22, v161, v23
	v_add_u32_e32 v23, 0x4108, v149
	ds_read2_b32 v[23:24], v23 offset1:1
	s_waitcnt lgkmcnt(0)
	v_dot4_i32_i8 v25, v23, v158, v25
	v_dot4_i32_i8 v27, v24, v162, v25
	v_add_u32_e32 v25, 0x4110, v149
	ds_read2_b32 v[25:26], v25 offset1:1
	;; [unrolled: 5-line block ×3, first 2 shown]
	s_waitcnt lgkmcnt(0)
	v_dot4_i32_i8 v29, v27, v160, v29
	v_dot4_i32_i8 v29, v28, v164, v29
	v_cvt_f32_i32_e32 v29, v29
	v_fmac_f32_e32 v105, v30, v29
	v_add_u32_e32 v29, 0x6180, v149
	ds_read_b32 v156, v147
	ds_read2_b32 v[29:30], v29 offset1:1
	v_add_u32_e32 v147, 4, v147
	s_waitcnt lgkmcnt(0)
	v_dot4_i32_i8 v31, v29, v157, 0
	v_dot4_i32_i8 v33, v30, v161, v31
	v_add_u32_e32 v31, 0x6188, v149
	ds_read2_b32 v[31:32], v31 offset1:1
	s_waitcnt lgkmcnt(0)
	v_dot4_i32_i8 v33, v31, v158, v33
	v_dot4_i32_i8 v35, v32, v162, v33
	v_add_u32_e32 v33, 0x6190, v149
	ds_read2_b32 v[33:34], v33 offset1:1
	v_mul_f32_e32 v158, v165, v156
	s_waitcnt lgkmcnt(0)
	v_dot4_i32_i8 v35, v33, v159, v35
	v_dot4_i32_i8 v157, v34, v163, v35
	v_add_u32_e32 v35, 0x6198, v149
	ds_read2_b32 v[35:36], v35 offset1:1
	v_add_u32_e32 v149, 32, v149
	s_waitcnt lgkmcnt(0)
	v_dot4_i32_i8 v157, v35, v160, v157
	v_dot4_i32_i8 v157, v36, v164, v157
	v_cvt_f32_i32_e32 v157, v157
	v_fmac_f32_e32 v91, v158, v157
	ds_read_b128 v[157:160], v148 offset:1024
	ds_read_b128 v[161:164], v148 offset:1040
	s_waitcnt lgkmcnt(1)
	v_dot4_i32_i8 v165, v5, v157, 0
	s_waitcnt lgkmcnt(0)
	v_dot4_i32_i8 v165, v6, v161, v165
	v_dot4_i32_i8 v165, v7, v158, v165
	;; [unrolled: 1-line block ×7, first 2 shown]
	v_cvt_f32_i32_e32 v165, v165
	v_fmac_f32_e32 v68, v167, v165
	v_dot4_i32_i8 v165, v13, v157, 0
	v_dot4_i32_i8 v165, v14, v161, v165
	v_dot4_i32_i8 v165, v15, v158, v165
	v_dot4_i32_i8 v165, v16, v162, v165
	v_dot4_i32_i8 v165, v17, v159, v165
	v_dot4_i32_i8 v165, v18, v163, v165
	v_dot4_i32_i8 v165, v19, v160, v165
	v_dot4_i32_i8 v165, v20, v164, v165
	v_cvt_f32_i32_e32 v165, v165
	v_mul_f32_e32 v167, v154, v166
	v_fmac_f32_e32 v65, v167, v165
	v_dot4_i32_i8 v165, v21, v157, 0
	v_dot4_i32_i8 v157, v29, v157, 0
	;; [unrolled: 1-line block ×16, first 2 shown]
	v_cvt_f32_i32_e32 v165, v165
	v_cvt_f32_i32_e32 v157, v157
	v_mul_f32_e32 v167, v155, v166
	v_mul_f32_e32 v158, v156, v166
	v_fmac_f32_e32 v64, v167, v165
	v_fmac_f32_e32 v63, v158, v157
	ds_read_b128 v[157:160], v148 offset:2048
	ds_read_b128 v[161:164], v148 offset:2064
	ds_read2_b32 v[165:166], v146 offset0:64 offset1:96
	s_waitcnt lgkmcnt(2)
	v_dot4_i32_i8 v167, v5, v157, 0
	s_waitcnt lgkmcnt(1)
	v_dot4_i32_i8 v167, v6, v161, v167
	v_dot4_i32_i8 v167, v7, v158, v167
	;; [unrolled: 1-line block ×7, first 2 shown]
	v_cvt_f32_i32_e32 v167, v167
	s_waitcnt lgkmcnt(0)
	v_mul_f32_e32 v168, v153, v165
	v_fmac_f32_e32 v61, v168, v167
	v_dot4_i32_i8 v167, v13, v157, 0
	v_dot4_i32_i8 v167, v14, v161, v167
	;; [unrolled: 1-line block ×8, first 2 shown]
	v_cvt_f32_i32_e32 v167, v167
	v_mul_f32_e32 v168, v154, v165
	v_fmac_f32_e32 v59, v168, v167
	v_dot4_i32_i8 v167, v21, v157, 0
	v_dot4_i32_i8 v157, v29, v157, 0
	;; [unrolled: 1-line block ×12, first 2 shown]
	v_cvt_f32_i32_e32 v157, v157
	v_dot4_i32_i8 v167, v25, v159, v167
	v_dot4_i32_i8 v167, v26, v163, v167
	;; [unrolled: 1-line block ×3, first 2 shown]
	v_mul_f32_e32 v158, v156, v165
	v_dot4_i32_i8 v167, v28, v164, v167
	v_fmac_f32_e32 v57, v158, v157
	ds_read_b128 v[157:160], v148 offset:3072
	ds_read_b128 v[161:164], v148 offset:3088
	v_mul_f32_e32 v168, v155, v165
	v_cvt_f32_i32_e32 v167, v167
	s_waitcnt lgkmcnt(1)
	v_dot4_i32_i8 v165, v5, v157, 0
	s_waitcnt lgkmcnt(0)
	v_dot4_i32_i8 v165, v6, v161, v165
	v_dot4_i32_i8 v165, v7, v158, v165
	;; [unrolled: 1-line block ×7, first 2 shown]
	v_cvt_f32_i32_e32 v165, v165
	v_fmac_f32_e32 v58, v168, v167
	v_mul_f32_e32 v167, v153, v166
	v_fmac_f32_e32 v56, v167, v165
	v_dot4_i32_i8 v165, v13, v157, 0
	v_dot4_i32_i8 v165, v14, v161, v165
	;; [unrolled: 1-line block ×8, first 2 shown]
	v_cvt_f32_i32_e32 v165, v165
	v_mul_f32_e32 v167, v154, v166
	v_fmac_f32_e32 v55, v167, v165
	v_dot4_i32_i8 v165, v21, v157, 0
	v_dot4_i32_i8 v157, v29, v157, 0
	;; [unrolled: 1-line block ×16, first 2 shown]
	v_cvt_f32_i32_e32 v165, v165
	v_cvt_f32_i32_e32 v157, v157
	v_mul_f32_e32 v167, v155, v166
	v_mul_f32_e32 v158, v156, v166
	v_fmac_f32_e32 v54, v167, v165
	v_fmac_f32_e32 v53, v158, v157
	ds_read_b128 v[157:160], v148 offset:4096
	ds_read_b128 v[161:164], v148 offset:4112
	ds_read2_b32 v[165:166], v146 offset0:128 offset1:160
	s_waitcnt lgkmcnt(2)
	v_dot4_i32_i8 v167, v5, v157, 0
	s_waitcnt lgkmcnt(1)
	v_dot4_i32_i8 v167, v6, v161, v167
	v_dot4_i32_i8 v167, v7, v158, v167
	;; [unrolled: 1-line block ×7, first 2 shown]
	v_cvt_f32_i32_e32 v167, v167
	s_waitcnt lgkmcnt(0)
	v_mul_f32_e32 v168, v153, v165
	v_fmac_f32_e32 v52, v168, v167
	v_dot4_i32_i8 v167, v13, v157, 0
	v_dot4_i32_i8 v167, v14, v161, v167
	;; [unrolled: 1-line block ×8, first 2 shown]
	v_cvt_f32_i32_e32 v167, v167
	v_mul_f32_e32 v168, v154, v165
	v_fmac_f32_e32 v51, v168, v167
	v_dot4_i32_i8 v167, v21, v157, 0
	v_dot4_i32_i8 v157, v29, v157, 0
	;; [unrolled: 1-line block ×12, first 2 shown]
	v_cvt_f32_i32_e32 v157, v157
	v_dot4_i32_i8 v167, v25, v159, v167
	v_dot4_i32_i8 v167, v26, v163, v167
	;; [unrolled: 1-line block ×3, first 2 shown]
	v_mul_f32_e32 v158, v156, v165
	v_dot4_i32_i8 v167, v28, v164, v167
	v_fmac_f32_e32 v49, v158, v157
	ds_read_b128 v[157:160], v148 offset:5120
	ds_read_b128 v[161:164], v148 offset:5136
	v_mul_f32_e32 v168, v155, v165
	v_cvt_f32_i32_e32 v167, v167
	s_waitcnt lgkmcnt(1)
	v_dot4_i32_i8 v165, v5, v157, 0
	s_waitcnt lgkmcnt(0)
	v_dot4_i32_i8 v165, v6, v161, v165
	v_dot4_i32_i8 v165, v7, v158, v165
	;; [unrolled: 1-line block ×7, first 2 shown]
	v_cvt_f32_i32_e32 v165, v165
	v_fmac_f32_e32 v50, v168, v167
	v_mul_f32_e32 v167, v153, v166
	v_fmac_f32_e32 v48, v167, v165
	v_dot4_i32_i8 v165, v13, v157, 0
	v_dot4_i32_i8 v165, v14, v161, v165
	;; [unrolled: 1-line block ×8, first 2 shown]
	v_cvt_f32_i32_e32 v165, v165
	v_mul_f32_e32 v167, v154, v166
	v_fmac_f32_e32 v47, v167, v165
	v_dot4_i32_i8 v165, v21, v157, 0
	v_dot4_i32_i8 v157, v29, v157, 0
	;; [unrolled: 1-line block ×16, first 2 shown]
	v_cvt_f32_i32_e32 v165, v165
	v_cvt_f32_i32_e32 v157, v157
	v_mul_f32_e32 v167, v155, v166
	v_mul_f32_e32 v158, v156, v166
	v_fmac_f32_e32 v46, v167, v165
	v_fmac_f32_e32 v45, v158, v157
	ds_read_b128 v[157:160], v148 offset:6144
	ds_read_b128 v[161:164], v148 offset:6160
	ds_read2_b32 v[165:166], v146 offset0:192 offset1:224
	v_add_u32_e32 v146, 4, v146
	s_waitcnt lgkmcnt(2)
	v_dot4_i32_i8 v167, v5, v157, 0
	s_waitcnt lgkmcnt(1)
	v_dot4_i32_i8 v167, v6, v161, v167
	v_dot4_i32_i8 v167, v7, v158, v167
	;; [unrolled: 1-line block ×7, first 2 shown]
	v_cvt_f32_i32_e32 v167, v167
	s_waitcnt lgkmcnt(0)
	v_mul_f32_e32 v168, v153, v165
	v_fmac_f32_e32 v44, v168, v167
	v_dot4_i32_i8 v167, v13, v157, 0
	v_dot4_i32_i8 v167, v14, v161, v167
	;; [unrolled: 1-line block ×8, first 2 shown]
	v_cvt_f32_i32_e32 v167, v167
	v_mul_f32_e32 v168, v154, v165
	v_fmac_f32_e32 v43, v168, v167
	v_dot4_i32_i8 v167, v21, v157, 0
	v_dot4_i32_i8 v157, v29, v157, 0
	;; [unrolled: 1-line block ×12, first 2 shown]
	v_cvt_f32_i32_e32 v157, v157
	v_dot4_i32_i8 v167, v25, v159, v167
	v_dot4_i32_i8 v167, v26, v163, v167
	;; [unrolled: 1-line block ×3, first 2 shown]
	v_mul_f32_e32 v158, v156, v165
	v_dot4_i32_i8 v167, v28, v164, v167
	v_fmac_f32_e32 v41, v158, v157
	ds_read_b128 v[157:160], v148 offset:7168
	ds_read_b128 v[161:164], v148 offset:7184
	v_cvt_f32_i32_e32 v167, v167
	v_mul_f32_e32 v168, v155, v165
	v_add_u32_e32 v148, 32, v148
	s_waitcnt lgkmcnt(1)
	v_dot4_i32_i8 v5, v5, v157, 0
	s_waitcnt lgkmcnt(0)
	v_dot4_i32_i8 v5, v6, v161, v5
	v_dot4_i32_i8 v5, v7, v158, v5
	;; [unrolled: 1-line block ×7, first 2 shown]
	v_cvt_f32_i32_e32 v5, v5
	v_mul_f32_e32 v6, v153, v166
	v_fmac_f32_e32 v42, v168, v167
	v_fmac_f32_e32 v40, v6, v5
	v_dot4_i32_i8 v5, v13, v157, 0
	v_dot4_i32_i8 v5, v14, v161, v5
	v_dot4_i32_i8 v5, v15, v158, v5
	v_dot4_i32_i8 v5, v16, v162, v5
	v_dot4_i32_i8 v5, v17, v159, v5
	v_dot4_i32_i8 v5, v18, v163, v5
	v_dot4_i32_i8 v5, v19, v160, v5
	v_dot4_i32_i8 v5, v20, v164, v5
	v_cvt_f32_i32_e32 v5, v5
	v_mul_f32_e32 v6, v154, v166
	v_fmac_f32_e32 v39, v6, v5
	v_dot4_i32_i8 v5, v21, v157, 0
	v_dot4_i32_i8 v5, v22, v161, v5
	v_dot4_i32_i8 v5, v23, v158, v5
	v_dot4_i32_i8 v5, v24, v162, v5
	v_dot4_i32_i8 v5, v25, v159, v5
	v_dot4_i32_i8 v5, v26, v163, v5
	v_dot4_i32_i8 v5, v27, v160, v5
	v_dot4_i32_i8 v5, v28, v164, v5
	v_cvt_f32_i32_e32 v5, v5
	v_mul_f32_e32 v6, v155, v166
	;; [unrolled: 11-line block ×3, first 2 shown]
	v_fmac_f32_e32 v37, v6, v5
	s_cbranch_scc1 .LBB161_11
; %bb.12:                               ;   in Loop: Header=BB161_6 Depth=1
	s_barrier
	s_branch .LBB161_5
.LBB161_13:
	v_mov_b32_e32 v2, v60
.LBB161_14:
	v_cmp_gt_u32_e32 vcc, s8, v2
	s_and_saveexec_b64 s[0:1], vcc
	s_cbranch_execz .LBB161_65
; %bb.15:
	v_mul_lo_u32 v5, v2, s10
	v_add_u32_e32 v0, s6, v0
	v_cmp_gt_u32_e64 s[0:1], s10, v0
	s_and_saveexec_b64 s[2:3], s[0:1]
	s_cbranch_execz .LBB161_17
; %bb.16:
	v_bfe_u32 v2, v62, 16, 1
	s_movk_i32 s4, 0x7fff
	v_add3_u32 v2, v62, v2, s4
	v_cmp_o_f32_e32 vcc, v62, v62
	v_mov_b32_e32 v3, 0x7fc0
	v_cndmask_b32_sdwa v4, v3, v2, vcc dst_sel:DWORD dst_unused:UNUSED_PAD src0_sel:DWORD src1_sel:WORD_1
	v_add_u32_e32 v2, v0, v5
	v_mov_b32_e32 v3, 0
	v_lshlrev_b64 v[2:3], 1, v[2:3]
	s_waitcnt lgkmcnt(0)
	v_mov_b32_e32 v6, s13
	v_add_co_u32_e32 v2, vcc, s12, v2
	v_addc_co_u32_e32 v3, vcc, v6, v3, vcc
	global_store_short v[2:3], v4, off
.LBB161_17:
	s_or_b64 exec, exec, s[2:3]
	v_add_u32_e32 v2, 32, v0
	v_cmp_gt_u32_e64 s[2:3], s10, v2
	s_and_saveexec_b64 s[4:5], s[2:3]
	s_cbranch_execz .LBB161_19
; %bb.18:
	v_bfe_u32 v3, v109, 16, 1
	s_movk_i32 s6, 0x7fff
	v_add3_u32 v3, v109, v3, s6
	v_cmp_o_f32_e32 vcc, v109, v109
	v_mov_b32_e32 v4, 0x7fc0
	v_cndmask_b32_sdwa v6, v4, v3, vcc dst_sel:DWORD dst_unused:UNUSED_PAD src0_sel:DWORD src1_sel:WORD_1
	v_add_u32_e32 v3, v2, v5
	v_mov_b32_e32 v4, 0
	v_lshlrev_b64 v[3:4], 1, v[3:4]
	s_waitcnt lgkmcnt(0)
	v_mov_b32_e32 v7, s13
	v_add_co_u32_e32 v3, vcc, s12, v3
	v_addc_co_u32_e32 v4, vcc, v7, v4, vcc
	global_store_short v[3:4], v6, off
.LBB161_19:
	s_or_b64 exec, exec, s[4:5]
	;; [unrolled: 21-line block ×4, first 2 shown]
	v_add3_u32 v5, v1, s11, 8
	v_cmp_gt_u32_e32 vcc, s8, v5
	s_and_b64 exec, exec, vcc
	s_cbranch_execz .LBB161_65
; %bb.24:
	v_mul_lo_u32 v5, v5, s10
	s_and_saveexec_b64 s[14:15], s[0:1]
	s_cbranch_execnz .LBB161_66
; %bb.25:
	s_or_b64 exec, exec, s[14:15]
	s_and_saveexec_b64 s[14:15], s[2:3]
	s_cbranch_execnz .LBB161_67
.LBB161_26:
	s_or_b64 exec, exec, s[14:15]
	s_and_saveexec_b64 s[14:15], s[4:5]
	s_cbranch_execnz .LBB161_68
.LBB161_27:
	s_or_b64 exec, exec, s[14:15]
	s_and_saveexec_b64 s[14:15], s[6:7]
	s_cbranch_execz .LBB161_29
.LBB161_28:
	v_bfe_u32 v6, v63, 16, 1
	s_movk_i32 s9, 0x7fff
	v_add3_u32 v6, v63, v6, s9
	v_cmp_o_f32_e32 vcc, v63, v63
	v_mov_b32_e32 v7, 0x7fc0
	v_cndmask_b32_sdwa v7, v7, v6, vcc dst_sel:DWORD dst_unused:UNUSED_PAD src0_sel:DWORD src1_sel:WORD_1
	v_add_u32_e32 v5, v5, v4
	v_mov_b32_e32 v6, 0
	v_lshlrev_b64 v[5:6], 1, v[5:6]
	s_waitcnt lgkmcnt(0)
	v_mov_b32_e32 v8, s13
	v_add_co_u32_e32 v5, vcc, s12, v5
	v_addc_co_u32_e32 v6, vcc, v8, v6, vcc
	global_store_short v[5:6], v7, off
.LBB161_29:
	s_or_b64 exec, exec, s[14:15]
	v_add3_u32 v5, v1, s11, 16
	v_cmp_gt_u32_e32 vcc, s8, v5
	s_and_b64 exec, exec, vcc
	s_cbranch_execz .LBB161_65
; %bb.30:
	v_mul_lo_u32 v5, v5, s10
	s_and_saveexec_b64 s[14:15], s[0:1]
	s_cbranch_execnz .LBB161_69
; %bb.31:
	s_or_b64 exec, exec, s[14:15]
	s_and_saveexec_b64 s[14:15], s[2:3]
	s_cbranch_execnz .LBB161_70
.LBB161_32:
	s_or_b64 exec, exec, s[14:15]
	s_and_saveexec_b64 s[14:15], s[4:5]
	s_cbranch_execnz .LBB161_71
.LBB161_33:
	s_or_b64 exec, exec, s[14:15]
	s_and_saveexec_b64 s[14:15], s[6:7]
	s_cbranch_execz .LBB161_35
.LBB161_34:
	v_bfe_u32 v6, v57, 16, 1
	s_movk_i32 s9, 0x7fff
	v_add3_u32 v6, v57, v6, s9
	v_cmp_o_f32_e32 vcc, v57, v57
	v_mov_b32_e32 v7, 0x7fc0
	v_cndmask_b32_sdwa v7, v7, v6, vcc dst_sel:DWORD dst_unused:UNUSED_PAD src0_sel:DWORD src1_sel:WORD_1
	v_add_u32_e32 v5, v5, v4
	v_mov_b32_e32 v6, 0
	v_lshlrev_b64 v[5:6], 1, v[5:6]
	s_waitcnt lgkmcnt(0)
	v_mov_b32_e32 v8, s13
	v_add_co_u32_e32 v5, vcc, s12, v5
	v_addc_co_u32_e32 v6, vcc, v8, v6, vcc
	global_store_short v[5:6], v7, off
.LBB161_35:
	s_or_b64 exec, exec, s[14:15]
	v_add3_u32 v5, v1, s11, 24
	v_cmp_gt_u32_e32 vcc, s8, v5
	s_and_b64 exec, exec, vcc
	s_cbranch_execz .LBB161_65
; %bb.36:
	v_mul_lo_u32 v5, v5, s10
	s_and_saveexec_b64 s[14:15], s[0:1]
	s_cbranch_execnz .LBB161_72
; %bb.37:
	s_or_b64 exec, exec, s[14:15]
	s_and_saveexec_b64 s[14:15], s[2:3]
	s_cbranch_execnz .LBB161_73
.LBB161_38:
	s_or_b64 exec, exec, s[14:15]
	s_and_saveexec_b64 s[14:15], s[4:5]
	s_cbranch_execnz .LBB161_74
.LBB161_39:
	s_or_b64 exec, exec, s[14:15]
	s_and_saveexec_b64 s[14:15], s[6:7]
	s_cbranch_execz .LBB161_41
.LBB161_40:
	v_bfe_u32 v6, v53, 16, 1
	s_movk_i32 s9, 0x7fff
	v_add3_u32 v6, v53, v6, s9
	v_cmp_o_f32_e32 vcc, v53, v53
	v_mov_b32_e32 v7, 0x7fc0
	v_cndmask_b32_sdwa v7, v7, v6, vcc dst_sel:DWORD dst_unused:UNUSED_PAD src0_sel:DWORD src1_sel:WORD_1
	v_add_u32_e32 v5, v5, v4
	v_mov_b32_e32 v6, 0
	v_lshlrev_b64 v[5:6], 1, v[5:6]
	s_waitcnt lgkmcnt(0)
	v_mov_b32_e32 v8, s13
	v_add_co_u32_e32 v5, vcc, s12, v5
	v_addc_co_u32_e32 v6, vcc, v8, v6, vcc
	global_store_short v[5:6], v7, off
.LBB161_41:
	s_or_b64 exec, exec, s[14:15]
	v_add3_u32 v5, v1, s11, 32
	v_cmp_gt_u32_e32 vcc, s8, v5
	s_and_b64 exec, exec, vcc
	s_cbranch_execz .LBB161_65
; %bb.42:
	v_mul_lo_u32 v5, v5, s10
	s_and_saveexec_b64 s[14:15], s[0:1]
	s_cbranch_execnz .LBB161_75
; %bb.43:
	s_or_b64 exec, exec, s[14:15]
	s_and_saveexec_b64 s[14:15], s[2:3]
	s_cbranch_execnz .LBB161_76
.LBB161_44:
	s_or_b64 exec, exec, s[14:15]
	s_and_saveexec_b64 s[14:15], s[4:5]
	s_cbranch_execnz .LBB161_77
.LBB161_45:
	s_or_b64 exec, exec, s[14:15]
	s_and_saveexec_b64 s[14:15], s[6:7]
	s_cbranch_execz .LBB161_47
.LBB161_46:
	v_bfe_u32 v6, v49, 16, 1
	s_movk_i32 s9, 0x7fff
	v_add3_u32 v6, v49, v6, s9
	v_cmp_o_f32_e32 vcc, v49, v49
	v_mov_b32_e32 v7, 0x7fc0
	v_cndmask_b32_sdwa v7, v7, v6, vcc dst_sel:DWORD dst_unused:UNUSED_PAD src0_sel:DWORD src1_sel:WORD_1
	v_add_u32_e32 v5, v5, v4
	v_mov_b32_e32 v6, 0
	v_lshlrev_b64 v[5:6], 1, v[5:6]
	s_waitcnt lgkmcnt(0)
	v_mov_b32_e32 v8, s13
	v_add_co_u32_e32 v5, vcc, s12, v5
	v_addc_co_u32_e32 v6, vcc, v8, v6, vcc
	global_store_short v[5:6], v7, off
.LBB161_47:
	s_or_b64 exec, exec, s[14:15]
	v_add3_u32 v5, v1, s11, 40
	v_cmp_gt_u32_e32 vcc, s8, v5
	s_and_b64 exec, exec, vcc
	s_cbranch_execz .LBB161_65
; %bb.48:
	v_mul_lo_u32 v5, v5, s10
	s_and_saveexec_b64 s[14:15], s[0:1]
	s_cbranch_execnz .LBB161_78
; %bb.49:
	s_or_b64 exec, exec, s[14:15]
	s_and_saveexec_b64 s[14:15], s[2:3]
	s_cbranch_execnz .LBB161_79
.LBB161_50:
	s_or_b64 exec, exec, s[14:15]
	s_and_saveexec_b64 s[14:15], s[4:5]
	s_cbranch_execnz .LBB161_80
.LBB161_51:
	s_or_b64 exec, exec, s[14:15]
	s_and_saveexec_b64 s[14:15], s[6:7]
	s_cbranch_execz .LBB161_53
.LBB161_52:
	v_bfe_u32 v6, v45, 16, 1
	s_movk_i32 s9, 0x7fff
	v_add3_u32 v6, v45, v6, s9
	v_cmp_o_f32_e32 vcc, v45, v45
	v_mov_b32_e32 v7, 0x7fc0
	v_cndmask_b32_sdwa v7, v7, v6, vcc dst_sel:DWORD dst_unused:UNUSED_PAD src0_sel:DWORD src1_sel:WORD_1
	v_add_u32_e32 v5, v5, v4
	v_mov_b32_e32 v6, 0
	v_lshlrev_b64 v[5:6], 1, v[5:6]
	s_waitcnt lgkmcnt(0)
	v_mov_b32_e32 v8, s13
	v_add_co_u32_e32 v5, vcc, s12, v5
	v_addc_co_u32_e32 v6, vcc, v8, v6, vcc
	global_store_short v[5:6], v7, off
.LBB161_53:
	s_or_b64 exec, exec, s[14:15]
	v_add3_u32 v5, v1, s11, 48
	v_cmp_gt_u32_e32 vcc, s8, v5
	s_and_b64 exec, exec, vcc
	s_cbranch_execz .LBB161_65
; %bb.54:
	v_mul_lo_u32 v5, v5, s10
	s_and_saveexec_b64 s[14:15], s[0:1]
	s_cbranch_execnz .LBB161_81
; %bb.55:
	s_or_b64 exec, exec, s[14:15]
	s_and_saveexec_b64 s[14:15], s[2:3]
	s_cbranch_execnz .LBB161_82
.LBB161_56:
	s_or_b64 exec, exec, s[14:15]
	s_and_saveexec_b64 s[14:15], s[4:5]
	s_cbranch_execnz .LBB161_83
.LBB161_57:
	s_or_b64 exec, exec, s[14:15]
	s_and_saveexec_b64 s[14:15], s[6:7]
	s_cbranch_execz .LBB161_59
.LBB161_58:
	v_bfe_u32 v6, v41, 16, 1
	s_movk_i32 s9, 0x7fff
	v_add3_u32 v6, v41, v6, s9
	v_cmp_o_f32_e32 vcc, v41, v41
	v_mov_b32_e32 v7, 0x7fc0
	v_cndmask_b32_sdwa v7, v7, v6, vcc dst_sel:DWORD dst_unused:UNUSED_PAD src0_sel:DWORD src1_sel:WORD_1
	v_add_u32_e32 v5, v5, v4
	v_mov_b32_e32 v6, 0
	v_lshlrev_b64 v[5:6], 1, v[5:6]
	s_waitcnt lgkmcnt(0)
	v_mov_b32_e32 v8, s13
	v_add_co_u32_e32 v5, vcc, s12, v5
	v_addc_co_u32_e32 v6, vcc, v8, v6, vcc
	global_store_short v[5:6], v7, off
.LBB161_59:
	s_or_b64 exec, exec, s[14:15]
	v_add3_u32 v1, v1, s11, 56
	v_cmp_gt_u32_e32 vcc, s8, v1
	s_and_b64 exec, exec, vcc
	s_cbranch_execz .LBB161_65
; %bb.60:
	v_mul_lo_u32 v1, v1, s10
	s_and_saveexec_b64 s[8:9], s[0:1]
	s_cbranch_execnz .LBB161_84
; %bb.61:
	s_or_b64 exec, exec, s[8:9]
	s_and_saveexec_b64 s[0:1], s[2:3]
	s_cbranch_execnz .LBB161_85
.LBB161_62:
	s_or_b64 exec, exec, s[0:1]
	s_and_saveexec_b64 s[0:1], s[4:5]
	s_cbranch_execnz .LBB161_86
.LBB161_63:
	s_or_b64 exec, exec, s[0:1]
	s_and_b64 exec, exec, s[6:7]
	s_cbranch_execz .LBB161_65
.LBB161_64:
	v_bfe_u32 v0, v37, 16, 1
	s_movk_i32 s0, 0x7fff
	v_add3_u32 v0, v37, v0, s0
	v_cmp_o_f32_e32 vcc, v37, v37
	v_mov_b32_e32 v2, 0x7fc0
	v_cndmask_b32_sdwa v2, v2, v0, vcc dst_sel:DWORD dst_unused:UNUSED_PAD src0_sel:DWORD src1_sel:WORD_1
	v_add_u32_e32 v0, v1, v4
	v_mov_b32_e32 v1, 0
	v_lshlrev_b64 v[0:1], 1, v[0:1]
	s_waitcnt lgkmcnt(0)
	v_mov_b32_e32 v3, s13
	v_add_co_u32_e32 v0, vcc, s12, v0
	v_addc_co_u32_e32 v1, vcc, v3, v1, vcc
	global_store_short v[0:1], v2, off
.LBB161_65:
	s_endpgm
.LBB161_66:
	v_bfe_u32 v6, v68, 16, 1
	s_movk_i32 s9, 0x7fff
	v_add3_u32 v6, v68, v6, s9
	v_cmp_o_f32_e32 vcc, v68, v68
	v_mov_b32_e32 v7, 0x7fc0
	v_cndmask_b32_sdwa v8, v7, v6, vcc dst_sel:DWORD dst_unused:UNUSED_PAD src0_sel:DWORD src1_sel:WORD_1
	v_add_u32_e32 v6, v5, v0
	v_mov_b32_e32 v7, 0
	v_lshlrev_b64 v[6:7], 1, v[6:7]
	s_waitcnt lgkmcnt(0)
	v_mov_b32_e32 v9, s13
	v_add_co_u32_e32 v6, vcc, s12, v6
	v_addc_co_u32_e32 v7, vcc, v9, v7, vcc
	global_store_short v[6:7], v8, off
	s_or_b64 exec, exec, s[14:15]
	s_and_saveexec_b64 s[14:15], s[2:3]
	s_cbranch_execz .LBB161_26
.LBB161_67:
	v_bfe_u32 v6, v65, 16, 1
	s_movk_i32 s9, 0x7fff
	v_add3_u32 v6, v65, v6, s9
	v_cmp_o_f32_e32 vcc, v65, v65
	v_mov_b32_e32 v7, 0x7fc0
	v_cndmask_b32_sdwa v8, v7, v6, vcc dst_sel:DWORD dst_unused:UNUSED_PAD src0_sel:DWORD src1_sel:WORD_1
	v_add_u32_e32 v6, v5, v2
	v_mov_b32_e32 v7, 0
	v_lshlrev_b64 v[6:7], 1, v[6:7]
	s_waitcnt lgkmcnt(0)
	v_mov_b32_e32 v9, s13
	v_add_co_u32_e32 v6, vcc, s12, v6
	v_addc_co_u32_e32 v7, vcc, v9, v7, vcc
	global_store_short v[6:7], v8, off
	s_or_b64 exec, exec, s[14:15]
	s_and_saveexec_b64 s[14:15], s[4:5]
	s_cbranch_execz .LBB161_27
.LBB161_68:
	v_bfe_u32 v6, v64, 16, 1
	s_movk_i32 s9, 0x7fff
	v_add3_u32 v6, v64, v6, s9
	v_cmp_o_f32_e32 vcc, v64, v64
	v_mov_b32_e32 v7, 0x7fc0
	v_cndmask_b32_sdwa v8, v7, v6, vcc dst_sel:DWORD dst_unused:UNUSED_PAD src0_sel:DWORD src1_sel:WORD_1
	v_add_u32_e32 v6, v5, v3
	v_mov_b32_e32 v7, 0
	v_lshlrev_b64 v[6:7], 1, v[6:7]
	s_waitcnt lgkmcnt(0)
	v_mov_b32_e32 v9, s13
	v_add_co_u32_e32 v6, vcc, s12, v6
	v_addc_co_u32_e32 v7, vcc, v9, v7, vcc
	global_store_short v[6:7], v8, off
	s_or_b64 exec, exec, s[14:15]
	s_and_saveexec_b64 s[14:15], s[6:7]
	s_cbranch_execnz .LBB161_28
	s_branch .LBB161_29
.LBB161_69:
	v_bfe_u32 v6, v61, 16, 1
	s_movk_i32 s9, 0x7fff
	v_add3_u32 v6, v61, v6, s9
	v_cmp_o_f32_e32 vcc, v61, v61
	v_mov_b32_e32 v7, 0x7fc0
	v_cndmask_b32_sdwa v8, v7, v6, vcc dst_sel:DWORD dst_unused:UNUSED_PAD src0_sel:DWORD src1_sel:WORD_1
	v_add_u32_e32 v6, v5, v0
	v_mov_b32_e32 v7, 0
	v_lshlrev_b64 v[6:7], 1, v[6:7]
	s_waitcnt lgkmcnt(0)
	v_mov_b32_e32 v9, s13
	v_add_co_u32_e32 v6, vcc, s12, v6
	v_addc_co_u32_e32 v7, vcc, v9, v7, vcc
	global_store_short v[6:7], v8, off
	s_or_b64 exec, exec, s[14:15]
	s_and_saveexec_b64 s[14:15], s[2:3]
	s_cbranch_execz .LBB161_32
.LBB161_70:
	v_bfe_u32 v6, v59, 16, 1
	s_movk_i32 s9, 0x7fff
	v_add3_u32 v6, v59, v6, s9
	v_cmp_o_f32_e32 vcc, v59, v59
	v_mov_b32_e32 v7, 0x7fc0
	v_cndmask_b32_sdwa v8, v7, v6, vcc dst_sel:DWORD dst_unused:UNUSED_PAD src0_sel:DWORD src1_sel:WORD_1
	v_add_u32_e32 v6, v5, v2
	v_mov_b32_e32 v7, 0
	v_lshlrev_b64 v[6:7], 1, v[6:7]
	s_waitcnt lgkmcnt(0)
	v_mov_b32_e32 v9, s13
	v_add_co_u32_e32 v6, vcc, s12, v6
	v_addc_co_u32_e32 v7, vcc, v9, v7, vcc
	global_store_short v[6:7], v8, off
	s_or_b64 exec, exec, s[14:15]
	s_and_saveexec_b64 s[14:15], s[4:5]
	s_cbranch_execz .LBB161_33
.LBB161_71:
	v_bfe_u32 v6, v58, 16, 1
	s_movk_i32 s9, 0x7fff
	v_add3_u32 v6, v58, v6, s9
	v_cmp_o_f32_e32 vcc, v58, v58
	v_mov_b32_e32 v7, 0x7fc0
	v_cndmask_b32_sdwa v8, v7, v6, vcc dst_sel:DWORD dst_unused:UNUSED_PAD src0_sel:DWORD src1_sel:WORD_1
	v_add_u32_e32 v6, v5, v3
	v_mov_b32_e32 v7, 0
	v_lshlrev_b64 v[6:7], 1, v[6:7]
	s_waitcnt lgkmcnt(0)
	v_mov_b32_e32 v9, s13
	v_add_co_u32_e32 v6, vcc, s12, v6
	v_addc_co_u32_e32 v7, vcc, v9, v7, vcc
	global_store_short v[6:7], v8, off
	s_or_b64 exec, exec, s[14:15]
	s_and_saveexec_b64 s[14:15], s[6:7]
	s_cbranch_execnz .LBB161_34
	s_branch .LBB161_35
.LBB161_72:
	v_bfe_u32 v6, v56, 16, 1
	s_movk_i32 s9, 0x7fff
	v_add3_u32 v6, v56, v6, s9
	v_cmp_o_f32_e32 vcc, v56, v56
	v_mov_b32_e32 v7, 0x7fc0
	v_cndmask_b32_sdwa v8, v7, v6, vcc dst_sel:DWORD dst_unused:UNUSED_PAD src0_sel:DWORD src1_sel:WORD_1
	v_add_u32_e32 v6, v5, v0
	v_mov_b32_e32 v7, 0
	v_lshlrev_b64 v[6:7], 1, v[6:7]
	s_waitcnt lgkmcnt(0)
	v_mov_b32_e32 v9, s13
	v_add_co_u32_e32 v6, vcc, s12, v6
	v_addc_co_u32_e32 v7, vcc, v9, v7, vcc
	global_store_short v[6:7], v8, off
	s_or_b64 exec, exec, s[14:15]
	s_and_saveexec_b64 s[14:15], s[2:3]
	s_cbranch_execz .LBB161_38
.LBB161_73:
	v_bfe_u32 v6, v55, 16, 1
	s_movk_i32 s9, 0x7fff
	v_add3_u32 v6, v55, v6, s9
	v_cmp_o_f32_e32 vcc, v55, v55
	v_mov_b32_e32 v7, 0x7fc0
	v_cndmask_b32_sdwa v8, v7, v6, vcc dst_sel:DWORD dst_unused:UNUSED_PAD src0_sel:DWORD src1_sel:WORD_1
	v_add_u32_e32 v6, v5, v2
	v_mov_b32_e32 v7, 0
	v_lshlrev_b64 v[6:7], 1, v[6:7]
	s_waitcnt lgkmcnt(0)
	v_mov_b32_e32 v9, s13
	v_add_co_u32_e32 v6, vcc, s12, v6
	v_addc_co_u32_e32 v7, vcc, v9, v7, vcc
	global_store_short v[6:7], v8, off
	s_or_b64 exec, exec, s[14:15]
	s_and_saveexec_b64 s[14:15], s[4:5]
	s_cbranch_execz .LBB161_39
.LBB161_74:
	v_bfe_u32 v6, v54, 16, 1
	s_movk_i32 s9, 0x7fff
	v_add3_u32 v6, v54, v6, s9
	v_cmp_o_f32_e32 vcc, v54, v54
	v_mov_b32_e32 v7, 0x7fc0
	v_cndmask_b32_sdwa v8, v7, v6, vcc dst_sel:DWORD dst_unused:UNUSED_PAD src0_sel:DWORD src1_sel:WORD_1
	v_add_u32_e32 v6, v5, v3
	v_mov_b32_e32 v7, 0
	v_lshlrev_b64 v[6:7], 1, v[6:7]
	s_waitcnt lgkmcnt(0)
	v_mov_b32_e32 v9, s13
	v_add_co_u32_e32 v6, vcc, s12, v6
	v_addc_co_u32_e32 v7, vcc, v9, v7, vcc
	global_store_short v[6:7], v8, off
	s_or_b64 exec, exec, s[14:15]
	s_and_saveexec_b64 s[14:15], s[6:7]
	s_cbranch_execnz .LBB161_40
	s_branch .LBB161_41
.LBB161_75:
	v_bfe_u32 v6, v52, 16, 1
	s_movk_i32 s9, 0x7fff
	v_add3_u32 v6, v52, v6, s9
	v_cmp_o_f32_e32 vcc, v52, v52
	v_mov_b32_e32 v7, 0x7fc0
	v_cndmask_b32_sdwa v8, v7, v6, vcc dst_sel:DWORD dst_unused:UNUSED_PAD src0_sel:DWORD src1_sel:WORD_1
	v_add_u32_e32 v6, v5, v0
	v_mov_b32_e32 v7, 0
	v_lshlrev_b64 v[6:7], 1, v[6:7]
	s_waitcnt lgkmcnt(0)
	v_mov_b32_e32 v9, s13
	v_add_co_u32_e32 v6, vcc, s12, v6
	v_addc_co_u32_e32 v7, vcc, v9, v7, vcc
	global_store_short v[6:7], v8, off
	s_or_b64 exec, exec, s[14:15]
	s_and_saveexec_b64 s[14:15], s[2:3]
	s_cbranch_execz .LBB161_44
.LBB161_76:
	v_bfe_u32 v6, v51, 16, 1
	s_movk_i32 s9, 0x7fff
	v_add3_u32 v6, v51, v6, s9
	v_cmp_o_f32_e32 vcc, v51, v51
	v_mov_b32_e32 v7, 0x7fc0
	v_cndmask_b32_sdwa v8, v7, v6, vcc dst_sel:DWORD dst_unused:UNUSED_PAD src0_sel:DWORD src1_sel:WORD_1
	v_add_u32_e32 v6, v5, v2
	v_mov_b32_e32 v7, 0
	v_lshlrev_b64 v[6:7], 1, v[6:7]
	s_waitcnt lgkmcnt(0)
	v_mov_b32_e32 v9, s13
	v_add_co_u32_e32 v6, vcc, s12, v6
	v_addc_co_u32_e32 v7, vcc, v9, v7, vcc
	global_store_short v[6:7], v8, off
	s_or_b64 exec, exec, s[14:15]
	s_and_saveexec_b64 s[14:15], s[4:5]
	s_cbranch_execz .LBB161_45
.LBB161_77:
	v_bfe_u32 v6, v50, 16, 1
	s_movk_i32 s9, 0x7fff
	v_add3_u32 v6, v50, v6, s9
	v_cmp_o_f32_e32 vcc, v50, v50
	v_mov_b32_e32 v7, 0x7fc0
	v_cndmask_b32_sdwa v8, v7, v6, vcc dst_sel:DWORD dst_unused:UNUSED_PAD src0_sel:DWORD src1_sel:WORD_1
	v_add_u32_e32 v6, v5, v3
	v_mov_b32_e32 v7, 0
	v_lshlrev_b64 v[6:7], 1, v[6:7]
	s_waitcnt lgkmcnt(0)
	v_mov_b32_e32 v9, s13
	v_add_co_u32_e32 v6, vcc, s12, v6
	v_addc_co_u32_e32 v7, vcc, v9, v7, vcc
	global_store_short v[6:7], v8, off
	s_or_b64 exec, exec, s[14:15]
	s_and_saveexec_b64 s[14:15], s[6:7]
	s_cbranch_execnz .LBB161_46
	s_branch .LBB161_47
.LBB161_78:
	v_bfe_u32 v6, v48, 16, 1
	s_movk_i32 s9, 0x7fff
	v_add3_u32 v6, v48, v6, s9
	v_cmp_o_f32_e32 vcc, v48, v48
	v_mov_b32_e32 v7, 0x7fc0
	v_cndmask_b32_sdwa v8, v7, v6, vcc dst_sel:DWORD dst_unused:UNUSED_PAD src0_sel:DWORD src1_sel:WORD_1
	v_add_u32_e32 v6, v5, v0
	v_mov_b32_e32 v7, 0
	v_lshlrev_b64 v[6:7], 1, v[6:7]
	s_waitcnt lgkmcnt(0)
	v_mov_b32_e32 v9, s13
	v_add_co_u32_e32 v6, vcc, s12, v6
	v_addc_co_u32_e32 v7, vcc, v9, v7, vcc
	global_store_short v[6:7], v8, off
	s_or_b64 exec, exec, s[14:15]
	s_and_saveexec_b64 s[14:15], s[2:3]
	s_cbranch_execz .LBB161_50
.LBB161_79:
	v_bfe_u32 v6, v47, 16, 1
	s_movk_i32 s9, 0x7fff
	v_add3_u32 v6, v47, v6, s9
	v_cmp_o_f32_e32 vcc, v47, v47
	v_mov_b32_e32 v7, 0x7fc0
	v_cndmask_b32_sdwa v8, v7, v6, vcc dst_sel:DWORD dst_unused:UNUSED_PAD src0_sel:DWORD src1_sel:WORD_1
	v_add_u32_e32 v6, v5, v2
	v_mov_b32_e32 v7, 0
	v_lshlrev_b64 v[6:7], 1, v[6:7]
	s_waitcnt lgkmcnt(0)
	v_mov_b32_e32 v9, s13
	v_add_co_u32_e32 v6, vcc, s12, v6
	v_addc_co_u32_e32 v7, vcc, v9, v7, vcc
	global_store_short v[6:7], v8, off
	s_or_b64 exec, exec, s[14:15]
	s_and_saveexec_b64 s[14:15], s[4:5]
	s_cbranch_execz .LBB161_51
.LBB161_80:
	v_bfe_u32 v6, v46, 16, 1
	s_movk_i32 s9, 0x7fff
	v_add3_u32 v6, v46, v6, s9
	v_cmp_o_f32_e32 vcc, v46, v46
	v_mov_b32_e32 v7, 0x7fc0
	v_cndmask_b32_sdwa v8, v7, v6, vcc dst_sel:DWORD dst_unused:UNUSED_PAD src0_sel:DWORD src1_sel:WORD_1
	v_add_u32_e32 v6, v5, v3
	v_mov_b32_e32 v7, 0
	v_lshlrev_b64 v[6:7], 1, v[6:7]
	s_waitcnt lgkmcnt(0)
	v_mov_b32_e32 v9, s13
	v_add_co_u32_e32 v6, vcc, s12, v6
	v_addc_co_u32_e32 v7, vcc, v9, v7, vcc
	global_store_short v[6:7], v8, off
	s_or_b64 exec, exec, s[14:15]
	s_and_saveexec_b64 s[14:15], s[6:7]
	s_cbranch_execnz .LBB161_52
	s_branch .LBB161_53
.LBB161_81:
	v_bfe_u32 v6, v44, 16, 1
	s_movk_i32 s9, 0x7fff
	v_add3_u32 v6, v44, v6, s9
	v_cmp_o_f32_e32 vcc, v44, v44
	v_mov_b32_e32 v7, 0x7fc0
	v_cndmask_b32_sdwa v8, v7, v6, vcc dst_sel:DWORD dst_unused:UNUSED_PAD src0_sel:DWORD src1_sel:WORD_1
	v_add_u32_e32 v6, v5, v0
	v_mov_b32_e32 v7, 0
	v_lshlrev_b64 v[6:7], 1, v[6:7]
	s_waitcnt lgkmcnt(0)
	v_mov_b32_e32 v9, s13
	v_add_co_u32_e32 v6, vcc, s12, v6
	v_addc_co_u32_e32 v7, vcc, v9, v7, vcc
	global_store_short v[6:7], v8, off
	s_or_b64 exec, exec, s[14:15]
	s_and_saveexec_b64 s[14:15], s[2:3]
	s_cbranch_execz .LBB161_56
.LBB161_82:
	v_bfe_u32 v6, v43, 16, 1
	s_movk_i32 s9, 0x7fff
	v_add3_u32 v6, v43, v6, s9
	v_cmp_o_f32_e32 vcc, v43, v43
	v_mov_b32_e32 v7, 0x7fc0
	v_cndmask_b32_sdwa v8, v7, v6, vcc dst_sel:DWORD dst_unused:UNUSED_PAD src0_sel:DWORD src1_sel:WORD_1
	v_add_u32_e32 v6, v5, v2
	v_mov_b32_e32 v7, 0
	v_lshlrev_b64 v[6:7], 1, v[6:7]
	s_waitcnt lgkmcnt(0)
	v_mov_b32_e32 v9, s13
	v_add_co_u32_e32 v6, vcc, s12, v6
	v_addc_co_u32_e32 v7, vcc, v9, v7, vcc
	global_store_short v[6:7], v8, off
	s_or_b64 exec, exec, s[14:15]
	s_and_saveexec_b64 s[14:15], s[4:5]
	s_cbranch_execz .LBB161_57
.LBB161_83:
	v_bfe_u32 v6, v42, 16, 1
	s_movk_i32 s9, 0x7fff
	v_add3_u32 v6, v42, v6, s9
	v_cmp_o_f32_e32 vcc, v42, v42
	v_mov_b32_e32 v7, 0x7fc0
	v_cndmask_b32_sdwa v8, v7, v6, vcc dst_sel:DWORD dst_unused:UNUSED_PAD src0_sel:DWORD src1_sel:WORD_1
	v_add_u32_e32 v6, v5, v3
	v_mov_b32_e32 v7, 0
	v_lshlrev_b64 v[6:7], 1, v[6:7]
	s_waitcnt lgkmcnt(0)
	v_mov_b32_e32 v9, s13
	v_add_co_u32_e32 v6, vcc, s12, v6
	v_addc_co_u32_e32 v7, vcc, v9, v7, vcc
	global_store_short v[6:7], v8, off
	s_or_b64 exec, exec, s[14:15]
	s_and_saveexec_b64 s[14:15], s[6:7]
	s_cbranch_execnz .LBB161_58
	s_branch .LBB161_59
.LBB161_84:
	v_bfe_u32 v5, v40, 16, 1
	s_movk_i32 s0, 0x7fff
	v_add3_u32 v5, v40, v5, s0
	v_cmp_o_f32_e32 vcc, v40, v40
	v_mov_b32_e32 v6, 0x7fc0
	v_cndmask_b32_sdwa v7, v6, v5, vcc dst_sel:DWORD dst_unused:UNUSED_PAD src0_sel:DWORD src1_sel:WORD_1
	v_add_u32_e32 v5, v1, v0
	v_mov_b32_e32 v6, 0
	v_lshlrev_b64 v[5:6], 1, v[5:6]
	s_waitcnt lgkmcnt(0)
	v_mov_b32_e32 v0, s13
	v_add_co_u32_e32 v5, vcc, s12, v5
	v_addc_co_u32_e32 v6, vcc, v0, v6, vcc
	global_store_short v[5:6], v7, off
	s_or_b64 exec, exec, s[8:9]
	s_and_saveexec_b64 s[0:1], s[2:3]
	s_cbranch_execz .LBB161_62
.LBB161_85:
	v_bfe_u32 v0, v39, 16, 1
	s_movk_i32 s2, 0x7fff
	v_add3_u32 v0, v39, v0, s2
	v_cmp_o_f32_e32 vcc, v39, v39
	v_mov_b32_e32 v5, 0x7fc0
	v_cndmask_b32_sdwa v0, v5, v0, vcc dst_sel:DWORD dst_unused:UNUSED_PAD src0_sel:DWORD src1_sel:WORD_1
	v_add_u32_e32 v5, v1, v2
	v_mov_b32_e32 v6, 0
	v_lshlrev_b64 v[5:6], 1, v[5:6]
	s_waitcnt lgkmcnt(0)
	v_mov_b32_e32 v2, s13
	v_add_co_u32_e32 v5, vcc, s12, v5
	v_addc_co_u32_e32 v6, vcc, v2, v6, vcc
	global_store_short v[5:6], v0, off
	s_or_b64 exec, exec, s[0:1]
	s_and_saveexec_b64 s[0:1], s[4:5]
	s_cbranch_execz .LBB161_63
.LBB161_86:
	v_bfe_u32 v0, v38, 16, 1
	s_movk_i32 s2, 0x7fff
	v_add3_u32 v0, v38, v0, s2
	v_cmp_o_f32_e32 vcc, v38, v38
	v_mov_b32_e32 v2, 0x7fc0
	v_cndmask_b32_sdwa v0, v2, v0, vcc dst_sel:DWORD dst_unused:UNUSED_PAD src0_sel:DWORD src1_sel:WORD_1
	v_add_u32_e32 v2, v1, v3
	v_mov_b32_e32 v3, 0
	v_lshlrev_b64 v[2:3], 1, v[2:3]
	s_waitcnt lgkmcnt(0)
	v_mov_b32_e32 v5, s13
	v_add_co_u32_e32 v2, vcc, s12, v2
	v_addc_co_u32_e32 v3, vcc, v5, v3, vcc
	global_store_short v[2:3], v0, off
	s_or_b64 exec, exec, s[0:1]
	s_and_b64 exec, exec, s[6:7]
	s_cbranch_execnz .LBB161_64
	s_branch .LBB161_65
	.section	.rodata,"a",@progbits
	.p2align	6, 0x0
	.amdhsa_kernel _ZL12mul_mat_q5_0IN3c108BFloat16ELb0EEvPKvS3_PT_iiiii
		.amdhsa_group_segment_fixed_size 46720
		.amdhsa_private_segment_fixed_size 0
		.amdhsa_kernarg_size 44
		.amdhsa_user_sgpr_count 6
		.amdhsa_user_sgpr_private_segment_buffer 1
		.amdhsa_user_sgpr_dispatch_ptr 0
		.amdhsa_user_sgpr_queue_ptr 0
		.amdhsa_user_sgpr_kernarg_segment_ptr 1
		.amdhsa_user_sgpr_dispatch_id 0
		.amdhsa_user_sgpr_flat_scratch_init 0
		.amdhsa_user_sgpr_private_segment_size 0
		.amdhsa_uses_dynamic_stack 0
		.amdhsa_system_sgpr_private_segment_wavefront_offset 0
		.amdhsa_system_sgpr_workgroup_id_x 1
		.amdhsa_system_sgpr_workgroup_id_y 1
		.amdhsa_system_sgpr_workgroup_id_z 0
		.amdhsa_system_sgpr_workgroup_info 0
		.amdhsa_system_vgpr_workitem_id 1
		.amdhsa_next_free_vgpr 171
		.amdhsa_next_free_sgpr 98
		.amdhsa_reserve_vcc 1
		.amdhsa_reserve_flat_scratch 0
		.amdhsa_float_round_mode_32 0
		.amdhsa_float_round_mode_16_64 0
		.amdhsa_float_denorm_mode_32 3
		.amdhsa_float_denorm_mode_16_64 3
		.amdhsa_dx10_clamp 1
		.amdhsa_ieee_mode 1
		.amdhsa_fp16_overflow 0
		.amdhsa_exception_fp_ieee_invalid_op 0
		.amdhsa_exception_fp_denorm_src 0
		.amdhsa_exception_fp_ieee_div_zero 0
		.amdhsa_exception_fp_ieee_overflow 0
		.amdhsa_exception_fp_ieee_underflow 0
		.amdhsa_exception_fp_ieee_inexact 0
		.amdhsa_exception_int_div_zero 0
	.end_amdhsa_kernel
	.section	.text._ZL12mul_mat_q5_0IN3c108BFloat16ELb0EEvPKvS3_PT_iiiii,"axG",@progbits,_ZL12mul_mat_q5_0IN3c108BFloat16ELb0EEvPKvS3_PT_iiiii,comdat
.Lfunc_end161:
	.size	_ZL12mul_mat_q5_0IN3c108BFloat16ELb0EEvPKvS3_PT_iiiii, .Lfunc_end161-_ZL12mul_mat_q5_0IN3c108BFloat16ELb0EEvPKvS3_PT_iiiii
                                        ; -- End function
	.set _ZL12mul_mat_q5_0IN3c108BFloat16ELb0EEvPKvS3_PT_iiiii.num_vgpr, 171
	.set _ZL12mul_mat_q5_0IN3c108BFloat16ELb0EEvPKvS3_PT_iiiii.num_agpr, 0
	.set _ZL12mul_mat_q5_0IN3c108BFloat16ELb0EEvPKvS3_PT_iiiii.numbered_sgpr, 20
	.set _ZL12mul_mat_q5_0IN3c108BFloat16ELb0EEvPKvS3_PT_iiiii.num_named_barrier, 0
	.set _ZL12mul_mat_q5_0IN3c108BFloat16ELb0EEvPKvS3_PT_iiiii.private_seg_size, 0
	.set _ZL12mul_mat_q5_0IN3c108BFloat16ELb0EEvPKvS3_PT_iiiii.uses_vcc, 1
	.set _ZL12mul_mat_q5_0IN3c108BFloat16ELb0EEvPKvS3_PT_iiiii.uses_flat_scratch, 0
	.set _ZL12mul_mat_q5_0IN3c108BFloat16ELb0EEvPKvS3_PT_iiiii.has_dyn_sized_stack, 0
	.set _ZL12mul_mat_q5_0IN3c108BFloat16ELb0EEvPKvS3_PT_iiiii.has_recursion, 0
	.set _ZL12mul_mat_q5_0IN3c108BFloat16ELb0EEvPKvS3_PT_iiiii.has_indirect_call, 0
	.section	.AMDGPU.csdata,"",@progbits
; Kernel info:
; codeLenInByte = 17592
; TotalNumSgprs: 24
; NumVgprs: 171
; ScratchSize: 0
; MemoryBound: 0
; FloatMode: 240
; IeeeMode: 1
; LDSByteSize: 46720 bytes/workgroup (compile time only)
; SGPRBlocks: 12
; VGPRBlocks: 42
; NumSGPRsForWavesPerEU: 102
; NumVGPRsForWavesPerEU: 171
; Occupancy: 1
; WaveLimiterHint : 0
; COMPUTE_PGM_RSRC2:SCRATCH_EN: 0
; COMPUTE_PGM_RSRC2:USER_SGPR: 6
; COMPUTE_PGM_RSRC2:TRAP_HANDLER: 0
; COMPUTE_PGM_RSRC2:TGID_X_EN: 1
; COMPUTE_PGM_RSRC2:TGID_Y_EN: 1
; COMPUTE_PGM_RSRC2:TGID_Z_EN: 0
; COMPUTE_PGM_RSRC2:TIDIG_COMP_CNT: 1
	.section	.text._ZL12mul_mat_q5_0IN3c108BFloat16ELb1EEvPKvS3_PT_iiiii,"axG",@progbits,_ZL12mul_mat_q5_0IN3c108BFloat16ELb1EEvPKvS3_PT_iiiii,comdat
	.globl	_ZL12mul_mat_q5_0IN3c108BFloat16ELb1EEvPKvS3_PT_iiiii ; -- Begin function _ZL12mul_mat_q5_0IN3c108BFloat16ELb1EEvPKvS3_PT_iiiii
	.p2align	8
	.type	_ZL12mul_mat_q5_0IN3c108BFloat16ELb1EEvPKvS3_PT_iiiii,@function
_ZL12mul_mat_q5_0IN3c108BFloat16ELb1EEvPKvS3_PT_iiiii: ; @_ZL12mul_mat_q5_0IN3c108BFloat16ELb1EEvPKvS3_PT_iiiii
; %bb.0:
	s_load_dwordx4 s[8:11], s[4:5], 0x18
	s_load_dword s14, s[4:5], 0x28
	s_lshl_b32 s15, s7, 6
	v_add_u32_e32 v74, s15, v1
	s_waitcnt lgkmcnt(0)
	s_cmp_gt_i32 s8, 31
	s_cbranch_scc1 .LBB162_2
; %bb.1:
	v_add_u32_e32 v2, s15, v1
	s_mov_b64 s[0:1], 0
	s_branch .LBB162_3
.LBB162_2:
	s_mov_b64 s[0:1], -1
                                        ; implicit-def: $vgpr2
.LBB162_3:
	s_load_dwordx2 s[12:13], s[4:5], 0x10
	s_lshl_b32 s6, s6, 7
	v_mov_b32_e32 v53, 0
	s_andn2_b64 vcc, exec, s[0:1]
	v_mov_b32_e32 v57, 0
	v_mov_b32_e32 v61, 0
	;; [unrolled: 1-line block ×31, first 2 shown]
	s_cbranch_vccnz .LBB162_14
; %bb.4:
	s_load_dwordx4 s[0:3], s[4:5], 0x0
	s_ashr_i32 s4, s8, 31
	s_lshr_b32 s4, s4, 27
	s_ashr_i32 s5, s11, 31
	s_add_i32 s4, s8, s4
	s_lshr_b32 s5, s5, 27
	s_ashr_i32 s4, s4, 5
	s_add_i32 s5, s11, s5
	s_ashr_i32 s11, s5, 5
	s_mul_i32 s5, s4, s6
	s_mul_hi_i32 s7, s5, 22
	s_mul_i32 s5, s5, 22
	s_waitcnt lgkmcnt(0)
	s_add_u32 s5, s0, s5
	s_addc_u32 s7, s1, s7
	s_not_b32 s0, s6
	s_add_i32 s1, s9, s0
	v_and_b32_e32 v19, 3, v0
	v_min_i32_e32 v2, s1, v1
	v_lshlrev_b32_e32 v18, 3, v0
	s_movk_i32 s0, 0x104
	v_mul_lo_u32 v83, v2, s4
	v_mad_u64_u32 v[2:3], s[8:9], v2, s0, v[18:19]
	v_add_u32_e32 v28, 8, v1
	v_min_i32_e32 v3, s1, v28
	v_mul_lo_u32 v84, v3, s4
	v_mad_u64_u32 v[3:4], s[8:9], v3, s0, v[18:19]
	v_add_u32_e32 v29, 16, v1
	v_min_i32_e32 v4, s1, v29
	;; [unrolled: 4-line block ×15, first 2 shown]
	v_mul_lo_u32 v100, v17, s4
	v_mad_u64_u32 v[17:18], s[8:9], v17, s0, v[18:19]
	v_lshrrev_b32_e32 v103, 3, v0
	v_lshl_add_u32 v18, v1, 2, v103
	v_min_i32_e32 v20, s1, v18
	v_ashrrev_i32_e32 v21, 31, v20
	v_lshrrev_b32_e32 v21, 30, v21
	v_and_b32_e32 v102, 7, v0
	v_mul_lo_u32 v104, v20, s4
	v_add_u32_e32 v21, v20, v21
	v_lshlrev_b32_e32 v38, 5, v20
	v_add_u32_e32 v20, 32, v18
	v_and_b32_e32 v21, -4, v21
	v_lshlrev_b32_e32 v22, 2, v102
	s_mov_b32 s8, 0xa200
	v_min_i32_e32 v20, s1, v20
	v_add3_u32 v37, v21, v22, s8
	v_ashrrev_i32_e32 v21, 31, v20
	v_lshrrev_b32_e32 v21, 30, v21
	v_mul_lo_u32 v105, v20, s4
	v_add_u32_e32 v21, v20, v21
	v_lshlrev_b32_e32 v40, 5, v20
	v_add_u32_e32 v20, 64, v18
	v_and_b32_e32 v21, -4, v21
	v_min_i32_e32 v20, s1, v20
	v_add3_u32 v39, v21, v22, s8
	v_ashrrev_i32_e32 v21, 31, v20
	v_add_u32_e32 v18, 0x60, v18
	v_lshrrev_b32_e32 v21, 30, v21
	v_min_i32_e32 v18, s1, v18
	v_mul_lo_u32 v106, v20, s4
	v_add_u32_e32 v21, v20, v21
	v_lshlrev_b32_e32 v42, 5, v20
	v_ashrrev_i32_e32 v20, 31, v18
	v_lshrrev_b32_e32 v20, 30, v20
	v_add_u32_e32 v20, v18, v20
	v_and_b32_e32 v21, -4, v21
	v_and_b32_e32 v20, -4, v20
	v_add3_u32 v41, v21, v22, s8
	v_add3_u32 v43, v20, v22, s8
	s_add_i32 s1, s10, -1
	v_lshlrev_b32_e32 v22, 2, v0
	v_lshrrev_b32_e32 v81, 2, v0
	v_mul_lo_u32 v108, v18, s4
	v_lshlrev_b32_e32 v44, 5, v18
	v_cvt_f64_i32_e32 v[20:21], s1
	v_and_b32_e32 v18, 31, v0
	v_and_b32_e32 v45, 28, v22
	v_mov_b32_e32 v24, 0x8200
	v_cvt_f64_u32_e32 v[22:23], v74
	v_lshl_or_b32 v110, v18, 2, v24
	v_lshl_add_u32 v18, v1, 3, v81
	v_and_b32_e32 v30, 63, v18
	v_add_u32_e32 v18, 8, v74
	v_cvt_f64_u32_e32 v[24:25], v18
	v_add_u32_e32 v18, 16, v74
	v_min_f64 v[22:23], v[22:23], v[20:21]
	v_cvt_f64_u32_e32 v[26:27], v18
	v_min_f64 v[24:25], v[24:25], v[20:21]
	v_or_b32_e32 v18, s15, v30
	v_min_i32_e32 v18, s1, v18
	v_min_f64 v[26:27], v[26:27], v[20:21]
	v_lshlrev_b32_e32 v82, 2, v19
	v_mad_u64_u32 v[18:19], s[8:9], v18, s11, v[19:20]
	v_cvt_i32_f64_e32 v22, v[22:23]
	v_lshl_or_b32 v19, v30, 4, v82
	v_add_u32_e32 v111, 0xb280, v19
	v_cvt_i32_f64_e32 v19, v[24:25]
	v_mul_lo_u32 v112, s11, v22
	v_cvt_i32_f64_e32 v22, v[26:27]
	v_lshlrev_b32_e32 v46, 7, v28
	v_mul_lo_u32 v114, s11, v19
	v_add_u32_e32 v19, 24, v74
	v_mul_lo_u32 v115, s11, v22
	v_cvt_f64_u32_e32 v[22:23], v19
	v_add_u32_e32 v19, 32, v74
	v_cvt_f64_u32_e32 v[24:25], v19
	v_add_u32_e32 v19, 40, v74
	v_min_f64 v[22:23], v[22:23], v[20:21]
	v_cvt_f64_u32_e32 v[26:27], v19
	v_add_u32_e32 v19, 48, v74
	v_lshlrev_b32_e32 v47, 7, v29
	v_cvt_f64_u32_e32 v[28:29], v19
	v_add_u32_e32 v19, 56, v74
	v_cvt_f64_u32_e32 v[30:31], v19
	v_min_f64 v[24:25], v[24:25], v[20:21]
	v_min_f64 v[26:27], v[26:27], v[20:21]
	v_cvt_i32_f64_e32 v48, v[22:23]
	v_min_f64 v[22:23], v[28:29], v[20:21]
	v_min_f64 v[19:20], v[30:31], v[20:21]
	v_add_u32_e32 v28, 0x60, v0
	v_mul_lo_u32 v116, s11, v48
	v_lshlrev_b32_e32 v29, 5, v0
	v_cvt_i32_f64_e32 v24, v[24:25]
	v_cvt_i32_f64_e32 v25, v[26:27]
	v_add_u32_e32 v26, 32, v0
	v_cvt_i32_f64_e32 v22, v[22:23]
	v_cvt_i32_f64_e32 v19, v[19:20]
	v_mul_lo_u32 v117, s11, v24
	v_mul_lo_u32 v118, s11, v25
	;; [unrolled: 1-line block ×4, first 2 shown]
	v_add_u32_e32 v27, 64, v0
	v_lshrrev_b32_e32 v122, 3, v26
	v_and_b32_e32 v26, 0x1fc, v26
	v_and_b32_e32 v28, 0x1fc, v28
	;; [unrolled: 1-line block ×3, first 2 shown]
	v_add_u32_e32 v26, v29, v26
	v_and_b32_e32 v30, 0xfc, v0
	v_lshlrev_b32_e32 v113, 7, v1
	v_lshlrev_b32_e32 v21, 7, v32
	;; [unrolled: 1-line block ×6, first 2 shown]
	v_mov_b32_e32 v20, s3
	v_add_co_u32_e32 v19, vcc, s2, v45
	v_add_u32_e32 v28, v29, v28
	v_add_u32_e32 v27, v29, v27
	;; [unrolled: 1-line block ×4, first 2 shown]
	v_mov_b32_e32 v30, 0xb280
	v_add_u32_e32 v131, 0xa610, v26
	v_mov_b32_e32 v26, 0x80
	v_mov_b32_e32 v76, 0
	s_add_i32 s8, s4, 3
	v_mul_u32_u24_e32 v121, 0x104, v0
	v_addc_co_u32_e32 v20, vcc, 0, v20, vcc
	v_add_u32_e32 v123, 0xae00, v28
	v_add_u32_e32 v124, 0xaa00, v27
	;; [unrolled: 1-line block ×3, first 2 shown]
	v_lshl_add_u32 v127, v1, 4, v30
	v_add_u32_e32 v128, 0x8200, v113
	v_add_u32_e32 v129, 0xae10, v28
	;; [unrolled: 1-line block ×4, first 2 shown]
	v_mad_u32_u24 v133, v0, s0, v26
	s_mov_b32 s9, 0
	s_movk_i32 s11, 0x1f00
	s_mov_b32 s16, 0xc0c0105
	v_add_u32_e32 v134, v37, v38
	v_add_u32_e32 v135, v39, v40
	;; [unrolled: 1-line block ×4, first 2 shown]
	v_mov_b32_e32 v138, 8
	v_add_u32_e32 v139, v110, v46
	v_add_u32_e32 v140, v110, v47
	;; [unrolled: 1-line block ×7, first 2 shown]
	v_mov_b32_e32 v93, 0
	v_mov_b32_e32 v78, 0
	;; [unrolled: 1-line block ×31, first 2 shown]
	s_branch .LBB162_6
.LBB162_5:                              ;   in Loop: Header=BB162_6 Depth=1
	s_add_i32 s9, s9, 8
	s_add_i32 s8, s8, -8
	s_cmp_ge_i32 s9, s4
	s_cbranch_scc1 .LBB162_13
.LBB162_6:                              ; =>This Loop Header: Depth=1
                                        ;     Child Loop BB162_8 Depth 2
                                        ;     Child Loop BB162_11 Depth 2
	s_mul_i32 s0, s9, 22
	s_mul_hi_u32 s1, s9, 22
	s_add_u32 s0, s5, s0
	s_addc_u32 s1, s7, s1
	v_mad_u64_u32 v[21:22], s[18:19], v81, 22, s[0:1]
	s_cmp_gt_u32 s8, 3
	v_mad_i64_i32 v[23:24], s[18:19], v83, 22, v[21:22]
	v_mad_i64_i32 v[29:30], s[18:19], v87, 22, v[21:22]
	v_add_co_u32_e32 v25, vcc, v23, v82
	v_addc_co_u32_e32 v26, vcc, 0, v24, vcc
	v_mad_i64_i32 v[27:28], s[18:19], v85, 22, v[21:22]
	v_mad_i64_i32 v[31:32], s[18:19], v84, 22, v[21:22]
	global_load_dword v33, v[25:26], off offset:6
	global_load_dword v39, v[29:30], off offset:2
                                        ; kill: killed $vgpr25 killed $vgpr26
	global_load_dword v34, v[27:28], off offset:2
	global_load_dword v35, v[31:32], off offset:2
	;; [unrolled: 1-line block ×3, first 2 shown]
	v_add_co_u32_e32 v23, vcc, v31, v82
	v_addc_co_u32_e32 v24, vcc, 0, v32, vcc
	global_load_dword v31, v[23:24], off offset:6
	v_add_co_u32_e32 v23, vcc, v27, v82
	v_addc_co_u32_e32 v24, vcc, 0, v28, vcc
	v_add_co_u32_e32 v25, vcc, v29, v82
	v_addc_co_u32_e32 v26, vcc, 0, v30, vcc
	global_load_dword v40, v[23:24], off offset:6
	global_load_dword v41, v[25:26], off offset:6
	s_waitcnt vmcnt(7)
	v_and_b32_e32 v24, 0xf0f0f0f, v33
	v_lshrrev_b32_e32 v25, 4, v33
	v_and_b32_e32 v25, 0xf0f0f0f, v25
	s_waitcnt vmcnt(4)
	v_ashrrev_i32_e32 v26, v82, v35
	s_waitcnt vmcnt(3)
	v_ashrrev_i32_e32 v23, v82, v36
	v_lshlrev_b32_e32 v28, 4, v23
	v_lshlrev_b32_e32 v29, 11, v23
	;; [unrolled: 1-line block ×4, first 2 shown]
	v_lshrrev_b32_e32 v33, 12, v23
	v_lshrrev_b32_e32 v35, 5, v23
	v_lshlrev_b32_e32 v36, 2, v23
	v_lshlrev_b32_e32 v23, 9, v23
	v_and_b32_e32 v28, 16, v28
	v_and_b32_e32 v29, 0x1000, v29
	;; [unrolled: 1-line block ×8, first 2 shown]
	v_or3_b32 v28, v28, v24, v29
	v_or3_b32 v24, v24, v30, v32
	;; [unrolled: 1-line block ×4, first 2 shown]
	v_and_b32_e32 v30, 0x1f00, v28
	v_lshlrev_b16_e32 v28, 8, v28
	v_and_b32_sdwa v32, v24, s11 dst_sel:DWORD dst_unused:UNUSED_PAD src0_sel:WORD_1 src1_sel:DWORD
	v_lshlrev_b16_sdwa v24, v138, v24 dst_sel:DWORD dst_unused:UNUSED_PAD src0_sel:DWORD src1_sel:WORD_1
	v_and_b32_e32 v35, 0x1f00, v29
	v_lshlrev_b16_e32 v29, 8, v29
	v_and_b32_sdwa v33, v23, s11 dst_sel:DWORD dst_unused:UNUSED_PAD src0_sel:WORD_1 src1_sel:DWORD
	v_lshlrev_b16_sdwa v23, v138, v23 dst_sel:DWORD dst_unused:UNUSED_PAD src0_sel:DWORD src1_sel:WORD_1
	v_add_u16_e32 v30, 0xf000, v30
	v_add_u16_e32 v28, 0xf000, v28
	;; [unrolled: 1-line block ×5, first 2 shown]
	v_lshlrev_b32_e32 v37, 4, v26
	v_lshlrev_b32_e32 v38, 11, v26
	v_add_u16_e32 v33, 0xf000, v33
	v_add_u16_e32 v23, 0xf000, v23
	v_perm_b32 v28, v28, v30, s16
	v_perm_b32 v24, v24, v32, s16
	v_or_b32_sdwa v29, v35, v29 dst_sel:DWORD dst_unused:UNUSED_PAD src0_sel:DWORD src1_sel:BYTE_1
	s_waitcnt vmcnt(2)
	v_and_b32_e32 v27, 0xf0f0f0f, v31
	v_lshlrev_b32_e32 v42, 18, v26
	v_lshlrev_b32_e32 v43, 25, v26
	v_and_b32_e32 v37, 16, v37
	v_and_b32_e32 v38, 0x1000, v38
	v_perm_b32 v23, v23, v33, s16
	v_lshl_or_b32 v24, v24, 16, v28
	v_add_u16_e32 v28, 0xf000, v29
	v_and_b32_e32 v42, 0x100000, v42
	v_and_b32_e32 v43, 0x10000000, v43
	v_or3_b32 v25, v37, v27, v38
	v_lshl_or_b32 v23, v23, 16, v28
	v_or3_b32 v27, v27, v42, v43
	ds_write2_b32 v2, v24, v23 offset1:1
	v_lshlrev_b16_e32 v24, 8, v25
	v_and_b32_sdwa v36, v27, s11 dst_sel:DWORD dst_unused:UNUSED_PAD src0_sel:WORD_1 src1_sel:DWORD
	v_lshlrev_b16_sdwa v27, v138, v27 dst_sel:DWORD dst_unused:UNUSED_PAD src0_sel:DWORD src1_sel:WORD_1
	v_and_b32_e32 v23, 0x1f00, v25
	v_add_u16_e32 v24, 0xf000, v24
	v_add_u16_e32 v36, 0xf000, v36
	v_add_u16_e32 v27, 0xf000, v27
	v_or_b32_sdwa v23, v23, v24 dst_sel:DWORD dst_unused:UNUSED_PAD src0_sel:DWORD src1_sel:BYTE_1
	v_perm_b32 v27, v27, v36, s16
	v_add_u16_e32 v23, 0xf000, v23
	v_lshl_or_b32 v23, v27, 16, v23
	v_lshrrev_b32_e32 v24, 4, v31
	v_lshrrev_b32_e32 v25, 12, v26
	;; [unrolled: 1-line block ×3, first 2 shown]
	v_and_b32_e32 v24, 0xf0f0f0f, v24
	v_and_b32_e32 v25, 16, v25
	;; [unrolled: 1-line block ×3, first 2 shown]
	v_or3_b32 v25, v25, v24, v27
	v_lshlrev_b32_e32 v27, 2, v26
	v_lshlrev_b32_e32 v26, 9, v26
	v_and_b32_e32 v27, 0x100000, v27
	v_and_b32_e32 v26, 0x10000000, v26
	v_or3_b32 v24, v24, v27, v26
	v_and_b32_e32 v26, 0x1f00, v25
	v_lshlrev_b16_e32 v25, 8, v25
	v_add_u16_e32 v26, 0xf000, v26
	v_add_u16_e32 v25, 0xf000, v25
	v_perm_b32 v25, v25, v26, s16
	v_and_b32_sdwa v26, v24, s11 dst_sel:DWORD dst_unused:UNUSED_PAD src0_sel:WORD_1 src1_sel:DWORD
	v_lshlrev_b16_sdwa v24, v138, v24 dst_sel:DWORD dst_unused:UNUSED_PAD src0_sel:DWORD src1_sel:WORD_1
	v_add_u16_e32 v26, 0xf000, v26
	v_add_u16_e32 v24, 0xf000, v24
	v_perm_b32 v24, v24, v26, s16
	v_lshl_or_b32 v24, v24, 16, v25
	v_ashrrev_i32_e32 v42, v82, v34
	ds_write2_b32 v3, v23, v24 offset1:1
	v_lshlrev_b32_e32 v24, 4, v42
	v_lshlrev_b32_e32 v25, 11, v42
	s_waitcnt vmcnt(1)
	v_and_b32_e32 v23, 0xf0f0f0f, v40
	v_and_b32_e32 v24, 16, v24
	;; [unrolled: 1-line block ×3, first 2 shown]
	v_or3_b32 v43, v24, v23, v25
	v_lshlrev_b32_e32 v24, 18, v42
	v_lshlrev_b32_e32 v25, 25, v42
	v_and_b32_e32 v24, 0x100000, v24
	v_and_b32_e32 v25, 0x10000000, v25
	v_or3_b32 v23, v23, v24, v25
	v_and_b32_sdwa v24, v23, s11 dst_sel:DWORD dst_unused:UNUSED_PAD src0_sel:WORD_1 src1_sel:DWORD
	v_add_u16_e32 v44, 0xf000, v24
	v_lshlrev_b16_sdwa v45, v138, v23 dst_sel:DWORD dst_unused:UNUSED_PAD src0_sel:DWORD src1_sel:WORD_1
	v_mad_i64_i32 v[23:24], s[18:19], v88, 22, v[21:22]
	v_mad_i64_i32 v[25:26], s[18:19], v89, 22, v[21:22]
	v_add_co_u32_e32 v27, vcc, v23, v82
	v_mad_i64_i32 v[31:32], s[18:19], v90, 22, v[21:22]
	v_addc_co_u32_e32 v28, vcc, 0, v24, vcc
	v_add_co_u32_e32 v29, vcc, v25, v82
	v_mad_i64_i32 v[33:34], s[18:19], v91, 22, v[21:22]
	v_addc_co_u32_e32 v30, vcc, 0, v26, vcc
	v_add_co_u32_e32 v35, vcc, v31, v82
	v_addc_co_u32_e32 v36, vcc, 0, v32, vcc
	v_add_co_u32_e32 v37, vcc, v33, v82
	v_addc_co_u32_e32 v38, vcc, 0, v34, vcc
	global_load_dword v27, v[27:28], off offset:6
	s_nop 0
	global_load_dword v28, v[29:30], off offset:6
	global_load_dword v46, v[35:36], off offset:6
	;; [unrolled: 1-line block ×4, first 2 shown]
	s_nop 0
	global_load_dword v29, v[31:32], off offset:2
	s_nop 0
	global_load_dword v25, v[25:26], off offset:2
	;; [unrolled: 2-line block ×3, first 2 shown]
	v_lshlrev_b16_e32 v30, 8, v43
	v_and_b32_e32 v26, 0x1f00, v43
	v_add_u16_e32 v30, 0xf000, v30
	v_add_u16_e32 v24, 0xf000, v45
	v_or_b32_sdwa v26, v26, v30 dst_sel:DWORD dst_unused:UNUSED_PAD src0_sel:DWORD src1_sel:BYTE_1
	v_perm_b32 v24, v24, v44, s16
	v_add_u16_e32 v26, 0xf000, v26
	v_lshl_or_b32 v24, v24, 16, v26
	v_lshrrev_b32_e32 v26, 4, v40
	v_lshrrev_b32_e32 v30, 12, v42
	v_lshrrev_b32_e32 v31, 5, v42
	v_and_b32_e32 v26, 0xf0f0f0f, v26
	v_and_b32_e32 v30, 16, v30
	v_and_b32_e32 v31, 0x1000, v31
	v_or3_b32 v30, v30, v26, v31
	v_lshlrev_b32_e32 v31, 2, v42
	v_lshlrev_b32_e32 v32, 9, v42
	v_and_b32_e32 v31, 0x100000, v31
	v_and_b32_e32 v32, 0x10000000, v32
	v_or3_b32 v26, v26, v31, v32
	v_and_b32_e32 v31, 0x1f00, v30
	v_lshlrev_b16_e32 v30, 8, v30
	v_add_u16_e32 v31, 0xf000, v31
	v_add_u16_e32 v30, 0xf000, v30
	v_perm_b32 v30, v30, v31, s16
	v_and_b32_sdwa v31, v26, s11 dst_sel:DWORD dst_unused:UNUSED_PAD src0_sel:WORD_1 src1_sel:DWORD
	v_lshlrev_b16_sdwa v26, v138, v26 dst_sel:DWORD dst_unused:UNUSED_PAD src0_sel:DWORD src1_sel:WORD_1
	v_add_u16_e32 v31, 0xf000, v31
	v_add_u16_e32 v26, 0xf000, v26
	v_perm_b32 v26, v26, v31, s16
	v_lshl_or_b32 v26, v26, 16, v30
	ds_write2_b32 v4, v24, v26 offset1:1
	v_ashrrev_i32_e32 v24, v82, v39
	v_lshlrev_b32_e32 v30, 4, v24
	v_lshlrev_b32_e32 v31, 11, v24
	s_waitcnt vmcnt(8)
	v_and_b32_e32 v26, 0xf0f0f0f, v41
	v_and_b32_e32 v30, 16, v30
	;; [unrolled: 1-line block ×3, first 2 shown]
	v_or3_b32 v30, v30, v26, v31
	v_lshlrev_b32_e32 v31, 18, v24
	v_lshlrev_b32_e32 v32, 25, v24
	v_and_b32_e32 v31, 0x100000, v31
	v_and_b32_e32 v32, 0x10000000, v32
	v_or3_b32 v26, v26, v31, v32
	v_and_b32_sdwa v31, v26, s11 dst_sel:DWORD dst_unused:UNUSED_PAD src0_sel:WORD_1 src1_sel:DWORD
	v_lshlrev_b16_sdwa v26, v138, v26 dst_sel:DWORD dst_unused:UNUSED_PAD src0_sel:DWORD src1_sel:WORD_1
	v_add_u16_e32 v31, 0xf000, v31
	v_add_u16_e32 v26, 0xf000, v26
	v_perm_b32 v26, v26, v31, s16
	v_and_b32_e32 v31, 0x1f00, v30
	v_lshlrev_b16_e32 v30, 8, v30
	v_add_u16_e32 v30, 0xf000, v30
	v_or_b32_sdwa v30, v31, v30 dst_sel:DWORD dst_unused:UNUSED_PAD src0_sel:DWORD src1_sel:BYTE_1
	v_add_u16_e32 v30, 0xf000, v30
	v_lshl_or_b32 v26, v26, 16, v30
	v_lshrrev_b32_e32 v30, 4, v41
	v_lshrrev_b32_e32 v31, 12, v24
	;; [unrolled: 1-line block ×3, first 2 shown]
	v_and_b32_e32 v30, 0xf0f0f0f, v30
	v_and_b32_e32 v31, 16, v31
	;; [unrolled: 1-line block ×3, first 2 shown]
	v_or3_b32 v31, v31, v30, v32
	v_lshlrev_b32_e32 v32, 2, v24
	v_lshlrev_b32_e32 v24, 9, v24
	v_and_b32_e32 v32, 0x100000, v32
	v_and_b32_e32 v24, 0x10000000, v24
	v_or3_b32 v24, v30, v32, v24
	v_and_b32_e32 v30, 0x1f00, v31
	v_lshlrev_b16_e32 v31, 8, v31
	v_add_u16_e32 v30, 0xf000, v30
	v_add_u16_e32 v31, 0xf000, v31
	v_perm_b32 v30, v31, v30, s16
	v_and_b32_sdwa v31, v24, s11 dst_sel:DWORD dst_unused:UNUSED_PAD src0_sel:WORD_1 src1_sel:DWORD
	v_lshlrev_b16_sdwa v24, v138, v24 dst_sel:DWORD dst_unused:UNUSED_PAD src0_sel:DWORD src1_sel:WORD_1
	v_add_u16_e32 v31, 0xf000, v31
	v_add_u16_e32 v24, 0xf000, v24
	v_perm_b32 v24, v24, v31, s16
	v_lshl_or_b32 v24, v24, 16, v30
	ds_write2_b32 v5, v26, v24 offset1:1
	s_waitcnt vmcnt(0)
	v_ashrrev_i32_e32 v23, v82, v23
	v_lshlrev_b32_e32 v26, 4, v23
	v_lshlrev_b32_e32 v30, 11, v23
	v_and_b32_e32 v24, 0xf0f0f0f, v27
	v_and_b32_e32 v26, 16, v26
	;; [unrolled: 1-line block ×3, first 2 shown]
	v_or3_b32 v26, v26, v24, v30
	v_lshlrev_b32_e32 v30, 18, v23
	v_lshlrev_b32_e32 v31, 25, v23
	v_and_b32_e32 v30, 0x100000, v30
	v_and_b32_e32 v31, 0x10000000, v31
	v_or3_b32 v24, v24, v30, v31
	v_and_b32_sdwa v30, v24, s11 dst_sel:DWORD dst_unused:UNUSED_PAD src0_sel:WORD_1 src1_sel:DWORD
	v_lshlrev_b16_sdwa v24, v138, v24 dst_sel:DWORD dst_unused:UNUSED_PAD src0_sel:DWORD src1_sel:WORD_1
	v_add_u16_e32 v30, 0xf000, v30
	v_add_u16_e32 v24, 0xf000, v24
	v_perm_b32 v24, v24, v30, s16
	v_and_b32_e32 v30, 0x1f00, v26
	v_lshlrev_b16_e32 v26, 8, v26
	v_add_u16_e32 v26, 0xf000, v26
	v_or_b32_sdwa v26, v30, v26 dst_sel:DWORD dst_unused:UNUSED_PAD src0_sel:DWORD src1_sel:BYTE_1
	v_add_u16_e32 v26, 0xf000, v26
	v_lshl_or_b32 v24, v24, 16, v26
	v_lshrrev_b32_e32 v26, 4, v27
	v_lshrrev_b32_e32 v27, 12, v23
	;; [unrolled: 1-line block ×3, first 2 shown]
	v_and_b32_e32 v26, 0xf0f0f0f, v26
	v_and_b32_e32 v27, 16, v27
	;; [unrolled: 1-line block ×3, first 2 shown]
	v_or3_b32 v27, v27, v26, v30
	v_lshlrev_b32_e32 v30, 2, v23
	v_lshlrev_b32_e32 v23, 9, v23
	v_and_b32_e32 v30, 0x100000, v30
	v_and_b32_e32 v23, 0x10000000, v23
	v_or3_b32 v23, v26, v30, v23
	v_and_b32_e32 v26, 0x1f00, v27
	v_lshlrev_b16_e32 v27, 8, v27
	v_add_u16_e32 v26, 0xf000, v26
	v_add_u16_e32 v27, 0xf000, v27
	v_perm_b32 v26, v27, v26, s16
	v_and_b32_sdwa v27, v23, s11 dst_sel:DWORD dst_unused:UNUSED_PAD src0_sel:WORD_1 src1_sel:DWORD
	v_lshlrev_b16_sdwa v23, v138, v23 dst_sel:DWORD dst_unused:UNUSED_PAD src0_sel:DWORD src1_sel:WORD_1
	v_add_u16_e32 v27, 0xf000, v27
	v_add_u16_e32 v23, 0xf000, v23
	v_perm_b32 v23, v23, v27, s16
	v_lshl_or_b32 v23, v23, 16, v26
	ds_write2_b32 v6, v24, v23 offset1:1
	v_ashrrev_i32_e32 v23, v82, v25
	v_lshlrev_b32_e32 v25, 4, v23
	v_lshlrev_b32_e32 v26, 11, v23
	v_and_b32_e32 v24, 0xf0f0f0f, v28
	v_and_b32_e32 v25, 16, v25
	;; [unrolled: 1-line block ×3, first 2 shown]
	v_or3_b32 v25, v25, v24, v26
	v_lshlrev_b32_e32 v26, 18, v23
	v_lshlrev_b32_e32 v27, 25, v23
	v_and_b32_e32 v26, 0x100000, v26
	v_and_b32_e32 v27, 0x10000000, v27
	v_or3_b32 v24, v24, v26, v27
	v_and_b32_e32 v26, 0x1f00, v25
	v_lshlrev_b16_e32 v25, 8, v25
	v_add_u16_e32 v26, 0xf000, v26
	v_add_u16_e32 v25, 0xf000, v25
	v_perm_b32 v25, v25, v26, s16
	v_and_b32_sdwa v26, v24, s11 dst_sel:DWORD dst_unused:UNUSED_PAD src0_sel:WORD_1 src1_sel:DWORD
	v_lshlrev_b16_sdwa v24, v138, v24 dst_sel:DWORD dst_unused:UNUSED_PAD src0_sel:DWORD src1_sel:WORD_1
	v_add_u16_e32 v26, 0xf000, v26
	v_add_u16_e32 v24, 0xf000, v24
	v_perm_b32 v24, v24, v26, s16
	v_lshl_or_b32 v24, v24, 16, v25
	v_lshrrev_b32_e32 v25, 4, v28
	v_lshrrev_b32_e32 v26, 12, v23
	;; [unrolled: 1-line block ×3, first 2 shown]
	v_and_b32_e32 v25, 0xf0f0f0f, v25
	v_and_b32_e32 v26, 16, v26
	;; [unrolled: 1-line block ×3, first 2 shown]
	v_or3_b32 v26, v26, v25, v27
	v_lshlrev_b32_e32 v27, 2, v23
	v_lshlrev_b32_e32 v23, 9, v23
	v_and_b32_e32 v27, 0x100000, v27
	v_and_b32_e32 v23, 0x10000000, v23
	v_or3_b32 v23, v25, v27, v23
	v_and_b32_sdwa v25, v23, s11 dst_sel:DWORD dst_unused:UNUSED_PAD src0_sel:WORD_1 src1_sel:DWORD
	v_lshlrev_b16_sdwa v23, v138, v23 dst_sel:DWORD dst_unused:UNUSED_PAD src0_sel:DWORD src1_sel:WORD_1
	v_add_u16_e32 v25, 0xf000, v25
	v_add_u16_e32 v23, 0xf000, v23
	v_perm_b32 v23, v23, v25, s16
	v_and_b32_e32 v25, 0x1f00, v26
	v_lshlrev_b16_e32 v26, 8, v26
	v_add_u16_e32 v26, 0xf000, v26
	v_or_b32_sdwa v25, v25, v26 dst_sel:DWORD dst_unused:UNUSED_PAD src0_sel:DWORD src1_sel:BYTE_1
	v_add_u16_e32 v25, 0xf000, v25
	v_lshl_or_b32 v23, v23, 16, v25
	v_ashrrev_i32_e32 v39, v82, v29
	ds_write2_b32 v7, v24, v23 offset1:1
	v_lshlrev_b32_e32 v24, 4, v39
	v_lshlrev_b32_e32 v25, 11, v39
	v_and_b32_e32 v23, 0xf0f0f0f, v46
	v_and_b32_e32 v24, 16, v24
	;; [unrolled: 1-line block ×3, first 2 shown]
	v_or3_b32 v24, v24, v23, v25
	v_lshlrev_b32_e32 v25, 18, v39
	v_lshlrev_b32_e32 v26, 25, v39
	v_and_b32_e32 v25, 0x100000, v25
	v_and_b32_e32 v26, 0x10000000, v26
	v_or3_b32 v40, v23, v25, v26
	v_and_b32_e32 v23, 0x1f00, v24
	v_add_u16_e32 v41, 0xf000, v23
	v_lshlrev_b16_e32 v42, 8, v24
	v_mad_i64_i32 v[23:24], s[18:19], v92, 22, v[21:22]
	v_mad_i64_i32 v[25:26], s[18:19], v94, 22, v[21:22]
	v_add_co_u32_e32 v27, vcc, v23, v82
	v_mad_i64_i32 v[31:32], s[18:19], v95, 22, v[21:22]
	v_addc_co_u32_e32 v28, vcc, 0, v24, vcc
	v_add_co_u32_e32 v29, vcc, v25, v82
	v_mad_i64_i32 v[33:34], s[18:19], v96, 22, v[21:22]
	v_addc_co_u32_e32 v30, vcc, 0, v26, vcc
	v_add_co_u32_e32 v35, vcc, v31, v82
	v_addc_co_u32_e32 v36, vcc, 0, v32, vcc
	v_add_co_u32_e32 v37, vcc, v33, v82
	v_addc_co_u32_e32 v38, vcc, 0, v34, vcc
	global_load_dword v27, v[27:28], off offset:6
	s_nop 0
	global_load_dword v28, v[29:30], off offset:6
	global_load_dword v43, v[35:36], off offset:6
	s_nop 0
	global_load_dword v37, v[37:38], off offset:6
	s_nop 0
	global_load_dword v38, v[33:34], off offset:2
	global_load_dword v29, v[31:32], off offset:2
	s_nop 0
	global_load_dword v25, v[25:26], off offset:2
	s_nop 0
	global_load_dword v23, v[23:24], off offset:2
	v_and_b32_sdwa v26, v40, s11 dst_sel:DWORD dst_unused:UNUSED_PAD src0_sel:WORD_1 src1_sel:DWORD
	v_lshlrev_b16_sdwa v30, v138, v40 dst_sel:DWORD dst_unused:UNUSED_PAD src0_sel:DWORD src1_sel:WORD_1
	v_add_u16_e32 v24, 0xf000, v42
	v_add_u16_e32 v26, 0xf000, v26
	;; [unrolled: 1-line block ×3, first 2 shown]
	v_perm_b32 v24, v24, v41, s16
	v_perm_b32 v26, v30, v26, s16
	v_lshl_or_b32 v24, v26, 16, v24
	v_lshrrev_b32_e32 v26, 4, v46
	v_lshrrev_b32_e32 v30, 12, v39
	;; [unrolled: 1-line block ×3, first 2 shown]
	v_and_b32_e32 v26, 0xf0f0f0f, v26
	v_and_b32_e32 v30, 16, v30
	;; [unrolled: 1-line block ×3, first 2 shown]
	v_or3_b32 v30, v30, v26, v31
	v_lshlrev_b32_e32 v31, 2, v39
	v_lshlrev_b32_e32 v32, 9, v39
	v_and_b32_e32 v31, 0x100000, v31
	v_and_b32_e32 v32, 0x10000000, v32
	v_or3_b32 v26, v26, v31, v32
	v_and_b32_sdwa v31, v26, s11 dst_sel:DWORD dst_unused:UNUSED_PAD src0_sel:WORD_1 src1_sel:DWORD
	v_lshlrev_b16_sdwa v26, v138, v26 dst_sel:DWORD dst_unused:UNUSED_PAD src0_sel:DWORD src1_sel:WORD_1
	v_add_u16_e32 v31, 0xf000, v31
	v_add_u16_e32 v26, 0xf000, v26
	v_perm_b32 v26, v26, v31, s16
	v_and_b32_e32 v31, 0x1f00, v30
	v_lshlrev_b16_e32 v30, 8, v30
	v_add_u16_e32 v30, 0xf000, v30
	v_or_b32_sdwa v30, v31, v30 dst_sel:DWORD dst_unused:UNUSED_PAD src0_sel:DWORD src1_sel:BYTE_1
	v_add_u16_e32 v30, 0xf000, v30
	v_lshl_or_b32 v26, v26, 16, v30
	ds_write2_b32 v8, v24, v26 offset1:1
	v_ashrrev_i32_e32 v24, v82, v48
	v_lshlrev_b32_e32 v30, 4, v24
	v_lshlrev_b32_e32 v31, 11, v24
	v_and_b32_e32 v26, 0xf0f0f0f, v47
	v_and_b32_e32 v30, 16, v30
	;; [unrolled: 1-line block ×3, first 2 shown]
	v_or3_b32 v30, v30, v26, v31
	v_lshlrev_b32_e32 v31, 18, v24
	v_lshlrev_b32_e32 v32, 25, v24
	v_and_b32_e32 v31, 0x100000, v31
	v_and_b32_e32 v32, 0x10000000, v32
	v_or3_b32 v26, v26, v31, v32
	v_and_b32_e32 v31, 0x1f00, v30
	v_lshlrev_b16_e32 v30, 8, v30
	v_add_u16_e32 v31, 0xf000, v31
	v_add_u16_e32 v30, 0xf000, v30
	v_perm_b32 v30, v30, v31, s16
	v_and_b32_sdwa v31, v26, s11 dst_sel:DWORD dst_unused:UNUSED_PAD src0_sel:WORD_1 src1_sel:DWORD
	v_lshlrev_b16_sdwa v26, v138, v26 dst_sel:DWORD dst_unused:UNUSED_PAD src0_sel:DWORD src1_sel:WORD_1
	v_add_u16_e32 v31, 0xf000, v31
	v_add_u16_e32 v26, 0xf000, v26
	v_perm_b32 v26, v26, v31, s16
	v_lshl_or_b32 v26, v26, 16, v30
	v_lshrrev_b32_e32 v30, 4, v47
	v_lshrrev_b32_e32 v31, 12, v24
	;; [unrolled: 1-line block ×3, first 2 shown]
	v_and_b32_e32 v30, 0xf0f0f0f, v30
	v_and_b32_e32 v31, 16, v31
	;; [unrolled: 1-line block ×3, first 2 shown]
	v_or3_b32 v31, v31, v30, v32
	v_lshlrev_b32_e32 v32, 2, v24
	v_lshlrev_b32_e32 v24, 9, v24
	v_and_b32_e32 v32, 0x100000, v32
	v_and_b32_e32 v24, 0x10000000, v24
	v_or3_b32 v24, v30, v32, v24
	v_and_b32_sdwa v30, v24, s11 dst_sel:DWORD dst_unused:UNUSED_PAD src0_sel:WORD_1 src1_sel:DWORD
	v_lshlrev_b16_sdwa v24, v138, v24 dst_sel:DWORD dst_unused:UNUSED_PAD src0_sel:DWORD src1_sel:WORD_1
	v_add_u16_e32 v30, 0xf000, v30
	v_add_u16_e32 v24, 0xf000, v24
	v_perm_b32 v24, v24, v30, s16
	v_and_b32_e32 v30, 0x1f00, v31
	v_lshlrev_b16_e32 v31, 8, v31
	v_add_u16_e32 v31, 0xf000, v31
	v_or_b32_sdwa v30, v30, v31 dst_sel:DWORD dst_unused:UNUSED_PAD src0_sel:DWORD src1_sel:BYTE_1
	v_add_u16_e32 v30, 0xf000, v30
	v_lshl_or_b32 v24, v24, 16, v30
	ds_write2_b32 v9, v26, v24 offset1:1
	s_waitcnt vmcnt(0)
	v_ashrrev_i32_e32 v23, v82, v23
	v_lshlrev_b32_e32 v26, 4, v23
	v_lshlrev_b32_e32 v30, 11, v23
	v_and_b32_e32 v24, 0xf0f0f0f, v27
	v_and_b32_e32 v26, 16, v26
	;; [unrolled: 1-line block ×3, first 2 shown]
	v_or3_b32 v26, v26, v24, v30
	v_lshlrev_b32_e32 v30, 18, v23
	v_lshlrev_b32_e32 v31, 25, v23
	v_and_b32_e32 v30, 0x100000, v30
	v_and_b32_e32 v31, 0x10000000, v31
	v_or3_b32 v24, v24, v30, v31
	v_and_b32_e32 v30, 0x1f00, v26
	v_lshlrev_b16_e32 v26, 8, v26
	v_add_u16_e32 v30, 0xf000, v30
	v_add_u16_e32 v26, 0xf000, v26
	v_perm_b32 v26, v26, v30, s16
	v_and_b32_sdwa v30, v24, s11 dst_sel:DWORD dst_unused:UNUSED_PAD src0_sel:WORD_1 src1_sel:DWORD
	v_lshlrev_b16_sdwa v24, v138, v24 dst_sel:DWORD dst_unused:UNUSED_PAD src0_sel:DWORD src1_sel:WORD_1
	v_add_u16_e32 v30, 0xf000, v30
	v_add_u16_e32 v24, 0xf000, v24
	v_perm_b32 v24, v24, v30, s16
	v_lshl_or_b32 v24, v24, 16, v26
	v_lshrrev_b32_e32 v26, 4, v27
	v_lshrrev_b32_e32 v27, 12, v23
	v_lshrrev_b32_e32 v30, 5, v23
	v_and_b32_e32 v26, 0xf0f0f0f, v26
	v_and_b32_e32 v27, 16, v27
	;; [unrolled: 1-line block ×3, first 2 shown]
	v_or3_b32 v27, v27, v26, v30
	v_lshlrev_b32_e32 v30, 2, v23
	v_lshlrev_b32_e32 v23, 9, v23
	v_and_b32_e32 v30, 0x100000, v30
	v_and_b32_e32 v23, 0x10000000, v23
	v_or3_b32 v23, v26, v30, v23
	v_and_b32_sdwa v26, v23, s11 dst_sel:DWORD dst_unused:UNUSED_PAD src0_sel:WORD_1 src1_sel:DWORD
	v_lshlrev_b16_sdwa v23, v138, v23 dst_sel:DWORD dst_unused:UNUSED_PAD src0_sel:DWORD src1_sel:WORD_1
	v_add_u16_e32 v26, 0xf000, v26
	v_add_u16_e32 v23, 0xf000, v23
	v_perm_b32 v23, v23, v26, s16
	v_and_b32_e32 v26, 0x1f00, v27
	v_lshlrev_b16_e32 v27, 8, v27
	v_add_u16_e32 v27, 0xf000, v27
	v_or_b32_sdwa v26, v26, v27 dst_sel:DWORD dst_unused:UNUSED_PAD src0_sel:DWORD src1_sel:BYTE_1
	v_add_u16_e32 v26, 0xf000, v26
	v_lshl_or_b32 v23, v23, 16, v26
	ds_write2_b32 v10, v24, v23 offset1:1
	v_ashrrev_i32_e32 v23, v82, v25
	v_lshlrev_b32_e32 v25, 4, v23
	v_lshlrev_b32_e32 v26, 11, v23
	v_and_b32_e32 v24, 0xf0f0f0f, v28
	v_and_b32_e32 v25, 16, v25
	;; [unrolled: 1-line block ×3, first 2 shown]
	v_or3_b32 v25, v25, v24, v26
	v_lshlrev_b32_e32 v26, 18, v23
	v_lshlrev_b32_e32 v27, 25, v23
	v_and_b32_e32 v26, 0x100000, v26
	v_and_b32_e32 v27, 0x10000000, v27
	v_or3_b32 v24, v24, v26, v27
	v_and_b32_e32 v26, 0x1f00, v25
	v_lshlrev_b16_e32 v25, 8, v25
	v_add_u16_e32 v26, 0xf000, v26
	v_add_u16_e32 v25, 0xf000, v25
	v_perm_b32 v25, v25, v26, s16
	v_and_b32_sdwa v26, v24, s11 dst_sel:DWORD dst_unused:UNUSED_PAD src0_sel:WORD_1 src1_sel:DWORD
	v_lshlrev_b16_sdwa v24, v138, v24 dst_sel:DWORD dst_unused:UNUSED_PAD src0_sel:DWORD src1_sel:WORD_1
	v_add_u16_e32 v26, 0xf000, v26
	v_add_u16_e32 v24, 0xf000, v24
	v_perm_b32 v24, v24, v26, s16
	v_lshl_or_b32 v24, v24, 16, v25
	v_lshrrev_b32_e32 v25, 4, v28
	v_lshrrev_b32_e32 v26, 12, v23
	;; [unrolled: 1-line block ×3, first 2 shown]
	v_and_b32_e32 v25, 0xf0f0f0f, v25
	v_and_b32_e32 v26, 16, v26
	v_and_b32_e32 v27, 0x1000, v27
	v_or3_b32 v26, v26, v25, v27
	v_lshlrev_b32_e32 v27, 2, v23
	v_lshlrev_b32_e32 v23, 9, v23
	v_and_b32_e32 v27, 0x100000, v27
	v_and_b32_e32 v23, 0x10000000, v23
	v_or3_b32 v23, v25, v27, v23
	v_and_b32_sdwa v25, v23, s11 dst_sel:DWORD dst_unused:UNUSED_PAD src0_sel:WORD_1 src1_sel:DWORD
	v_lshlrev_b16_sdwa v23, v138, v23 dst_sel:DWORD dst_unused:UNUSED_PAD src0_sel:DWORD src1_sel:WORD_1
	v_add_u16_e32 v25, 0xf000, v25
	v_add_u16_e32 v23, 0xf000, v23
	v_perm_b32 v23, v23, v25, s16
	v_and_b32_e32 v25, 0x1f00, v26
	v_lshlrev_b16_e32 v26, 8, v26
	v_add_u16_e32 v26, 0xf000, v26
	v_or_b32_sdwa v25, v25, v26 dst_sel:DWORD dst_unused:UNUSED_PAD src0_sel:DWORD src1_sel:BYTE_1
	v_add_u16_e32 v25, 0xf000, v25
	v_lshl_or_b32 v23, v23, 16, v25
	v_ashrrev_i32_e32 v39, v82, v29
	ds_write2_b32 v11, v24, v23 offset1:1
	v_lshlrev_b32_e32 v24, 4, v39
	v_lshlrev_b32_e32 v25, 11, v39
	v_and_b32_e32 v23, 0xf0f0f0f, v43
	v_and_b32_e32 v24, 16, v24
	;; [unrolled: 1-line block ×3, first 2 shown]
	v_or3_b32 v24, v24, v23, v25
	v_lshlrev_b32_e32 v25, 18, v39
	v_lshlrev_b32_e32 v26, 25, v39
	v_and_b32_e32 v25, 0x100000, v25
	v_and_b32_e32 v26, 0x10000000, v26
	v_or3_b32 v40, v23, v25, v26
	v_and_b32_e32 v23, 0x1f00, v24
	v_add_u16_e32 v41, 0xf000, v23
	v_lshlrev_b16_e32 v42, 8, v24
	v_mad_i64_i32 v[23:24], s[18:19], v97, 22, v[21:22]
	v_mad_i64_i32 v[25:26], s[18:19], v98, 22, v[21:22]
	v_add_co_u32_e32 v27, vcc, v23, v82
	v_mad_i64_i32 v[31:32], s[18:19], v99, 22, v[21:22]
	v_addc_co_u32_e32 v28, vcc, 0, v24, vcc
	v_add_co_u32_e32 v29, vcc, v25, v82
	v_mad_i64_i32 v[21:22], s[18:19], v100, 22, v[21:22]
	v_addc_co_u32_e32 v30, vcc, 0, v26, vcc
	v_add_co_u32_e32 v33, vcc, v31, v82
	v_addc_co_u32_e32 v34, vcc, 0, v32, vcc
	v_add_co_u32_e32 v35, vcc, v21, v82
	v_addc_co_u32_e32 v36, vcc, 0, v22, vcc
	global_load_dword v27, v[27:28], off offset:6
	s_nop 0
	global_load_dword v28, v[29:30], off offset:6
	s_nop 0
	global_load_dword v29, v[33:34], off offset:6
	global_load_dword v30, v[35:36], off offset:6
	s_nop 0
	global_load_dword v33, v[21:22], off offset:2
	s_nop 0
	global_load_dword v21, v[31:32], off offset:2
	global_load_dword v22, v[25:26], off offset:2
	s_nop 0
	global_load_dword v23, v[23:24], off offset:2
	v_and_b32_sdwa v25, v40, s11 dst_sel:DWORD dst_unused:UNUSED_PAD src0_sel:WORD_1 src1_sel:DWORD
	v_lshlrev_b16_sdwa v26, v138, v40 dst_sel:DWORD dst_unused:UNUSED_PAD src0_sel:DWORD src1_sel:WORD_1
	v_add_u16_e32 v24, 0xf000, v42
	v_add_u16_e32 v25, 0xf000, v25
	;; [unrolled: 1-line block ×3, first 2 shown]
	v_perm_b32 v24, v24, v41, s16
	v_perm_b32 v25, v26, v25, s16
	v_lshl_or_b32 v24, v25, 16, v24
	v_lshrrev_b32_e32 v25, 4, v43
	v_lshrrev_b32_e32 v26, 12, v39
	;; [unrolled: 1-line block ×3, first 2 shown]
	v_and_b32_e32 v25, 0xf0f0f0f, v25
	v_and_b32_e32 v26, 16, v26
	;; [unrolled: 1-line block ×3, first 2 shown]
	v_or3_b32 v26, v26, v25, v31
	v_lshlrev_b32_e32 v31, 2, v39
	v_lshlrev_b32_e32 v32, 9, v39
	v_and_b32_e32 v31, 0x100000, v31
	v_and_b32_e32 v32, 0x10000000, v32
	v_or3_b32 v25, v25, v31, v32
	v_and_b32_sdwa v31, v25, s11 dst_sel:DWORD dst_unused:UNUSED_PAD src0_sel:WORD_1 src1_sel:DWORD
	v_lshlrev_b16_sdwa v25, v138, v25 dst_sel:DWORD dst_unused:UNUSED_PAD src0_sel:DWORD src1_sel:WORD_1
	v_add_u16_e32 v31, 0xf000, v31
	v_add_u16_e32 v25, 0xf000, v25
	v_perm_b32 v25, v25, v31, s16
	v_and_b32_e32 v31, 0x1f00, v26
	v_lshlrev_b16_e32 v26, 8, v26
	v_add_u16_e32 v26, 0xf000, v26
	v_or_b32_sdwa v26, v31, v26 dst_sel:DWORD dst_unused:UNUSED_PAD src0_sel:DWORD src1_sel:BYTE_1
	v_add_u16_e32 v26, 0xf000, v26
	v_lshl_or_b32 v25, v25, 16, v26
	ds_write2_b32 v12, v24, v25 offset1:1
	v_ashrrev_i32_e32 v24, v82, v38
	v_lshlrev_b32_e32 v26, 4, v24
	v_lshlrev_b32_e32 v31, 11, v24
	v_and_b32_e32 v25, 0xf0f0f0f, v37
	v_and_b32_e32 v26, 16, v26
	;; [unrolled: 1-line block ×3, first 2 shown]
	v_or3_b32 v26, v26, v25, v31
	v_lshlrev_b32_e32 v31, 18, v24
	v_lshlrev_b32_e32 v32, 25, v24
	v_and_b32_e32 v31, 0x100000, v31
	v_and_b32_e32 v32, 0x10000000, v32
	v_or3_b32 v25, v25, v31, v32
	v_and_b32_e32 v31, 0x1f00, v26
	v_lshlrev_b16_e32 v26, 8, v26
	v_add_u16_e32 v31, 0xf000, v31
	v_add_u16_e32 v26, 0xf000, v26
	v_perm_b32 v26, v26, v31, s16
	v_and_b32_sdwa v31, v25, s11 dst_sel:DWORD dst_unused:UNUSED_PAD src0_sel:WORD_1 src1_sel:DWORD
	v_lshlrev_b16_sdwa v25, v138, v25 dst_sel:DWORD dst_unused:UNUSED_PAD src0_sel:DWORD src1_sel:WORD_1
	v_add_u16_e32 v31, 0xf000, v31
	v_add_u16_e32 v25, 0xf000, v25
	v_perm_b32 v25, v25, v31, s16
	v_lshl_or_b32 v25, v25, 16, v26
	v_lshrrev_b32_e32 v26, 4, v37
	v_lshrrev_b32_e32 v31, 12, v24
	;; [unrolled: 1-line block ×3, first 2 shown]
	v_and_b32_e32 v26, 0xf0f0f0f, v26
	v_and_b32_e32 v31, 16, v31
	v_and_b32_e32 v32, 0x1000, v32
	v_or3_b32 v31, v31, v26, v32
	v_lshlrev_b32_e32 v32, 2, v24
	v_lshlrev_b32_e32 v24, 9, v24
	v_and_b32_e32 v32, 0x100000, v32
	v_and_b32_e32 v24, 0x10000000, v24
	v_or3_b32 v24, v26, v32, v24
	v_and_b32_sdwa v26, v24, s11 dst_sel:DWORD dst_unused:UNUSED_PAD src0_sel:WORD_1 src1_sel:DWORD
	v_lshlrev_b16_sdwa v24, v138, v24 dst_sel:DWORD dst_unused:UNUSED_PAD src0_sel:DWORD src1_sel:WORD_1
	v_add_u16_e32 v26, 0xf000, v26
	v_add_u16_e32 v24, 0xf000, v24
	v_perm_b32 v24, v24, v26, s16
	v_and_b32_e32 v26, 0x1f00, v31
	v_lshlrev_b16_e32 v31, 8, v31
	v_add_u16_e32 v31, 0xf000, v31
	v_or_b32_sdwa v26, v26, v31 dst_sel:DWORD dst_unused:UNUSED_PAD src0_sel:DWORD src1_sel:BYTE_1
	v_add_u16_e32 v26, 0xf000, v26
	v_lshl_or_b32 v24, v24, 16, v26
	ds_write2_b32 v13, v25, v24 offset1:1
	s_waitcnt vmcnt(0)
	v_ashrrev_i32_e32 v23, v82, v23
	v_lshlrev_b32_e32 v25, 4, v23
	v_lshlrev_b32_e32 v26, 11, v23
	v_and_b32_e32 v24, 0xf0f0f0f, v27
	v_and_b32_e32 v25, 16, v25
	;; [unrolled: 1-line block ×3, first 2 shown]
	v_or3_b32 v25, v25, v24, v26
	v_lshlrev_b32_e32 v26, 18, v23
	v_lshlrev_b32_e32 v31, 25, v23
	v_and_b32_e32 v26, 0x100000, v26
	v_and_b32_e32 v31, 0x10000000, v31
	v_or3_b32 v24, v24, v26, v31
	v_and_b32_e32 v26, 0x1f00, v25
	v_lshlrev_b16_e32 v25, 8, v25
	v_add_u16_e32 v26, 0xf000, v26
	v_add_u16_e32 v25, 0xf000, v25
	v_perm_b32 v25, v25, v26, s16
	v_and_b32_sdwa v26, v24, s11 dst_sel:DWORD dst_unused:UNUSED_PAD src0_sel:WORD_1 src1_sel:DWORD
	v_lshlrev_b16_sdwa v24, v138, v24 dst_sel:DWORD dst_unused:UNUSED_PAD src0_sel:DWORD src1_sel:WORD_1
	v_add_u16_e32 v26, 0xf000, v26
	v_add_u16_e32 v24, 0xf000, v24
	v_perm_b32 v24, v24, v26, s16
	v_lshl_or_b32 v24, v24, 16, v25
	v_lshrrev_b32_e32 v25, 4, v27
	v_lshrrev_b32_e32 v26, 12, v23
	;; [unrolled: 1-line block ×3, first 2 shown]
	v_and_b32_e32 v25, 0xf0f0f0f, v25
	v_and_b32_e32 v26, 16, v26
	;; [unrolled: 1-line block ×3, first 2 shown]
	v_or3_b32 v26, v26, v25, v27
	v_lshlrev_b32_e32 v27, 2, v23
	v_lshlrev_b32_e32 v23, 9, v23
	v_and_b32_e32 v27, 0x100000, v27
	v_and_b32_e32 v23, 0x10000000, v23
	v_or3_b32 v23, v25, v27, v23
	v_and_b32_sdwa v25, v23, s11 dst_sel:DWORD dst_unused:UNUSED_PAD src0_sel:WORD_1 src1_sel:DWORD
	v_lshlrev_b16_sdwa v23, v138, v23 dst_sel:DWORD dst_unused:UNUSED_PAD src0_sel:DWORD src1_sel:WORD_1
	v_add_u16_e32 v25, 0xf000, v25
	v_add_u16_e32 v23, 0xf000, v23
	v_perm_b32 v23, v23, v25, s16
	v_and_b32_e32 v25, 0x1f00, v26
	v_lshlrev_b16_e32 v26, 8, v26
	v_add_u16_e32 v26, 0xf000, v26
	v_or_b32_sdwa v25, v25, v26 dst_sel:DWORD dst_unused:UNUSED_PAD src0_sel:DWORD src1_sel:BYTE_1
	v_add_u16_e32 v25, 0xf000, v25
	v_lshl_or_b32 v23, v23, 16, v25
	v_ashrrev_i32_e32 v22, v82, v22
	ds_write2_b32 v14, v24, v23 offset1:1
	v_lshlrev_b32_e32 v24, 4, v22
	v_lshlrev_b32_e32 v25, 11, v22
	v_and_b32_e32 v23, 0xf0f0f0f, v28
	v_and_b32_e32 v24, 16, v24
	;; [unrolled: 1-line block ×3, first 2 shown]
	v_or3_b32 v24, v24, v23, v25
	v_lshlrev_b32_e32 v25, 18, v22
	v_lshlrev_b32_e32 v26, 25, v22
	v_and_b32_e32 v25, 0x100000, v25
	v_and_b32_e32 v26, 0x10000000, v26
	v_or3_b32 v23, v23, v25, v26
	v_and_b32_e32 v25, 0x1f00, v24
	v_lshlrev_b16_e32 v24, 8, v24
	v_add_u16_e32 v25, 0xf000, v25
	v_add_u16_e32 v24, 0xf000, v24
	v_perm_b32 v24, v24, v25, s16
	v_and_b32_sdwa v25, v23, s11 dst_sel:DWORD dst_unused:UNUSED_PAD src0_sel:WORD_1 src1_sel:DWORD
	v_lshlrev_b16_sdwa v23, v138, v23 dst_sel:DWORD dst_unused:UNUSED_PAD src0_sel:DWORD src1_sel:WORD_1
	v_add_u16_e32 v25, 0xf000, v25
	v_add_u16_e32 v23, 0xf000, v23
	v_perm_b32 v23, v23, v25, s16
	v_lshl_or_b32 v23, v23, 16, v24
	v_lshrrev_b32_e32 v24, 4, v28
	v_lshrrev_b32_e32 v25, 12, v22
	;; [unrolled: 1-line block ×3, first 2 shown]
	v_and_b32_e32 v24, 0xf0f0f0f, v24
	v_and_b32_e32 v25, 16, v25
	;; [unrolled: 1-line block ×3, first 2 shown]
	v_or3_b32 v25, v25, v24, v26
	v_lshlrev_b32_e32 v26, 2, v22
	v_lshlrev_b32_e32 v22, 9, v22
	v_and_b32_e32 v26, 0x100000, v26
	v_and_b32_e32 v22, 0x10000000, v22
	v_or3_b32 v22, v24, v26, v22
	v_and_b32_sdwa v24, v22, s11 dst_sel:DWORD dst_unused:UNUSED_PAD src0_sel:WORD_1 src1_sel:DWORD
	v_lshlrev_b16_sdwa v22, v138, v22 dst_sel:DWORD dst_unused:UNUSED_PAD src0_sel:DWORD src1_sel:WORD_1
	v_add_u16_e32 v24, 0xf000, v24
	v_add_u16_e32 v22, 0xf000, v22
	v_perm_b32 v22, v22, v24, s16
	v_and_b32_e32 v24, 0x1f00, v25
	v_lshlrev_b16_e32 v25, 8, v25
	v_add_u16_e32 v25, 0xf000, v25
	v_or_b32_sdwa v24, v24, v25 dst_sel:DWORD dst_unused:UNUSED_PAD src0_sel:DWORD src1_sel:BYTE_1
	v_add_u16_e32 v24, 0xf000, v24
	v_lshl_or_b32 v22, v22, 16, v24
	v_ashrrev_i32_e32 v27, v82, v21
	ds_write2_b32 v15, v23, v22 offset1:1
	v_lshlrev_b32_e32 v22, 4, v27
	v_lshlrev_b32_e32 v23, 11, v27
	v_and_b32_e32 v21, 0xf0f0f0f, v29
	v_and_b32_e32 v22, 16, v22
	;; [unrolled: 1-line block ×3, first 2 shown]
	v_or3_b32 v23, v22, v21, v23
	v_lshlrev_b32_e32 v22, 18, v27
	v_lshlrev_b32_e32 v24, 25, v27
	v_and_b32_e32 v22, 0x100000, v22
	v_and_b32_e32 v24, 0x10000000, v24
	v_or3_b32 v28, v21, v22, v24
	v_mad_u64_u32 v[21:22], s[0:1], v102, 22, s[0:1]
	v_and_b32_e32 v24, 0x1f00, v23
	v_add_u16_e32 v25, 0xf000, v24
	v_lshlrev_b16_e32 v26, 8, v23
	v_mad_i64_i32 v[23:24], s[0:1], v104, 22, v[21:22]
	v_add_u16_e32 v26, 0xf000, v26
	v_perm_b32 v31, v26, v25, s16
	global_load_ushort v34, v[23:24], off
	v_mad_i64_i32 v[23:24], s[0:1], v105, 22, v[21:22]
	v_mad_i64_i32 v[25:26], s[0:1], v106, 22, v[21:22]
	;; [unrolled: 1-line block ×3, first 2 shown]
	global_load_ushort v23, v[23:24], off
	s_nop 0
	global_load_ushort v24, v[25:26], off
	v_and_b32_sdwa v32, v28, s11 dst_sel:DWORD dst_unused:UNUSED_PAD src0_sel:WORD_1 src1_sel:DWORD
	global_load_ushort v21, v[21:22], off
	v_lshlrev_b16_sdwa v22, v138, v28 dst_sel:DWORD dst_unused:UNUSED_PAD src0_sel:DWORD src1_sel:WORD_1
	v_add_u16_e32 v25, 0xf000, v32
	v_add_u16_e32 v22, 0xf000, v22
	v_perm_b32 v22, v22, v25, s16
	v_lshrrev_b32_e32 v25, 4, v29
	v_lshrrev_b32_e32 v26, 12, v27
	;; [unrolled: 1-line block ×3, first 2 shown]
	v_and_b32_e32 v25, 0xf0f0f0f, v25
	v_and_b32_e32 v26, 16, v26
	;; [unrolled: 1-line block ×3, first 2 shown]
	v_or3_b32 v26, v26, v25, v28
	v_lshlrev_b32_e32 v28, 2, v27
	v_lshlrev_b32_e32 v27, 9, v27
	v_and_b32_e32 v28, 0x100000, v28
	v_and_b32_e32 v27, 0x10000000, v27
	v_or3_b32 v25, v25, v28, v27
	v_and_b32_sdwa v27, v25, s11 dst_sel:DWORD dst_unused:UNUSED_PAD src0_sel:WORD_1 src1_sel:DWORD
	v_lshlrev_b16_sdwa v25, v138, v25 dst_sel:DWORD dst_unused:UNUSED_PAD src0_sel:DWORD src1_sel:WORD_1
	v_add_u16_e32 v27, 0xf000, v27
	v_add_u16_e32 v25, 0xf000, v25
	v_perm_b32 v25, v25, v27, s16
	v_and_b32_e32 v27, 0x1f00, v26
	v_lshlrev_b16_e32 v26, 8, v26
	v_add_u16_e32 v26, 0xf000, v26
	v_or_b32_sdwa v26, v27, v26 dst_sel:DWORD dst_unused:UNUSED_PAD src0_sel:DWORD src1_sel:BYTE_1
	v_add_u16_e32 v26, 0xf000, v26
	v_lshl_or_b32 v22, v22, 16, v31
	v_lshl_or_b32 v25, v25, 16, v26
	ds_write2_b32 v16, v22, v25 offset1:1
	v_ashrrev_i32_e32 v22, v82, v33
	v_lshlrev_b32_e32 v26, 4, v22
	v_lshlrev_b32_e32 v27, 11, v22
	v_and_b32_e32 v25, 0xf0f0f0f, v30
	v_and_b32_e32 v26, 16, v26
	;; [unrolled: 1-line block ×3, first 2 shown]
	v_or3_b32 v26, v26, v25, v27
	v_lshlrev_b32_e32 v27, 18, v22
	v_lshlrev_b32_e32 v28, 25, v22
	v_and_b32_e32 v27, 0x100000, v27
	v_and_b32_e32 v28, 0x10000000, v28
	v_or3_b32 v25, v25, v27, v28
	v_and_b32_e32 v27, 0x1f00, v26
	v_lshlrev_b16_e32 v26, 8, v26
	v_add_u16_e32 v27, 0xf000, v27
	v_add_u16_e32 v26, 0xf000, v26
	v_perm_b32 v26, v26, v27, s16
	v_and_b32_sdwa v27, v25, s11 dst_sel:DWORD dst_unused:UNUSED_PAD src0_sel:WORD_1 src1_sel:DWORD
	v_lshlrev_b16_sdwa v25, v138, v25 dst_sel:DWORD dst_unused:UNUSED_PAD src0_sel:DWORD src1_sel:WORD_1
	v_add_u16_e32 v27, 0xf000, v27
	v_add_u16_e32 v25, 0xf000, v25
	v_perm_b32 v25, v25, v27, s16
	v_lshl_or_b32 v25, v25, 16, v26
	v_lshrrev_b32_e32 v26, 4, v30
	v_lshrrev_b32_e32 v27, 12, v22
	;; [unrolled: 1-line block ×3, first 2 shown]
	v_and_b32_e32 v26, 0xf0f0f0f, v26
	v_and_b32_e32 v27, 16, v27
	;; [unrolled: 1-line block ×3, first 2 shown]
	v_or3_b32 v27, v27, v26, v28
	v_lshlrev_b32_e32 v28, 2, v22
	v_lshlrev_b32_e32 v22, 9, v22
	v_and_b32_e32 v28, 0x100000, v28
	v_and_b32_e32 v22, 0x10000000, v22
	v_or3_b32 v22, v26, v28, v22
	v_and_b32_sdwa v26, v22, s11 dst_sel:DWORD dst_unused:UNUSED_PAD src0_sel:WORD_1 src1_sel:DWORD
	v_lshlrev_b16_sdwa v22, v138, v22 dst_sel:DWORD dst_unused:UNUSED_PAD src0_sel:DWORD src1_sel:WORD_1
	v_add_u16_e32 v26, 0xf000, v26
	v_add_u16_e32 v22, 0xf000, v22
	v_perm_b32 v22, v22, v26, s16
	v_and_b32_e32 v26, 0x1f00, v27
	v_lshlrev_b16_e32 v27, 8, v27
	v_add_u16_e32 v27, 0xf000, v27
	v_or_b32_sdwa v26, v26, v27 dst_sel:DWORD dst_unused:UNUSED_PAD src0_sel:DWORD src1_sel:BYTE_1
	v_add_u16_e32 v26, 0xf000, v26
	v_lshl_or_b32 v22, v22, 16, v26
	s_waitcnt vmcnt(3)
	v_cvt_f32_f16_e32 v26, v34
	ds_write2_b32 v17, v25, v22 offset1:1
	s_waitcnt vmcnt(2)
	v_cvt_f32_f16_e32 v22, v23
	s_waitcnt vmcnt(1)
	v_cvt_f32_f16_e32 v23, v24
	;; [unrolled: 2-line block ×3, first 2 shown]
	ds_write_b32 v134, v26
	ds_write_b32 v135, v22
	;; [unrolled: 1-line block ×4, first 2 shown]
	s_cbranch_scc0 .LBB162_5
; %bb.7:                                ;   in Loop: Header=BB162_6 Depth=1
	v_add_u32_e32 v146, s9, v18
	v_add_u32_e32 v37, s9, v103
	;; [unrolled: 1-line block ×3, first 2 shown]
	v_mad_u64_u32 v[35:36], s[0:1], v146, 36, s[2:3]
	v_mad_i64_i32 v[21:22], s[0:1], v21, 36, v[19:20]
	v_add_u32_e32 v23, v37, v114
	v_mad_i64_i32 v[23:24], s[0:1], v23, 36, v[19:20]
	v_add_u32_e32 v25, v37, v115
	v_add_u32_e32 v27, v37, v116
	v_mad_i64_i32 v[25:26], s[0:1], v25, 36, v[19:20]
	v_mad_i64_i32 v[27:28], s[0:1], v27, 36, v[19:20]
	v_add_u32_e32 v29, v37, v117
	v_add_u32_e32 v31, v37, v118
	;; [unrolled: 1-line block ×4, first 2 shown]
	v_mad_i64_i32 v[29:30], s[0:1], v29, 36, v[19:20]
	v_mad_i64_i32 v[31:32], s[0:1], v31, 36, v[19:20]
	v_mad_i64_i32 v[33:34], s[0:1], v33, 36, v[19:20]
	v_mad_i64_i32 v[37:38], s[0:1], v37, 36, v[19:20]
	global_load_dword v35, v[35:36], off
	s_nop 0
	global_load_dword v21, v[21:22], off offset:4
	s_nop 0
	global_load_dword v22, v[23:24], off offset:4
	s_nop 0
	global_load_dword v23, v[25:26], off offset:4
	global_load_dword v24, v[27:28], off offset:4
	s_nop 0
	global_load_dword v25, v[29:30], off offset:4
	global_load_dword v26, v[31:32], off offset:4
	;; [unrolled: 1-line block ×4, first 2 shown]
	v_add_u32_e32 v147, v110, v113
	s_mov_b32 s0, -4
	v_mov_b32_e32 v148, v128
	v_mov_b32_e32 v149, v121
	;; [unrolled: 1-line block ×7, first 2 shown]
	s_waitcnt vmcnt(8)
	v_cvt_f32_f16_e32 v29, v35
	s_waitcnt vmcnt(7)
	ds_write_b32 v147, v21
	s_waitcnt vmcnt(6)
	ds_write_b32 v139, v22
	;; [unrolled: 2-line block ×8, first 2 shown]
	ds_write_b32 v111, v29
	s_waitcnt lgkmcnt(0)
	s_barrier
.LBB162_8:                              ;   Parent Loop BB162_6 Depth=1
                                        ; =>  This Inner Loop Header: Depth=2
	ds_read_b128 v[159:162], v148
	ds_read_b128 v[163:166], v148 offset:16
	ds_read2_b32 v[167:168], v150 offset1:32
	ds_read_b32 v155, v151
	ds_read2_b32 v[21:22], v149 offset1:1
	s_add_i32 s0, s0, 4
	v_add_u32_e32 v151, 4, v151
	s_cmp_lt_u32 s0, 12
	s_waitcnt lgkmcnt(1)
	v_mul_f32_e32 v30, v167, v155
	s_waitcnt lgkmcnt(0)
	v_dot4_i32_i8 v23, v21, v159, 0
	v_dot4_i32_i8 v25, v22, v163, v23
	ds_read2_b32 v[23:24], v149 offset0:2 offset1:3
	v_mul_f32_e32 v169, v155, v168
	s_waitcnt lgkmcnt(0)
	v_dot4_i32_i8 v25, v23, v160, v25
	v_dot4_i32_i8 v27, v24, v164, v25
	ds_read2_b32 v[25:26], v149 offset0:4 offset1:5
	s_waitcnt lgkmcnt(0)
	v_dot4_i32_i8 v27, v25, v161, v27
	v_dot4_i32_i8 v29, v26, v165, v27
	ds_read2_b32 v[27:28], v149 offset0:6 offset1:7
	s_waitcnt lgkmcnt(0)
	v_dot4_i32_i8 v29, v27, v162, v29
	v_dot4_i32_i8 v29, v28, v166, v29
	v_cvt_f32_i32_e32 v29, v29
	v_fmac_f32_e32 v76, v30, v29
	v_add_u32_e32 v29, 0x2080, v149
	ds_read_b32 v156, v152
	ds_read2_b32 v[29:30], v29 offset1:1
	v_add_u32_e32 v152, 4, v152
	s_waitcnt lgkmcnt(1)
	v_mul_f32_e32 v38, v167, v156
	s_waitcnt lgkmcnt(0)
	v_dot4_i32_i8 v31, v29, v159, 0
	v_dot4_i32_i8 v33, v30, v163, v31
	v_add_u32_e32 v31, 0x2088, v149
	ds_read2_b32 v[31:32], v31 offset1:1
	s_waitcnt lgkmcnt(0)
	v_dot4_i32_i8 v33, v31, v160, v33
	v_dot4_i32_i8 v35, v32, v164, v33
	v_add_u32_e32 v33, 0x2090, v149
	ds_read2_b32 v[33:34], v33 offset1:1
	;; [unrolled: 5-line block ×3, first 2 shown]
	s_waitcnt lgkmcnt(0)
	v_dot4_i32_i8 v37, v35, v162, v37
	v_dot4_i32_i8 v37, v36, v166, v37
	v_cvt_f32_i32_e32 v37, v37
	v_fmac_f32_e32 v109, v38, v37
	v_add_u32_e32 v37, 0x4100, v149
	ds_read_b32 v157, v153
	ds_read2_b32 v[37:38], v37 offset1:1
	v_add_u32_e32 v153, 4, v153
	s_waitcnt lgkmcnt(1)
	v_mul_f32_e32 v46, v167, v157
	s_waitcnt lgkmcnt(0)
	v_dot4_i32_i8 v39, v37, v159, 0
	v_dot4_i32_i8 v41, v38, v163, v39
	v_add_u32_e32 v39, 0x4108, v149
	ds_read2_b32 v[39:40], v39 offset1:1
	s_waitcnt lgkmcnt(0)
	v_dot4_i32_i8 v41, v39, v160, v41
	v_dot4_i32_i8 v43, v40, v164, v41
	v_add_u32_e32 v41, 0x4110, v149
	ds_read2_b32 v[41:42], v41 offset1:1
	;; [unrolled: 5-line block ×3, first 2 shown]
	s_waitcnt lgkmcnt(0)
	v_dot4_i32_i8 v45, v43, v162, v45
	v_dot4_i32_i8 v45, v44, v166, v45
	v_cvt_f32_i32_e32 v45, v45
	v_fmac_f32_e32 v107, v46, v45
	v_add_u32_e32 v45, 0x6180, v149
	ds_read_b32 v158, v154
	ds_read2_b32 v[45:46], v45 offset1:1
	v_add_u32_e32 v154, 4, v154
	s_waitcnt lgkmcnt(0)
	v_dot4_i32_i8 v47, v45, v159, 0
	v_dot4_i32_i8 v49, v46, v163, v47
	v_add_u32_e32 v47, 0x6188, v149
	ds_read2_b32 v[47:48], v47 offset1:1
	s_waitcnt lgkmcnt(0)
	v_dot4_i32_i8 v49, v47, v160, v49
	v_dot4_i32_i8 v51, v48, v164, v49
	v_add_u32_e32 v49, 0x6190, v149
	ds_read2_b32 v[49:50], v49 offset1:1
	v_mul_f32_e32 v160, v167, v158
	s_waitcnt lgkmcnt(0)
	v_dot4_i32_i8 v51, v49, v161, v51
	v_dot4_i32_i8 v159, v50, v165, v51
	v_add_u32_e32 v51, 0x6198, v149
	ds_read2_b32 v[51:52], v51 offset1:1
	v_add_u32_e32 v149, 32, v149
	s_waitcnt lgkmcnt(0)
	v_dot4_i32_i8 v159, v51, v162, v159
	v_dot4_i32_i8 v159, v52, v166, v159
	v_cvt_f32_i32_e32 v159, v159
	v_fmac_f32_e32 v101, v160, v159
	ds_read_b128 v[159:162], v148 offset:1024
	ds_read_b128 v[163:166], v148 offset:1040
	s_waitcnt lgkmcnt(1)
	v_dot4_i32_i8 v167, v21, v159, 0
	s_waitcnt lgkmcnt(0)
	v_dot4_i32_i8 v167, v22, v163, v167
	v_dot4_i32_i8 v167, v23, v160, v167
	;; [unrolled: 1-line block ×7, first 2 shown]
	v_cvt_f32_i32_e32 v167, v167
	v_fmac_f32_e32 v93, v169, v167
	v_dot4_i32_i8 v167, v29, v159, 0
	v_dot4_i32_i8 v167, v30, v163, v167
	;; [unrolled: 1-line block ×8, first 2 shown]
	v_cvt_f32_i32_e32 v167, v167
	v_mul_f32_e32 v169, v156, v168
	v_fmac_f32_e32 v86, v169, v167
	v_dot4_i32_i8 v167, v37, v159, 0
	v_dot4_i32_i8 v159, v45, v159, 0
	;; [unrolled: 1-line block ×16, first 2 shown]
	v_cvt_f32_i32_e32 v167, v167
	v_cvt_f32_i32_e32 v159, v159
	v_mul_f32_e32 v169, v157, v168
	v_mul_f32_e32 v160, v158, v168
	v_fmac_f32_e32 v80, v169, v167
	v_fmac_f32_e32 v79, v160, v159
	ds_read_b128 v[159:162], v148 offset:2048
	ds_read_b128 v[163:166], v148 offset:2064
	ds_read2_b32 v[167:168], v150 offset0:64 offset1:96
	s_waitcnt lgkmcnt(2)
	v_dot4_i32_i8 v169, v21, v159, 0
	s_waitcnt lgkmcnt(1)
	v_dot4_i32_i8 v169, v22, v163, v169
	v_dot4_i32_i8 v169, v23, v160, v169
	;; [unrolled: 1-line block ×7, first 2 shown]
	v_cvt_f32_i32_e32 v169, v169
	s_waitcnt lgkmcnt(0)
	v_mul_f32_e32 v170, v155, v167
	v_fmac_f32_e32 v78, v170, v169
	v_dot4_i32_i8 v169, v29, v159, 0
	v_dot4_i32_i8 v169, v30, v163, v169
	;; [unrolled: 1-line block ×8, first 2 shown]
	v_cvt_f32_i32_e32 v169, v169
	v_mul_f32_e32 v170, v156, v167
	v_fmac_f32_e32 v77, v170, v169
	v_dot4_i32_i8 v169, v37, v159, 0
	v_dot4_i32_i8 v159, v45, v159, 0
	;; [unrolled: 1-line block ×12, first 2 shown]
	v_cvt_f32_i32_e32 v159, v159
	v_dot4_i32_i8 v169, v41, v161, v169
	v_dot4_i32_i8 v169, v42, v165, v169
	;; [unrolled: 1-line block ×3, first 2 shown]
	v_mul_f32_e32 v160, v158, v167
	v_dot4_i32_i8 v169, v44, v166, v169
	v_fmac_f32_e32 v73, v160, v159
	ds_read_b128 v[159:162], v148 offset:3072
	ds_read_b128 v[163:166], v148 offset:3088
	v_mul_f32_e32 v170, v157, v167
	v_cvt_f32_i32_e32 v169, v169
	s_waitcnt lgkmcnt(1)
	v_dot4_i32_i8 v167, v21, v159, 0
	s_waitcnt lgkmcnt(0)
	v_dot4_i32_i8 v167, v22, v163, v167
	v_dot4_i32_i8 v167, v23, v160, v167
	;; [unrolled: 1-line block ×7, first 2 shown]
	v_cvt_f32_i32_e32 v167, v167
	v_fmac_f32_e32 v75, v170, v169
	v_mul_f32_e32 v169, v155, v168
	v_fmac_f32_e32 v72, v169, v167
	v_dot4_i32_i8 v167, v29, v159, 0
	v_dot4_i32_i8 v167, v30, v163, v167
	;; [unrolled: 1-line block ×8, first 2 shown]
	v_cvt_f32_i32_e32 v167, v167
	v_mul_f32_e32 v169, v156, v168
	v_fmac_f32_e32 v71, v169, v167
	v_dot4_i32_i8 v167, v37, v159, 0
	v_dot4_i32_i8 v159, v45, v159, 0
	;; [unrolled: 1-line block ×16, first 2 shown]
	v_cvt_f32_i32_e32 v167, v167
	v_cvt_f32_i32_e32 v159, v159
	v_mul_f32_e32 v169, v157, v168
	v_mul_f32_e32 v160, v158, v168
	v_fmac_f32_e32 v70, v169, v167
	v_fmac_f32_e32 v69, v160, v159
	ds_read_b128 v[159:162], v148 offset:4096
	ds_read_b128 v[163:166], v148 offset:4112
	ds_read2_b32 v[167:168], v150 offset0:128 offset1:160
	s_waitcnt lgkmcnt(2)
	v_dot4_i32_i8 v169, v21, v159, 0
	s_waitcnt lgkmcnt(1)
	v_dot4_i32_i8 v169, v22, v163, v169
	v_dot4_i32_i8 v169, v23, v160, v169
	;; [unrolled: 1-line block ×7, first 2 shown]
	v_cvt_f32_i32_e32 v169, v169
	s_waitcnt lgkmcnt(0)
	v_mul_f32_e32 v170, v155, v167
	v_fmac_f32_e32 v68, v170, v169
	v_dot4_i32_i8 v169, v29, v159, 0
	v_dot4_i32_i8 v169, v30, v163, v169
	;; [unrolled: 1-line block ×8, first 2 shown]
	v_cvt_f32_i32_e32 v169, v169
	v_mul_f32_e32 v170, v156, v167
	v_fmac_f32_e32 v67, v170, v169
	v_dot4_i32_i8 v169, v37, v159, 0
	v_dot4_i32_i8 v159, v45, v159, 0
	;; [unrolled: 1-line block ×12, first 2 shown]
	v_cvt_f32_i32_e32 v159, v159
	v_dot4_i32_i8 v169, v41, v161, v169
	v_dot4_i32_i8 v169, v42, v165, v169
	;; [unrolled: 1-line block ×3, first 2 shown]
	v_mul_f32_e32 v160, v158, v167
	v_dot4_i32_i8 v169, v44, v166, v169
	v_fmac_f32_e32 v65, v160, v159
	ds_read_b128 v[159:162], v148 offset:5120
	ds_read_b128 v[163:166], v148 offset:5136
	v_mul_f32_e32 v170, v157, v167
	v_cvt_f32_i32_e32 v169, v169
	s_waitcnt lgkmcnt(1)
	v_dot4_i32_i8 v167, v21, v159, 0
	s_waitcnt lgkmcnt(0)
	v_dot4_i32_i8 v167, v22, v163, v167
	v_dot4_i32_i8 v167, v23, v160, v167
	;; [unrolled: 1-line block ×7, first 2 shown]
	v_cvt_f32_i32_e32 v167, v167
	v_fmac_f32_e32 v66, v170, v169
	v_mul_f32_e32 v169, v155, v168
	v_fmac_f32_e32 v64, v169, v167
	v_dot4_i32_i8 v167, v29, v159, 0
	v_dot4_i32_i8 v167, v30, v163, v167
	;; [unrolled: 1-line block ×8, first 2 shown]
	v_cvt_f32_i32_e32 v167, v167
	v_mul_f32_e32 v169, v156, v168
	v_fmac_f32_e32 v63, v169, v167
	v_dot4_i32_i8 v167, v37, v159, 0
	v_dot4_i32_i8 v159, v45, v159, 0
	;; [unrolled: 1-line block ×16, first 2 shown]
	v_cvt_f32_i32_e32 v167, v167
	v_cvt_f32_i32_e32 v159, v159
	v_mul_f32_e32 v169, v157, v168
	v_mul_f32_e32 v160, v158, v168
	v_fmac_f32_e32 v62, v169, v167
	v_fmac_f32_e32 v61, v160, v159
	ds_read_b128 v[159:162], v148 offset:6144
	ds_read_b128 v[163:166], v148 offset:6160
	ds_read2_b32 v[167:168], v150 offset0:192 offset1:224
	v_add_u32_e32 v150, 4, v150
	s_waitcnt lgkmcnt(2)
	v_dot4_i32_i8 v169, v21, v159, 0
	s_waitcnt lgkmcnt(1)
	v_dot4_i32_i8 v169, v22, v163, v169
	v_dot4_i32_i8 v169, v23, v160, v169
	v_dot4_i32_i8 v169, v24, v164, v169
	v_dot4_i32_i8 v169, v25, v161, v169
	v_dot4_i32_i8 v169, v26, v165, v169
	v_dot4_i32_i8 v169, v27, v162, v169
	v_dot4_i32_i8 v169, v28, v166, v169
	v_cvt_f32_i32_e32 v169, v169
	s_waitcnt lgkmcnt(0)
	v_mul_f32_e32 v170, v155, v167
	v_fmac_f32_e32 v60, v170, v169
	v_dot4_i32_i8 v169, v29, v159, 0
	v_dot4_i32_i8 v169, v30, v163, v169
	;; [unrolled: 1-line block ×8, first 2 shown]
	v_cvt_f32_i32_e32 v169, v169
	v_mul_f32_e32 v170, v156, v167
	v_fmac_f32_e32 v59, v170, v169
	v_dot4_i32_i8 v169, v37, v159, 0
	v_dot4_i32_i8 v159, v45, v159, 0
	;; [unrolled: 1-line block ×12, first 2 shown]
	v_cvt_f32_i32_e32 v159, v159
	v_dot4_i32_i8 v169, v41, v161, v169
	v_dot4_i32_i8 v169, v42, v165, v169
	;; [unrolled: 1-line block ×3, first 2 shown]
	v_mul_f32_e32 v160, v158, v167
	v_dot4_i32_i8 v169, v44, v166, v169
	v_fmac_f32_e32 v57, v160, v159
	ds_read_b128 v[159:162], v148 offset:7168
	ds_read_b128 v[163:166], v148 offset:7184
	v_cvt_f32_i32_e32 v169, v169
	v_mul_f32_e32 v170, v157, v167
	v_add_u32_e32 v148, 32, v148
	s_waitcnt lgkmcnt(1)
	v_dot4_i32_i8 v21, v21, v159, 0
	s_waitcnt lgkmcnt(0)
	v_dot4_i32_i8 v21, v22, v163, v21
	v_dot4_i32_i8 v21, v23, v160, v21
	v_dot4_i32_i8 v21, v24, v164, v21
	v_dot4_i32_i8 v21, v25, v161, v21
	v_dot4_i32_i8 v21, v26, v165, v21
	v_dot4_i32_i8 v21, v27, v162, v21
	v_dot4_i32_i8 v21, v28, v166, v21
	v_cvt_f32_i32_e32 v21, v21
	v_mul_f32_e32 v22, v155, v168
	v_fmac_f32_e32 v58, v170, v169
	v_fmac_f32_e32 v56, v22, v21
	v_dot4_i32_i8 v21, v29, v159, 0
	v_dot4_i32_i8 v21, v30, v163, v21
	v_dot4_i32_i8 v21, v31, v160, v21
	v_dot4_i32_i8 v21, v32, v164, v21
	v_dot4_i32_i8 v21, v33, v161, v21
	v_dot4_i32_i8 v21, v34, v165, v21
	v_dot4_i32_i8 v21, v35, v162, v21
	v_dot4_i32_i8 v21, v36, v166, v21
	v_cvt_f32_i32_e32 v21, v21
	v_mul_f32_e32 v22, v156, v168
	v_fmac_f32_e32 v55, v22, v21
	v_dot4_i32_i8 v21, v37, v159, 0
	v_dot4_i32_i8 v21, v38, v163, v21
	v_dot4_i32_i8 v21, v39, v160, v21
	v_dot4_i32_i8 v21, v40, v164, v21
	v_dot4_i32_i8 v21, v41, v161, v21
	v_dot4_i32_i8 v21, v42, v165, v21
	v_dot4_i32_i8 v21, v43, v162, v21
	v_dot4_i32_i8 v21, v44, v166, v21
	v_cvt_f32_i32_e32 v21, v21
	v_mul_f32_e32 v22, v157, v168
	;; [unrolled: 11-line block ×3, first 2 shown]
	v_fmac_f32_e32 v53, v22, v21
	s_cbranch_scc1 .LBB162_8
; %bb.9:                                ;   in Loop: Header=BB162_6 Depth=1
	s_and_b32 s0, s8, -4
	s_cmp_eq_u32 s0, 4
	s_barrier
	s_cbranch_scc1 .LBB162_5
; %bb.10:                               ;   in Loop: Header=BB162_6 Depth=1
	v_add_u32_e32 v37, s9, v122
	v_add_u32_e32 v35, 4, v146
	;; [unrolled: 1-line block ×3, first 2 shown]
	v_mad_u64_u32 v[35:36], s[0:1], v35, 36, s[2:3]
	v_mad_i64_i32 v[21:22], s[0:1], v21, 36, v[19:20]
	v_add_u32_e32 v23, v37, v114
	v_mad_i64_i32 v[23:24], s[0:1], v23, 36, v[19:20]
	v_add_u32_e32 v25, v37, v115
	v_add_u32_e32 v27, v37, v116
	v_mad_i64_i32 v[25:26], s[0:1], v25, 36, v[19:20]
	v_mad_i64_i32 v[27:28], s[0:1], v27, 36, v[19:20]
	v_add_u32_e32 v29, v37, v117
	v_add_u32_e32 v31, v37, v118
	;; [unrolled: 1-line block ×4, first 2 shown]
	v_mad_i64_i32 v[29:30], s[0:1], v29, 36, v[19:20]
	v_mad_i64_i32 v[31:32], s[0:1], v31, 36, v[19:20]
	;; [unrolled: 1-line block ×4, first 2 shown]
	global_load_dword v35, v[35:36], off
	s_nop 0
	global_load_dword v21, v[21:22], off offset:4
	s_nop 0
	global_load_dword v22, v[23:24], off offset:4
	;; [unrolled: 2-line block ×3, first 2 shown]
	global_load_dword v24, v[27:28], off offset:4
	s_nop 0
	global_load_dword v25, v[29:30], off offset:4
	global_load_dword v26, v[31:32], off offset:4
	;; [unrolled: 1-line block ×4, first 2 shown]
	s_mov_b32 s0, 12
	v_mov_b32_e32 v146, v127
	v_mov_b32_e32 v148, v128
	;; [unrolled: 1-line block ×6, first 2 shown]
	s_waitcnt vmcnt(8)
	v_cvt_f32_f16_e32 v29, v35
	s_waitcnt vmcnt(7)
	ds_write_b32 v147, v21
	s_waitcnt vmcnt(6)
	ds_write_b32 v139, v22
	;; [unrolled: 2-line block ×8, first 2 shown]
	ds_write_b32 v111, v29
	v_mov_b32_e32 v147, v129
	s_waitcnt lgkmcnt(0)
	s_barrier
.LBB162_11:                             ;   Parent Loop BB162_6 Depth=1
                                        ; =>  This Inner Loop Header: Depth=2
	ds_read_b128 v[157:160], v148
	ds_read_b128 v[161:164], v148 offset:16
	ds_read2_b32 v[165:166], v146 offset1:32
	ds_read_b32 v153, v150
	ds_read2_b32 v[21:22], v149 offset1:1
	s_add_i32 s0, s0, 4
	v_add_u32_e32 v150, 4, v150
	s_cmp_lt_u32 s0, 28
	s_waitcnt lgkmcnt(1)
	v_mul_f32_e32 v30, v165, v153
	s_waitcnt lgkmcnt(0)
	v_dot4_i32_i8 v23, v21, v157, 0
	v_dot4_i32_i8 v25, v22, v161, v23
	ds_read2_b32 v[23:24], v149 offset0:2 offset1:3
	v_mul_f32_e32 v167, v153, v166
	s_waitcnt lgkmcnt(0)
	v_dot4_i32_i8 v25, v23, v158, v25
	v_dot4_i32_i8 v27, v24, v162, v25
	ds_read2_b32 v[25:26], v149 offset0:4 offset1:5
	s_waitcnt lgkmcnt(0)
	v_dot4_i32_i8 v27, v25, v159, v27
	v_dot4_i32_i8 v29, v26, v163, v27
	ds_read2_b32 v[27:28], v149 offset0:6 offset1:7
	s_waitcnt lgkmcnt(0)
	v_dot4_i32_i8 v29, v27, v160, v29
	v_dot4_i32_i8 v29, v28, v164, v29
	v_cvt_f32_i32_e32 v29, v29
	v_fmac_f32_e32 v76, v30, v29
	v_add_u32_e32 v29, 0x2080, v149
	ds_read_b32 v154, v151
	ds_read2_b32 v[29:30], v29 offset1:1
	v_add_u32_e32 v151, 4, v151
	s_waitcnt lgkmcnt(1)
	v_mul_f32_e32 v38, v165, v154
	s_waitcnt lgkmcnt(0)
	v_dot4_i32_i8 v31, v29, v157, 0
	v_dot4_i32_i8 v33, v30, v161, v31
	v_add_u32_e32 v31, 0x2088, v149
	ds_read2_b32 v[31:32], v31 offset1:1
	s_waitcnt lgkmcnt(0)
	v_dot4_i32_i8 v33, v31, v158, v33
	v_dot4_i32_i8 v35, v32, v162, v33
	v_add_u32_e32 v33, 0x2090, v149
	ds_read2_b32 v[33:34], v33 offset1:1
	;; [unrolled: 5-line block ×3, first 2 shown]
	s_waitcnt lgkmcnt(0)
	v_dot4_i32_i8 v37, v35, v160, v37
	v_dot4_i32_i8 v37, v36, v164, v37
	v_cvt_f32_i32_e32 v37, v37
	v_fmac_f32_e32 v109, v38, v37
	v_add_u32_e32 v37, 0x4100, v149
	ds_read_b32 v155, v152
	ds_read2_b32 v[37:38], v37 offset1:1
	v_add_u32_e32 v152, 4, v152
	s_waitcnt lgkmcnt(1)
	v_mul_f32_e32 v46, v165, v155
	s_waitcnt lgkmcnt(0)
	v_dot4_i32_i8 v39, v37, v157, 0
	v_dot4_i32_i8 v41, v38, v161, v39
	v_add_u32_e32 v39, 0x4108, v149
	ds_read2_b32 v[39:40], v39 offset1:1
	s_waitcnt lgkmcnt(0)
	v_dot4_i32_i8 v41, v39, v158, v41
	v_dot4_i32_i8 v43, v40, v162, v41
	v_add_u32_e32 v41, 0x4110, v149
	ds_read2_b32 v[41:42], v41 offset1:1
	;; [unrolled: 5-line block ×3, first 2 shown]
	s_waitcnt lgkmcnt(0)
	v_dot4_i32_i8 v45, v43, v160, v45
	v_dot4_i32_i8 v45, v44, v164, v45
	v_cvt_f32_i32_e32 v45, v45
	v_fmac_f32_e32 v107, v46, v45
	v_add_u32_e32 v45, 0x6180, v149
	ds_read_b32 v156, v147
	ds_read2_b32 v[45:46], v45 offset1:1
	v_add_u32_e32 v147, 4, v147
	s_waitcnt lgkmcnt(0)
	v_dot4_i32_i8 v47, v45, v157, 0
	v_dot4_i32_i8 v49, v46, v161, v47
	v_add_u32_e32 v47, 0x6188, v149
	ds_read2_b32 v[47:48], v47 offset1:1
	s_waitcnt lgkmcnt(0)
	v_dot4_i32_i8 v49, v47, v158, v49
	v_dot4_i32_i8 v51, v48, v162, v49
	v_add_u32_e32 v49, 0x6190, v149
	ds_read2_b32 v[49:50], v49 offset1:1
	v_mul_f32_e32 v158, v165, v156
	s_waitcnt lgkmcnt(0)
	v_dot4_i32_i8 v51, v49, v159, v51
	v_dot4_i32_i8 v157, v50, v163, v51
	v_add_u32_e32 v51, 0x6198, v149
	ds_read2_b32 v[51:52], v51 offset1:1
	v_add_u32_e32 v149, 32, v149
	s_waitcnt lgkmcnt(0)
	v_dot4_i32_i8 v157, v51, v160, v157
	v_dot4_i32_i8 v157, v52, v164, v157
	v_cvt_f32_i32_e32 v157, v157
	v_fmac_f32_e32 v101, v158, v157
	ds_read_b128 v[157:160], v148 offset:1024
	ds_read_b128 v[161:164], v148 offset:1040
	s_waitcnt lgkmcnt(1)
	v_dot4_i32_i8 v165, v21, v157, 0
	s_waitcnt lgkmcnt(0)
	v_dot4_i32_i8 v165, v22, v161, v165
	v_dot4_i32_i8 v165, v23, v158, v165
	;; [unrolled: 1-line block ×7, first 2 shown]
	v_cvt_f32_i32_e32 v165, v165
	v_fmac_f32_e32 v93, v167, v165
	v_dot4_i32_i8 v165, v29, v157, 0
	v_dot4_i32_i8 v165, v30, v161, v165
	;; [unrolled: 1-line block ×8, first 2 shown]
	v_cvt_f32_i32_e32 v165, v165
	v_mul_f32_e32 v167, v154, v166
	v_fmac_f32_e32 v86, v167, v165
	v_dot4_i32_i8 v165, v37, v157, 0
	v_dot4_i32_i8 v157, v45, v157, 0
	;; [unrolled: 1-line block ×16, first 2 shown]
	v_cvt_f32_i32_e32 v165, v165
	v_cvt_f32_i32_e32 v157, v157
	v_mul_f32_e32 v167, v155, v166
	v_mul_f32_e32 v158, v156, v166
	v_fmac_f32_e32 v80, v167, v165
	v_fmac_f32_e32 v79, v158, v157
	ds_read_b128 v[157:160], v148 offset:2048
	ds_read_b128 v[161:164], v148 offset:2064
	ds_read2_b32 v[165:166], v146 offset0:64 offset1:96
	s_waitcnt lgkmcnt(2)
	v_dot4_i32_i8 v167, v21, v157, 0
	s_waitcnt lgkmcnt(1)
	v_dot4_i32_i8 v167, v22, v161, v167
	v_dot4_i32_i8 v167, v23, v158, v167
	;; [unrolled: 1-line block ×7, first 2 shown]
	v_cvt_f32_i32_e32 v167, v167
	s_waitcnt lgkmcnt(0)
	v_mul_f32_e32 v168, v153, v165
	v_fmac_f32_e32 v78, v168, v167
	v_dot4_i32_i8 v167, v29, v157, 0
	v_dot4_i32_i8 v167, v30, v161, v167
	;; [unrolled: 1-line block ×8, first 2 shown]
	v_cvt_f32_i32_e32 v167, v167
	v_mul_f32_e32 v168, v154, v165
	v_fmac_f32_e32 v77, v168, v167
	v_dot4_i32_i8 v167, v37, v157, 0
	v_dot4_i32_i8 v157, v45, v157, 0
	;; [unrolled: 1-line block ×12, first 2 shown]
	v_cvt_f32_i32_e32 v157, v157
	v_dot4_i32_i8 v167, v41, v159, v167
	v_dot4_i32_i8 v167, v42, v163, v167
	;; [unrolled: 1-line block ×3, first 2 shown]
	v_mul_f32_e32 v158, v156, v165
	v_dot4_i32_i8 v167, v44, v164, v167
	v_fmac_f32_e32 v73, v158, v157
	ds_read_b128 v[157:160], v148 offset:3072
	ds_read_b128 v[161:164], v148 offset:3088
	v_mul_f32_e32 v168, v155, v165
	v_cvt_f32_i32_e32 v167, v167
	s_waitcnt lgkmcnt(1)
	v_dot4_i32_i8 v165, v21, v157, 0
	s_waitcnt lgkmcnt(0)
	v_dot4_i32_i8 v165, v22, v161, v165
	v_dot4_i32_i8 v165, v23, v158, v165
	;; [unrolled: 1-line block ×7, first 2 shown]
	v_cvt_f32_i32_e32 v165, v165
	v_fmac_f32_e32 v75, v168, v167
	v_mul_f32_e32 v167, v153, v166
	v_fmac_f32_e32 v72, v167, v165
	v_dot4_i32_i8 v165, v29, v157, 0
	v_dot4_i32_i8 v165, v30, v161, v165
	;; [unrolled: 1-line block ×8, first 2 shown]
	v_cvt_f32_i32_e32 v165, v165
	v_mul_f32_e32 v167, v154, v166
	v_fmac_f32_e32 v71, v167, v165
	v_dot4_i32_i8 v165, v37, v157, 0
	v_dot4_i32_i8 v157, v45, v157, 0
	;; [unrolled: 1-line block ×16, first 2 shown]
	v_cvt_f32_i32_e32 v165, v165
	v_cvt_f32_i32_e32 v157, v157
	v_mul_f32_e32 v167, v155, v166
	v_mul_f32_e32 v158, v156, v166
	v_fmac_f32_e32 v70, v167, v165
	v_fmac_f32_e32 v69, v158, v157
	ds_read_b128 v[157:160], v148 offset:4096
	ds_read_b128 v[161:164], v148 offset:4112
	ds_read2_b32 v[165:166], v146 offset0:128 offset1:160
	s_waitcnt lgkmcnt(2)
	v_dot4_i32_i8 v167, v21, v157, 0
	s_waitcnt lgkmcnt(1)
	v_dot4_i32_i8 v167, v22, v161, v167
	v_dot4_i32_i8 v167, v23, v158, v167
	;; [unrolled: 1-line block ×7, first 2 shown]
	v_cvt_f32_i32_e32 v167, v167
	s_waitcnt lgkmcnt(0)
	v_mul_f32_e32 v168, v153, v165
	v_fmac_f32_e32 v68, v168, v167
	v_dot4_i32_i8 v167, v29, v157, 0
	v_dot4_i32_i8 v167, v30, v161, v167
	;; [unrolled: 1-line block ×8, first 2 shown]
	v_cvt_f32_i32_e32 v167, v167
	v_mul_f32_e32 v168, v154, v165
	v_fmac_f32_e32 v67, v168, v167
	v_dot4_i32_i8 v167, v37, v157, 0
	v_dot4_i32_i8 v157, v45, v157, 0
	;; [unrolled: 1-line block ×12, first 2 shown]
	v_cvt_f32_i32_e32 v157, v157
	v_dot4_i32_i8 v167, v41, v159, v167
	v_dot4_i32_i8 v167, v42, v163, v167
	;; [unrolled: 1-line block ×3, first 2 shown]
	v_mul_f32_e32 v158, v156, v165
	v_dot4_i32_i8 v167, v44, v164, v167
	v_fmac_f32_e32 v65, v158, v157
	ds_read_b128 v[157:160], v148 offset:5120
	ds_read_b128 v[161:164], v148 offset:5136
	v_mul_f32_e32 v168, v155, v165
	v_cvt_f32_i32_e32 v167, v167
	s_waitcnt lgkmcnt(1)
	v_dot4_i32_i8 v165, v21, v157, 0
	s_waitcnt lgkmcnt(0)
	v_dot4_i32_i8 v165, v22, v161, v165
	v_dot4_i32_i8 v165, v23, v158, v165
	;; [unrolled: 1-line block ×7, first 2 shown]
	v_cvt_f32_i32_e32 v165, v165
	v_fmac_f32_e32 v66, v168, v167
	v_mul_f32_e32 v167, v153, v166
	v_fmac_f32_e32 v64, v167, v165
	v_dot4_i32_i8 v165, v29, v157, 0
	v_dot4_i32_i8 v165, v30, v161, v165
	;; [unrolled: 1-line block ×8, first 2 shown]
	v_cvt_f32_i32_e32 v165, v165
	v_mul_f32_e32 v167, v154, v166
	v_fmac_f32_e32 v63, v167, v165
	v_dot4_i32_i8 v165, v37, v157, 0
	v_dot4_i32_i8 v157, v45, v157, 0
	;; [unrolled: 1-line block ×16, first 2 shown]
	v_cvt_f32_i32_e32 v165, v165
	v_cvt_f32_i32_e32 v157, v157
	v_mul_f32_e32 v167, v155, v166
	v_mul_f32_e32 v158, v156, v166
	v_fmac_f32_e32 v62, v167, v165
	v_fmac_f32_e32 v61, v158, v157
	ds_read_b128 v[157:160], v148 offset:6144
	ds_read_b128 v[161:164], v148 offset:6160
	ds_read2_b32 v[165:166], v146 offset0:192 offset1:224
	v_add_u32_e32 v146, 4, v146
	s_waitcnt lgkmcnt(2)
	v_dot4_i32_i8 v167, v21, v157, 0
	s_waitcnt lgkmcnt(1)
	v_dot4_i32_i8 v167, v22, v161, v167
	v_dot4_i32_i8 v167, v23, v158, v167
	;; [unrolled: 1-line block ×7, first 2 shown]
	v_cvt_f32_i32_e32 v167, v167
	s_waitcnt lgkmcnt(0)
	v_mul_f32_e32 v168, v153, v165
	v_fmac_f32_e32 v60, v168, v167
	v_dot4_i32_i8 v167, v29, v157, 0
	v_dot4_i32_i8 v167, v30, v161, v167
	;; [unrolled: 1-line block ×8, first 2 shown]
	v_cvt_f32_i32_e32 v167, v167
	v_mul_f32_e32 v168, v154, v165
	v_fmac_f32_e32 v59, v168, v167
	v_dot4_i32_i8 v167, v37, v157, 0
	v_dot4_i32_i8 v157, v45, v157, 0
	;; [unrolled: 1-line block ×12, first 2 shown]
	v_cvt_f32_i32_e32 v157, v157
	v_dot4_i32_i8 v167, v41, v159, v167
	v_dot4_i32_i8 v167, v42, v163, v167
	;; [unrolled: 1-line block ×3, first 2 shown]
	v_mul_f32_e32 v158, v156, v165
	v_dot4_i32_i8 v167, v44, v164, v167
	v_fmac_f32_e32 v57, v158, v157
	ds_read_b128 v[157:160], v148 offset:7168
	ds_read_b128 v[161:164], v148 offset:7184
	v_cvt_f32_i32_e32 v167, v167
	v_mul_f32_e32 v168, v155, v165
	v_add_u32_e32 v148, 32, v148
	s_waitcnt lgkmcnt(1)
	v_dot4_i32_i8 v21, v21, v157, 0
	s_waitcnt lgkmcnt(0)
	v_dot4_i32_i8 v21, v22, v161, v21
	v_dot4_i32_i8 v21, v23, v158, v21
	;; [unrolled: 1-line block ×7, first 2 shown]
	v_cvt_f32_i32_e32 v21, v21
	v_mul_f32_e32 v22, v153, v166
	v_fmac_f32_e32 v58, v168, v167
	v_fmac_f32_e32 v56, v22, v21
	v_dot4_i32_i8 v21, v29, v157, 0
	v_dot4_i32_i8 v21, v30, v161, v21
	v_dot4_i32_i8 v21, v31, v158, v21
	v_dot4_i32_i8 v21, v32, v162, v21
	v_dot4_i32_i8 v21, v33, v159, v21
	v_dot4_i32_i8 v21, v34, v163, v21
	v_dot4_i32_i8 v21, v35, v160, v21
	v_dot4_i32_i8 v21, v36, v164, v21
	v_cvt_f32_i32_e32 v21, v21
	v_mul_f32_e32 v22, v154, v166
	v_fmac_f32_e32 v55, v22, v21
	v_dot4_i32_i8 v21, v37, v157, 0
	v_dot4_i32_i8 v21, v38, v161, v21
	v_dot4_i32_i8 v21, v39, v158, v21
	v_dot4_i32_i8 v21, v40, v162, v21
	v_dot4_i32_i8 v21, v41, v159, v21
	v_dot4_i32_i8 v21, v42, v163, v21
	v_dot4_i32_i8 v21, v43, v160, v21
	v_dot4_i32_i8 v21, v44, v164, v21
	v_cvt_f32_i32_e32 v21, v21
	v_mul_f32_e32 v22, v155, v166
	;; [unrolled: 11-line block ×3, first 2 shown]
	v_fmac_f32_e32 v53, v22, v21
	s_cbranch_scc1 .LBB162_11
; %bb.12:                               ;   in Loop: Header=BB162_6 Depth=1
	s_barrier
	s_branch .LBB162_5
.LBB162_13:
	v_mov_b32_e32 v2, v74
.LBB162_14:
	v_cmp_gt_u32_e32 vcc, s10, v2
	s_and_saveexec_b64 s[0:1], vcc
	s_cbranch_execz .LBB162_65
; %bb.15:
	v_mul_lo_u32 v5, v2, s14
	v_add_u32_e32 v0, s6, v0
	v_cmp_gt_u32_e64 s[0:1], s14, v0
	s_and_saveexec_b64 s[2:3], s[0:1]
	s_cbranch_execz .LBB162_17
; %bb.16:
	v_bfe_u32 v2, v76, 16, 1
	s_movk_i32 s4, 0x7fff
	v_add3_u32 v2, v76, v2, s4
	v_cmp_o_f32_e32 vcc, v76, v76
	v_mov_b32_e32 v3, 0x7fc0
	v_cndmask_b32_sdwa v4, v3, v2, vcc dst_sel:DWORD dst_unused:UNUSED_PAD src0_sel:DWORD src1_sel:WORD_1
	v_add_u32_e32 v2, v0, v5
	v_mov_b32_e32 v3, 0
	v_lshlrev_b64 v[2:3], 1, v[2:3]
	s_waitcnt lgkmcnt(0)
	v_mov_b32_e32 v6, s13
	v_add_co_u32_e32 v2, vcc, s12, v2
	v_addc_co_u32_e32 v3, vcc, v6, v3, vcc
	global_store_short v[2:3], v4, off
.LBB162_17:
	s_or_b64 exec, exec, s[2:3]
	v_add_u32_e32 v2, 32, v0
	v_cmp_gt_u32_e64 s[2:3], s14, v2
	s_and_saveexec_b64 s[4:5], s[2:3]
	s_cbranch_execz .LBB162_19
; %bb.18:
	v_bfe_u32 v3, v109, 16, 1
	s_movk_i32 s6, 0x7fff
	v_add3_u32 v3, v109, v3, s6
	v_cmp_o_f32_e32 vcc, v109, v109
	v_mov_b32_e32 v4, 0x7fc0
	v_cndmask_b32_sdwa v6, v4, v3, vcc dst_sel:DWORD dst_unused:UNUSED_PAD src0_sel:DWORD src1_sel:WORD_1
	v_add_u32_e32 v3, v2, v5
	v_mov_b32_e32 v4, 0
	v_lshlrev_b64 v[3:4], 1, v[3:4]
	s_waitcnt lgkmcnt(0)
	v_mov_b32_e32 v7, s13
	v_add_co_u32_e32 v3, vcc, s12, v3
	v_addc_co_u32_e32 v4, vcc, v7, v4, vcc
	global_store_short v[3:4], v6, off
.LBB162_19:
	s_or_b64 exec, exec, s[4:5]
	;; [unrolled: 21-line block ×4, first 2 shown]
	v_add3_u32 v5, v1, s15, 8
	v_cmp_gt_u32_e32 vcc, s10, v5
	s_and_b64 exec, exec, vcc
	s_cbranch_execz .LBB162_65
; %bb.24:
	v_mul_lo_u32 v5, v5, s14
	s_and_saveexec_b64 s[8:9], s[0:1]
	s_cbranch_execnz .LBB162_66
; %bb.25:
	s_or_b64 exec, exec, s[8:9]
	s_and_saveexec_b64 s[8:9], s[2:3]
	s_cbranch_execnz .LBB162_67
.LBB162_26:
	s_or_b64 exec, exec, s[8:9]
	s_and_saveexec_b64 s[8:9], s[4:5]
	s_cbranch_execnz .LBB162_68
.LBB162_27:
	s_or_b64 exec, exec, s[8:9]
	s_and_saveexec_b64 s[8:9], s[6:7]
	s_cbranch_execz .LBB162_29
.LBB162_28:
	v_bfe_u32 v6, v79, 16, 1
	s_movk_i32 s11, 0x7fff
	v_add3_u32 v6, v79, v6, s11
	v_cmp_o_f32_e32 vcc, v79, v79
	v_mov_b32_e32 v7, 0x7fc0
	v_cndmask_b32_sdwa v7, v7, v6, vcc dst_sel:DWORD dst_unused:UNUSED_PAD src0_sel:DWORD src1_sel:WORD_1
	v_add_u32_e32 v5, v5, v4
	v_mov_b32_e32 v6, 0
	v_lshlrev_b64 v[5:6], 1, v[5:6]
	s_waitcnt lgkmcnt(0)
	v_mov_b32_e32 v8, s13
	v_add_co_u32_e32 v5, vcc, s12, v5
	v_addc_co_u32_e32 v6, vcc, v8, v6, vcc
	global_store_short v[5:6], v7, off
.LBB162_29:
	s_or_b64 exec, exec, s[8:9]
	v_add3_u32 v5, v1, s15, 16
	v_cmp_gt_u32_e32 vcc, s10, v5
	s_and_b64 exec, exec, vcc
	s_cbranch_execz .LBB162_65
; %bb.30:
	v_mul_lo_u32 v5, v5, s14
	s_and_saveexec_b64 s[8:9], s[0:1]
	s_cbranch_execnz .LBB162_69
; %bb.31:
	s_or_b64 exec, exec, s[8:9]
	s_and_saveexec_b64 s[8:9], s[2:3]
	s_cbranch_execnz .LBB162_70
.LBB162_32:
	s_or_b64 exec, exec, s[8:9]
	s_and_saveexec_b64 s[8:9], s[4:5]
	s_cbranch_execnz .LBB162_71
.LBB162_33:
	s_or_b64 exec, exec, s[8:9]
	s_and_saveexec_b64 s[8:9], s[6:7]
	s_cbranch_execz .LBB162_35
.LBB162_34:
	v_bfe_u32 v6, v73, 16, 1
	s_movk_i32 s11, 0x7fff
	v_add3_u32 v6, v73, v6, s11
	v_cmp_o_f32_e32 vcc, v73, v73
	v_mov_b32_e32 v7, 0x7fc0
	v_cndmask_b32_sdwa v7, v7, v6, vcc dst_sel:DWORD dst_unused:UNUSED_PAD src0_sel:DWORD src1_sel:WORD_1
	v_add_u32_e32 v5, v5, v4
	v_mov_b32_e32 v6, 0
	v_lshlrev_b64 v[5:6], 1, v[5:6]
	s_waitcnt lgkmcnt(0)
	v_mov_b32_e32 v8, s13
	v_add_co_u32_e32 v5, vcc, s12, v5
	v_addc_co_u32_e32 v6, vcc, v8, v6, vcc
	global_store_short v[5:6], v7, off
.LBB162_35:
	s_or_b64 exec, exec, s[8:9]
	v_add3_u32 v5, v1, s15, 24
	v_cmp_gt_u32_e32 vcc, s10, v5
	s_and_b64 exec, exec, vcc
	s_cbranch_execz .LBB162_65
; %bb.36:
	v_mul_lo_u32 v5, v5, s14
	s_and_saveexec_b64 s[8:9], s[0:1]
	s_cbranch_execnz .LBB162_72
; %bb.37:
	s_or_b64 exec, exec, s[8:9]
	s_and_saveexec_b64 s[8:9], s[2:3]
	s_cbranch_execnz .LBB162_73
.LBB162_38:
	s_or_b64 exec, exec, s[8:9]
	s_and_saveexec_b64 s[8:9], s[4:5]
	s_cbranch_execnz .LBB162_74
.LBB162_39:
	s_or_b64 exec, exec, s[8:9]
	s_and_saveexec_b64 s[8:9], s[6:7]
	s_cbranch_execz .LBB162_41
.LBB162_40:
	v_bfe_u32 v6, v69, 16, 1
	s_movk_i32 s11, 0x7fff
	v_add3_u32 v6, v69, v6, s11
	v_cmp_o_f32_e32 vcc, v69, v69
	v_mov_b32_e32 v7, 0x7fc0
	v_cndmask_b32_sdwa v7, v7, v6, vcc dst_sel:DWORD dst_unused:UNUSED_PAD src0_sel:DWORD src1_sel:WORD_1
	v_add_u32_e32 v5, v5, v4
	v_mov_b32_e32 v6, 0
	v_lshlrev_b64 v[5:6], 1, v[5:6]
	s_waitcnt lgkmcnt(0)
	v_mov_b32_e32 v8, s13
	v_add_co_u32_e32 v5, vcc, s12, v5
	v_addc_co_u32_e32 v6, vcc, v8, v6, vcc
	global_store_short v[5:6], v7, off
.LBB162_41:
	s_or_b64 exec, exec, s[8:9]
	v_add3_u32 v5, v1, s15, 32
	v_cmp_gt_u32_e32 vcc, s10, v5
	s_and_b64 exec, exec, vcc
	s_cbranch_execz .LBB162_65
; %bb.42:
	v_mul_lo_u32 v5, v5, s14
	s_and_saveexec_b64 s[8:9], s[0:1]
	s_cbranch_execnz .LBB162_75
; %bb.43:
	s_or_b64 exec, exec, s[8:9]
	s_and_saveexec_b64 s[8:9], s[2:3]
	s_cbranch_execnz .LBB162_76
.LBB162_44:
	s_or_b64 exec, exec, s[8:9]
	s_and_saveexec_b64 s[8:9], s[4:5]
	s_cbranch_execnz .LBB162_77
.LBB162_45:
	s_or_b64 exec, exec, s[8:9]
	s_and_saveexec_b64 s[8:9], s[6:7]
	s_cbranch_execz .LBB162_47
.LBB162_46:
	v_bfe_u32 v6, v65, 16, 1
	s_movk_i32 s11, 0x7fff
	v_add3_u32 v6, v65, v6, s11
	v_cmp_o_f32_e32 vcc, v65, v65
	v_mov_b32_e32 v7, 0x7fc0
	v_cndmask_b32_sdwa v7, v7, v6, vcc dst_sel:DWORD dst_unused:UNUSED_PAD src0_sel:DWORD src1_sel:WORD_1
	v_add_u32_e32 v5, v5, v4
	v_mov_b32_e32 v6, 0
	v_lshlrev_b64 v[5:6], 1, v[5:6]
	s_waitcnt lgkmcnt(0)
	v_mov_b32_e32 v8, s13
	v_add_co_u32_e32 v5, vcc, s12, v5
	v_addc_co_u32_e32 v6, vcc, v8, v6, vcc
	global_store_short v[5:6], v7, off
.LBB162_47:
	s_or_b64 exec, exec, s[8:9]
	v_add3_u32 v5, v1, s15, 40
	v_cmp_gt_u32_e32 vcc, s10, v5
	s_and_b64 exec, exec, vcc
	s_cbranch_execz .LBB162_65
; %bb.48:
	v_mul_lo_u32 v5, v5, s14
	s_and_saveexec_b64 s[8:9], s[0:1]
	s_cbranch_execnz .LBB162_78
; %bb.49:
	s_or_b64 exec, exec, s[8:9]
	s_and_saveexec_b64 s[8:9], s[2:3]
	s_cbranch_execnz .LBB162_79
.LBB162_50:
	s_or_b64 exec, exec, s[8:9]
	s_and_saveexec_b64 s[8:9], s[4:5]
	s_cbranch_execnz .LBB162_80
.LBB162_51:
	s_or_b64 exec, exec, s[8:9]
	s_and_saveexec_b64 s[8:9], s[6:7]
	s_cbranch_execz .LBB162_53
.LBB162_52:
	v_bfe_u32 v6, v61, 16, 1
	s_movk_i32 s11, 0x7fff
	v_add3_u32 v6, v61, v6, s11
	v_cmp_o_f32_e32 vcc, v61, v61
	v_mov_b32_e32 v7, 0x7fc0
	v_cndmask_b32_sdwa v7, v7, v6, vcc dst_sel:DWORD dst_unused:UNUSED_PAD src0_sel:DWORD src1_sel:WORD_1
	v_add_u32_e32 v5, v5, v4
	v_mov_b32_e32 v6, 0
	v_lshlrev_b64 v[5:6], 1, v[5:6]
	s_waitcnt lgkmcnt(0)
	v_mov_b32_e32 v8, s13
	v_add_co_u32_e32 v5, vcc, s12, v5
	v_addc_co_u32_e32 v6, vcc, v8, v6, vcc
	global_store_short v[5:6], v7, off
.LBB162_53:
	s_or_b64 exec, exec, s[8:9]
	v_add3_u32 v5, v1, s15, 48
	v_cmp_gt_u32_e32 vcc, s10, v5
	s_and_b64 exec, exec, vcc
	s_cbranch_execz .LBB162_65
; %bb.54:
	v_mul_lo_u32 v5, v5, s14
	s_and_saveexec_b64 s[8:9], s[0:1]
	s_cbranch_execnz .LBB162_81
; %bb.55:
	s_or_b64 exec, exec, s[8:9]
	s_and_saveexec_b64 s[8:9], s[2:3]
	s_cbranch_execnz .LBB162_82
.LBB162_56:
	s_or_b64 exec, exec, s[8:9]
	s_and_saveexec_b64 s[8:9], s[4:5]
	s_cbranch_execnz .LBB162_83
.LBB162_57:
	s_or_b64 exec, exec, s[8:9]
	s_and_saveexec_b64 s[8:9], s[6:7]
	s_cbranch_execz .LBB162_59
.LBB162_58:
	v_bfe_u32 v6, v57, 16, 1
	s_movk_i32 s11, 0x7fff
	v_add3_u32 v6, v57, v6, s11
	v_cmp_o_f32_e32 vcc, v57, v57
	v_mov_b32_e32 v7, 0x7fc0
	v_cndmask_b32_sdwa v7, v7, v6, vcc dst_sel:DWORD dst_unused:UNUSED_PAD src0_sel:DWORD src1_sel:WORD_1
	v_add_u32_e32 v5, v5, v4
	v_mov_b32_e32 v6, 0
	v_lshlrev_b64 v[5:6], 1, v[5:6]
	s_waitcnt lgkmcnt(0)
	v_mov_b32_e32 v8, s13
	v_add_co_u32_e32 v5, vcc, s12, v5
	v_addc_co_u32_e32 v6, vcc, v8, v6, vcc
	global_store_short v[5:6], v7, off
.LBB162_59:
	s_or_b64 exec, exec, s[8:9]
	v_add3_u32 v1, v1, s15, 56
	v_cmp_gt_u32_e32 vcc, s10, v1
	s_and_b64 exec, exec, vcc
	s_cbranch_execz .LBB162_65
; %bb.60:
	v_mul_lo_u32 v1, v1, s14
	s_and_saveexec_b64 s[8:9], s[0:1]
	s_cbranch_execnz .LBB162_84
; %bb.61:
	s_or_b64 exec, exec, s[8:9]
	s_and_saveexec_b64 s[0:1], s[2:3]
	s_cbranch_execnz .LBB162_85
.LBB162_62:
	s_or_b64 exec, exec, s[0:1]
	s_and_saveexec_b64 s[0:1], s[4:5]
	s_cbranch_execnz .LBB162_86
.LBB162_63:
	s_or_b64 exec, exec, s[0:1]
	s_and_b64 exec, exec, s[6:7]
	s_cbranch_execz .LBB162_65
.LBB162_64:
	v_bfe_u32 v0, v53, 16, 1
	s_movk_i32 s0, 0x7fff
	v_add3_u32 v0, v53, v0, s0
	v_cmp_o_f32_e32 vcc, v53, v53
	v_mov_b32_e32 v2, 0x7fc0
	v_cndmask_b32_sdwa v2, v2, v0, vcc dst_sel:DWORD dst_unused:UNUSED_PAD src0_sel:DWORD src1_sel:WORD_1
	v_add_u32_e32 v0, v1, v4
	v_mov_b32_e32 v1, 0
	v_lshlrev_b64 v[0:1], 1, v[0:1]
	s_waitcnt lgkmcnt(0)
	v_mov_b32_e32 v3, s13
	v_add_co_u32_e32 v0, vcc, s12, v0
	v_addc_co_u32_e32 v1, vcc, v3, v1, vcc
	global_store_short v[0:1], v2, off
.LBB162_65:
	s_endpgm
.LBB162_66:
	v_bfe_u32 v6, v93, 16, 1
	s_movk_i32 s11, 0x7fff
	v_add3_u32 v6, v93, v6, s11
	v_cmp_o_f32_e32 vcc, v93, v93
	v_mov_b32_e32 v7, 0x7fc0
	v_cndmask_b32_sdwa v8, v7, v6, vcc dst_sel:DWORD dst_unused:UNUSED_PAD src0_sel:DWORD src1_sel:WORD_1
	v_add_u32_e32 v6, v5, v0
	v_mov_b32_e32 v7, 0
	v_lshlrev_b64 v[6:7], 1, v[6:7]
	s_waitcnt lgkmcnt(0)
	v_mov_b32_e32 v9, s13
	v_add_co_u32_e32 v6, vcc, s12, v6
	v_addc_co_u32_e32 v7, vcc, v9, v7, vcc
	global_store_short v[6:7], v8, off
	s_or_b64 exec, exec, s[8:9]
	s_and_saveexec_b64 s[8:9], s[2:3]
	s_cbranch_execz .LBB162_26
.LBB162_67:
	v_bfe_u32 v6, v86, 16, 1
	s_movk_i32 s11, 0x7fff
	v_add3_u32 v6, v86, v6, s11
	v_cmp_o_f32_e32 vcc, v86, v86
	v_mov_b32_e32 v7, 0x7fc0
	v_cndmask_b32_sdwa v8, v7, v6, vcc dst_sel:DWORD dst_unused:UNUSED_PAD src0_sel:DWORD src1_sel:WORD_1
	v_add_u32_e32 v6, v5, v2
	v_mov_b32_e32 v7, 0
	v_lshlrev_b64 v[6:7], 1, v[6:7]
	s_waitcnt lgkmcnt(0)
	v_mov_b32_e32 v9, s13
	v_add_co_u32_e32 v6, vcc, s12, v6
	v_addc_co_u32_e32 v7, vcc, v9, v7, vcc
	global_store_short v[6:7], v8, off
	s_or_b64 exec, exec, s[8:9]
	s_and_saveexec_b64 s[8:9], s[4:5]
	s_cbranch_execz .LBB162_27
.LBB162_68:
	v_bfe_u32 v6, v80, 16, 1
	s_movk_i32 s11, 0x7fff
	v_add3_u32 v6, v80, v6, s11
	v_cmp_o_f32_e32 vcc, v80, v80
	v_mov_b32_e32 v7, 0x7fc0
	v_cndmask_b32_sdwa v8, v7, v6, vcc dst_sel:DWORD dst_unused:UNUSED_PAD src0_sel:DWORD src1_sel:WORD_1
	v_add_u32_e32 v6, v5, v3
	v_mov_b32_e32 v7, 0
	v_lshlrev_b64 v[6:7], 1, v[6:7]
	s_waitcnt lgkmcnt(0)
	v_mov_b32_e32 v9, s13
	v_add_co_u32_e32 v6, vcc, s12, v6
	v_addc_co_u32_e32 v7, vcc, v9, v7, vcc
	global_store_short v[6:7], v8, off
	s_or_b64 exec, exec, s[8:9]
	s_and_saveexec_b64 s[8:9], s[6:7]
	s_cbranch_execnz .LBB162_28
	s_branch .LBB162_29
.LBB162_69:
	v_bfe_u32 v6, v78, 16, 1
	s_movk_i32 s11, 0x7fff
	v_add3_u32 v6, v78, v6, s11
	v_cmp_o_f32_e32 vcc, v78, v78
	v_mov_b32_e32 v7, 0x7fc0
	v_cndmask_b32_sdwa v8, v7, v6, vcc dst_sel:DWORD dst_unused:UNUSED_PAD src0_sel:DWORD src1_sel:WORD_1
	v_add_u32_e32 v6, v5, v0
	v_mov_b32_e32 v7, 0
	v_lshlrev_b64 v[6:7], 1, v[6:7]
	s_waitcnt lgkmcnt(0)
	v_mov_b32_e32 v9, s13
	v_add_co_u32_e32 v6, vcc, s12, v6
	v_addc_co_u32_e32 v7, vcc, v9, v7, vcc
	global_store_short v[6:7], v8, off
	s_or_b64 exec, exec, s[8:9]
	s_and_saveexec_b64 s[8:9], s[2:3]
	s_cbranch_execz .LBB162_32
.LBB162_70:
	v_bfe_u32 v6, v77, 16, 1
	s_movk_i32 s11, 0x7fff
	v_add3_u32 v6, v77, v6, s11
	v_cmp_o_f32_e32 vcc, v77, v77
	v_mov_b32_e32 v7, 0x7fc0
	v_cndmask_b32_sdwa v8, v7, v6, vcc dst_sel:DWORD dst_unused:UNUSED_PAD src0_sel:DWORD src1_sel:WORD_1
	v_add_u32_e32 v6, v5, v2
	v_mov_b32_e32 v7, 0
	v_lshlrev_b64 v[6:7], 1, v[6:7]
	s_waitcnt lgkmcnt(0)
	v_mov_b32_e32 v9, s13
	v_add_co_u32_e32 v6, vcc, s12, v6
	v_addc_co_u32_e32 v7, vcc, v9, v7, vcc
	global_store_short v[6:7], v8, off
	s_or_b64 exec, exec, s[8:9]
	s_and_saveexec_b64 s[8:9], s[4:5]
	s_cbranch_execz .LBB162_33
.LBB162_71:
	v_bfe_u32 v6, v75, 16, 1
	s_movk_i32 s11, 0x7fff
	v_add3_u32 v6, v75, v6, s11
	v_cmp_o_f32_e32 vcc, v75, v75
	v_mov_b32_e32 v7, 0x7fc0
	v_cndmask_b32_sdwa v8, v7, v6, vcc dst_sel:DWORD dst_unused:UNUSED_PAD src0_sel:DWORD src1_sel:WORD_1
	v_add_u32_e32 v6, v5, v3
	v_mov_b32_e32 v7, 0
	v_lshlrev_b64 v[6:7], 1, v[6:7]
	s_waitcnt lgkmcnt(0)
	v_mov_b32_e32 v9, s13
	v_add_co_u32_e32 v6, vcc, s12, v6
	v_addc_co_u32_e32 v7, vcc, v9, v7, vcc
	global_store_short v[6:7], v8, off
	s_or_b64 exec, exec, s[8:9]
	s_and_saveexec_b64 s[8:9], s[6:7]
	s_cbranch_execnz .LBB162_34
	s_branch .LBB162_35
.LBB162_72:
	v_bfe_u32 v6, v72, 16, 1
	s_movk_i32 s11, 0x7fff
	v_add3_u32 v6, v72, v6, s11
	v_cmp_o_f32_e32 vcc, v72, v72
	v_mov_b32_e32 v7, 0x7fc0
	v_cndmask_b32_sdwa v8, v7, v6, vcc dst_sel:DWORD dst_unused:UNUSED_PAD src0_sel:DWORD src1_sel:WORD_1
	v_add_u32_e32 v6, v5, v0
	v_mov_b32_e32 v7, 0
	v_lshlrev_b64 v[6:7], 1, v[6:7]
	s_waitcnt lgkmcnt(0)
	v_mov_b32_e32 v9, s13
	v_add_co_u32_e32 v6, vcc, s12, v6
	v_addc_co_u32_e32 v7, vcc, v9, v7, vcc
	global_store_short v[6:7], v8, off
	s_or_b64 exec, exec, s[8:9]
	s_and_saveexec_b64 s[8:9], s[2:3]
	s_cbranch_execz .LBB162_38
.LBB162_73:
	v_bfe_u32 v6, v71, 16, 1
	s_movk_i32 s11, 0x7fff
	v_add3_u32 v6, v71, v6, s11
	v_cmp_o_f32_e32 vcc, v71, v71
	v_mov_b32_e32 v7, 0x7fc0
	v_cndmask_b32_sdwa v8, v7, v6, vcc dst_sel:DWORD dst_unused:UNUSED_PAD src0_sel:DWORD src1_sel:WORD_1
	v_add_u32_e32 v6, v5, v2
	v_mov_b32_e32 v7, 0
	v_lshlrev_b64 v[6:7], 1, v[6:7]
	s_waitcnt lgkmcnt(0)
	v_mov_b32_e32 v9, s13
	v_add_co_u32_e32 v6, vcc, s12, v6
	v_addc_co_u32_e32 v7, vcc, v9, v7, vcc
	global_store_short v[6:7], v8, off
	s_or_b64 exec, exec, s[8:9]
	s_and_saveexec_b64 s[8:9], s[4:5]
	s_cbranch_execz .LBB162_39
.LBB162_74:
	v_bfe_u32 v6, v70, 16, 1
	s_movk_i32 s11, 0x7fff
	v_add3_u32 v6, v70, v6, s11
	v_cmp_o_f32_e32 vcc, v70, v70
	v_mov_b32_e32 v7, 0x7fc0
	v_cndmask_b32_sdwa v8, v7, v6, vcc dst_sel:DWORD dst_unused:UNUSED_PAD src0_sel:DWORD src1_sel:WORD_1
	v_add_u32_e32 v6, v5, v3
	v_mov_b32_e32 v7, 0
	v_lshlrev_b64 v[6:7], 1, v[6:7]
	s_waitcnt lgkmcnt(0)
	v_mov_b32_e32 v9, s13
	v_add_co_u32_e32 v6, vcc, s12, v6
	v_addc_co_u32_e32 v7, vcc, v9, v7, vcc
	global_store_short v[6:7], v8, off
	s_or_b64 exec, exec, s[8:9]
	s_and_saveexec_b64 s[8:9], s[6:7]
	s_cbranch_execnz .LBB162_40
	s_branch .LBB162_41
.LBB162_75:
	v_bfe_u32 v6, v68, 16, 1
	s_movk_i32 s11, 0x7fff
	v_add3_u32 v6, v68, v6, s11
	v_cmp_o_f32_e32 vcc, v68, v68
	v_mov_b32_e32 v7, 0x7fc0
	v_cndmask_b32_sdwa v8, v7, v6, vcc dst_sel:DWORD dst_unused:UNUSED_PAD src0_sel:DWORD src1_sel:WORD_1
	v_add_u32_e32 v6, v5, v0
	v_mov_b32_e32 v7, 0
	v_lshlrev_b64 v[6:7], 1, v[6:7]
	s_waitcnt lgkmcnt(0)
	v_mov_b32_e32 v9, s13
	v_add_co_u32_e32 v6, vcc, s12, v6
	v_addc_co_u32_e32 v7, vcc, v9, v7, vcc
	global_store_short v[6:7], v8, off
	s_or_b64 exec, exec, s[8:9]
	s_and_saveexec_b64 s[8:9], s[2:3]
	s_cbranch_execz .LBB162_44
.LBB162_76:
	v_bfe_u32 v6, v67, 16, 1
	s_movk_i32 s11, 0x7fff
	v_add3_u32 v6, v67, v6, s11
	v_cmp_o_f32_e32 vcc, v67, v67
	v_mov_b32_e32 v7, 0x7fc0
	v_cndmask_b32_sdwa v8, v7, v6, vcc dst_sel:DWORD dst_unused:UNUSED_PAD src0_sel:DWORD src1_sel:WORD_1
	v_add_u32_e32 v6, v5, v2
	v_mov_b32_e32 v7, 0
	v_lshlrev_b64 v[6:7], 1, v[6:7]
	s_waitcnt lgkmcnt(0)
	v_mov_b32_e32 v9, s13
	v_add_co_u32_e32 v6, vcc, s12, v6
	v_addc_co_u32_e32 v7, vcc, v9, v7, vcc
	global_store_short v[6:7], v8, off
	s_or_b64 exec, exec, s[8:9]
	s_and_saveexec_b64 s[8:9], s[4:5]
	s_cbranch_execz .LBB162_45
.LBB162_77:
	v_bfe_u32 v6, v66, 16, 1
	s_movk_i32 s11, 0x7fff
	v_add3_u32 v6, v66, v6, s11
	v_cmp_o_f32_e32 vcc, v66, v66
	v_mov_b32_e32 v7, 0x7fc0
	v_cndmask_b32_sdwa v8, v7, v6, vcc dst_sel:DWORD dst_unused:UNUSED_PAD src0_sel:DWORD src1_sel:WORD_1
	v_add_u32_e32 v6, v5, v3
	v_mov_b32_e32 v7, 0
	v_lshlrev_b64 v[6:7], 1, v[6:7]
	s_waitcnt lgkmcnt(0)
	v_mov_b32_e32 v9, s13
	v_add_co_u32_e32 v6, vcc, s12, v6
	v_addc_co_u32_e32 v7, vcc, v9, v7, vcc
	global_store_short v[6:7], v8, off
	s_or_b64 exec, exec, s[8:9]
	s_and_saveexec_b64 s[8:9], s[6:7]
	s_cbranch_execnz .LBB162_46
	s_branch .LBB162_47
.LBB162_78:
	v_bfe_u32 v6, v64, 16, 1
	s_movk_i32 s11, 0x7fff
	v_add3_u32 v6, v64, v6, s11
	v_cmp_o_f32_e32 vcc, v64, v64
	v_mov_b32_e32 v7, 0x7fc0
	v_cndmask_b32_sdwa v8, v7, v6, vcc dst_sel:DWORD dst_unused:UNUSED_PAD src0_sel:DWORD src1_sel:WORD_1
	v_add_u32_e32 v6, v5, v0
	v_mov_b32_e32 v7, 0
	v_lshlrev_b64 v[6:7], 1, v[6:7]
	s_waitcnt lgkmcnt(0)
	v_mov_b32_e32 v9, s13
	v_add_co_u32_e32 v6, vcc, s12, v6
	v_addc_co_u32_e32 v7, vcc, v9, v7, vcc
	global_store_short v[6:7], v8, off
	s_or_b64 exec, exec, s[8:9]
	s_and_saveexec_b64 s[8:9], s[2:3]
	s_cbranch_execz .LBB162_50
.LBB162_79:
	v_bfe_u32 v6, v63, 16, 1
	s_movk_i32 s11, 0x7fff
	v_add3_u32 v6, v63, v6, s11
	v_cmp_o_f32_e32 vcc, v63, v63
	v_mov_b32_e32 v7, 0x7fc0
	v_cndmask_b32_sdwa v8, v7, v6, vcc dst_sel:DWORD dst_unused:UNUSED_PAD src0_sel:DWORD src1_sel:WORD_1
	v_add_u32_e32 v6, v5, v2
	v_mov_b32_e32 v7, 0
	v_lshlrev_b64 v[6:7], 1, v[6:7]
	s_waitcnt lgkmcnt(0)
	v_mov_b32_e32 v9, s13
	v_add_co_u32_e32 v6, vcc, s12, v6
	v_addc_co_u32_e32 v7, vcc, v9, v7, vcc
	global_store_short v[6:7], v8, off
	s_or_b64 exec, exec, s[8:9]
	s_and_saveexec_b64 s[8:9], s[4:5]
	s_cbranch_execz .LBB162_51
.LBB162_80:
	v_bfe_u32 v6, v62, 16, 1
	s_movk_i32 s11, 0x7fff
	v_add3_u32 v6, v62, v6, s11
	v_cmp_o_f32_e32 vcc, v62, v62
	v_mov_b32_e32 v7, 0x7fc0
	v_cndmask_b32_sdwa v8, v7, v6, vcc dst_sel:DWORD dst_unused:UNUSED_PAD src0_sel:DWORD src1_sel:WORD_1
	v_add_u32_e32 v6, v5, v3
	v_mov_b32_e32 v7, 0
	v_lshlrev_b64 v[6:7], 1, v[6:7]
	s_waitcnt lgkmcnt(0)
	v_mov_b32_e32 v9, s13
	v_add_co_u32_e32 v6, vcc, s12, v6
	v_addc_co_u32_e32 v7, vcc, v9, v7, vcc
	global_store_short v[6:7], v8, off
	s_or_b64 exec, exec, s[8:9]
	s_and_saveexec_b64 s[8:9], s[6:7]
	s_cbranch_execnz .LBB162_52
	s_branch .LBB162_53
.LBB162_81:
	v_bfe_u32 v6, v60, 16, 1
	s_movk_i32 s11, 0x7fff
	v_add3_u32 v6, v60, v6, s11
	v_cmp_o_f32_e32 vcc, v60, v60
	v_mov_b32_e32 v7, 0x7fc0
	v_cndmask_b32_sdwa v8, v7, v6, vcc dst_sel:DWORD dst_unused:UNUSED_PAD src0_sel:DWORD src1_sel:WORD_1
	v_add_u32_e32 v6, v5, v0
	v_mov_b32_e32 v7, 0
	v_lshlrev_b64 v[6:7], 1, v[6:7]
	s_waitcnt lgkmcnt(0)
	v_mov_b32_e32 v9, s13
	v_add_co_u32_e32 v6, vcc, s12, v6
	v_addc_co_u32_e32 v7, vcc, v9, v7, vcc
	global_store_short v[6:7], v8, off
	s_or_b64 exec, exec, s[8:9]
	s_and_saveexec_b64 s[8:9], s[2:3]
	s_cbranch_execz .LBB162_56
.LBB162_82:
	v_bfe_u32 v6, v59, 16, 1
	s_movk_i32 s11, 0x7fff
	v_add3_u32 v6, v59, v6, s11
	v_cmp_o_f32_e32 vcc, v59, v59
	v_mov_b32_e32 v7, 0x7fc0
	v_cndmask_b32_sdwa v8, v7, v6, vcc dst_sel:DWORD dst_unused:UNUSED_PAD src0_sel:DWORD src1_sel:WORD_1
	v_add_u32_e32 v6, v5, v2
	v_mov_b32_e32 v7, 0
	v_lshlrev_b64 v[6:7], 1, v[6:7]
	s_waitcnt lgkmcnt(0)
	v_mov_b32_e32 v9, s13
	v_add_co_u32_e32 v6, vcc, s12, v6
	v_addc_co_u32_e32 v7, vcc, v9, v7, vcc
	global_store_short v[6:7], v8, off
	s_or_b64 exec, exec, s[8:9]
	s_and_saveexec_b64 s[8:9], s[4:5]
	s_cbranch_execz .LBB162_57
.LBB162_83:
	v_bfe_u32 v6, v58, 16, 1
	s_movk_i32 s11, 0x7fff
	v_add3_u32 v6, v58, v6, s11
	v_cmp_o_f32_e32 vcc, v58, v58
	v_mov_b32_e32 v7, 0x7fc0
	v_cndmask_b32_sdwa v8, v7, v6, vcc dst_sel:DWORD dst_unused:UNUSED_PAD src0_sel:DWORD src1_sel:WORD_1
	v_add_u32_e32 v6, v5, v3
	v_mov_b32_e32 v7, 0
	v_lshlrev_b64 v[6:7], 1, v[6:7]
	s_waitcnt lgkmcnt(0)
	v_mov_b32_e32 v9, s13
	v_add_co_u32_e32 v6, vcc, s12, v6
	v_addc_co_u32_e32 v7, vcc, v9, v7, vcc
	global_store_short v[6:7], v8, off
	s_or_b64 exec, exec, s[8:9]
	s_and_saveexec_b64 s[8:9], s[6:7]
	s_cbranch_execnz .LBB162_58
	s_branch .LBB162_59
.LBB162_84:
	v_bfe_u32 v5, v56, 16, 1
	s_movk_i32 s0, 0x7fff
	v_add3_u32 v5, v56, v5, s0
	v_cmp_o_f32_e32 vcc, v56, v56
	v_mov_b32_e32 v6, 0x7fc0
	v_cndmask_b32_sdwa v7, v6, v5, vcc dst_sel:DWORD dst_unused:UNUSED_PAD src0_sel:DWORD src1_sel:WORD_1
	v_add_u32_e32 v5, v1, v0
	v_mov_b32_e32 v6, 0
	v_lshlrev_b64 v[5:6], 1, v[5:6]
	s_waitcnt lgkmcnt(0)
	v_mov_b32_e32 v0, s13
	v_add_co_u32_e32 v5, vcc, s12, v5
	v_addc_co_u32_e32 v6, vcc, v0, v6, vcc
	global_store_short v[5:6], v7, off
	s_or_b64 exec, exec, s[8:9]
	s_and_saveexec_b64 s[0:1], s[2:3]
	s_cbranch_execz .LBB162_62
.LBB162_85:
	v_bfe_u32 v0, v55, 16, 1
	s_movk_i32 s2, 0x7fff
	v_add3_u32 v0, v55, v0, s2
	v_cmp_o_f32_e32 vcc, v55, v55
	v_mov_b32_e32 v5, 0x7fc0
	v_cndmask_b32_sdwa v0, v5, v0, vcc dst_sel:DWORD dst_unused:UNUSED_PAD src0_sel:DWORD src1_sel:WORD_1
	v_add_u32_e32 v5, v1, v2
	v_mov_b32_e32 v6, 0
	v_lshlrev_b64 v[5:6], 1, v[5:6]
	s_waitcnt lgkmcnt(0)
	v_mov_b32_e32 v2, s13
	v_add_co_u32_e32 v5, vcc, s12, v5
	v_addc_co_u32_e32 v6, vcc, v2, v6, vcc
	global_store_short v[5:6], v0, off
	s_or_b64 exec, exec, s[0:1]
	s_and_saveexec_b64 s[0:1], s[4:5]
	s_cbranch_execz .LBB162_63
.LBB162_86:
	v_bfe_u32 v0, v54, 16, 1
	s_movk_i32 s2, 0x7fff
	v_add3_u32 v0, v54, v0, s2
	v_cmp_o_f32_e32 vcc, v54, v54
	v_mov_b32_e32 v2, 0x7fc0
	v_cndmask_b32_sdwa v0, v2, v0, vcc dst_sel:DWORD dst_unused:UNUSED_PAD src0_sel:DWORD src1_sel:WORD_1
	v_add_u32_e32 v2, v1, v3
	v_mov_b32_e32 v3, 0
	v_lshlrev_b64 v[2:3], 1, v[2:3]
	s_waitcnt lgkmcnt(0)
	v_mov_b32_e32 v5, s13
	v_add_co_u32_e32 v2, vcc, s12, v2
	v_addc_co_u32_e32 v3, vcc, v5, v3, vcc
	global_store_short v[2:3], v0, off
	s_or_b64 exec, exec, s[0:1]
	s_and_b64 exec, exec, s[6:7]
	s_cbranch_execnz .LBB162_64
	s_branch .LBB162_65
	.section	.rodata,"a",@progbits
	.p2align	6, 0x0
	.amdhsa_kernel _ZL12mul_mat_q5_0IN3c108BFloat16ELb1EEvPKvS3_PT_iiiii
		.amdhsa_group_segment_fixed_size 46720
		.amdhsa_private_segment_fixed_size 0
		.amdhsa_kernarg_size 44
		.amdhsa_user_sgpr_count 6
		.amdhsa_user_sgpr_private_segment_buffer 1
		.amdhsa_user_sgpr_dispatch_ptr 0
		.amdhsa_user_sgpr_queue_ptr 0
		.amdhsa_user_sgpr_kernarg_segment_ptr 1
		.amdhsa_user_sgpr_dispatch_id 0
		.amdhsa_user_sgpr_flat_scratch_init 0
		.amdhsa_user_sgpr_private_segment_size 0
		.amdhsa_uses_dynamic_stack 0
		.amdhsa_system_sgpr_private_segment_wavefront_offset 0
		.amdhsa_system_sgpr_workgroup_id_x 1
		.amdhsa_system_sgpr_workgroup_id_y 1
		.amdhsa_system_sgpr_workgroup_id_z 0
		.amdhsa_system_sgpr_workgroup_info 0
		.amdhsa_system_vgpr_workitem_id 1
		.amdhsa_next_free_vgpr 171
		.amdhsa_next_free_sgpr 98
		.amdhsa_reserve_vcc 1
		.amdhsa_reserve_flat_scratch 0
		.amdhsa_float_round_mode_32 0
		.amdhsa_float_round_mode_16_64 0
		.amdhsa_float_denorm_mode_32 3
		.amdhsa_float_denorm_mode_16_64 3
		.amdhsa_dx10_clamp 1
		.amdhsa_ieee_mode 1
		.amdhsa_fp16_overflow 0
		.amdhsa_exception_fp_ieee_invalid_op 0
		.amdhsa_exception_fp_denorm_src 0
		.amdhsa_exception_fp_ieee_div_zero 0
		.amdhsa_exception_fp_ieee_overflow 0
		.amdhsa_exception_fp_ieee_underflow 0
		.amdhsa_exception_fp_ieee_inexact 0
		.amdhsa_exception_int_div_zero 0
	.end_amdhsa_kernel
	.section	.text._ZL12mul_mat_q5_0IN3c108BFloat16ELb1EEvPKvS3_PT_iiiii,"axG",@progbits,_ZL12mul_mat_q5_0IN3c108BFloat16ELb1EEvPKvS3_PT_iiiii,comdat
.Lfunc_end162:
	.size	_ZL12mul_mat_q5_0IN3c108BFloat16ELb1EEvPKvS3_PT_iiiii, .Lfunc_end162-_ZL12mul_mat_q5_0IN3c108BFloat16ELb1EEvPKvS3_PT_iiiii
                                        ; -- End function
	.set _ZL12mul_mat_q5_0IN3c108BFloat16ELb1EEvPKvS3_PT_iiiii.num_vgpr, 171
	.set _ZL12mul_mat_q5_0IN3c108BFloat16ELb1EEvPKvS3_PT_iiiii.num_agpr, 0
	.set _ZL12mul_mat_q5_0IN3c108BFloat16ELb1EEvPKvS3_PT_iiiii.numbered_sgpr, 20
	.set _ZL12mul_mat_q5_0IN3c108BFloat16ELb1EEvPKvS3_PT_iiiii.num_named_barrier, 0
	.set _ZL12mul_mat_q5_0IN3c108BFloat16ELb1EEvPKvS3_PT_iiiii.private_seg_size, 0
	.set _ZL12mul_mat_q5_0IN3c108BFloat16ELb1EEvPKvS3_PT_iiiii.uses_vcc, 1
	.set _ZL12mul_mat_q5_0IN3c108BFloat16ELb1EEvPKvS3_PT_iiiii.uses_flat_scratch, 0
	.set _ZL12mul_mat_q5_0IN3c108BFloat16ELb1EEvPKvS3_PT_iiiii.has_dyn_sized_stack, 0
	.set _ZL12mul_mat_q5_0IN3c108BFloat16ELb1EEvPKvS3_PT_iiiii.has_recursion, 0
	.set _ZL12mul_mat_q5_0IN3c108BFloat16ELb1EEvPKvS3_PT_iiiii.has_indirect_call, 0
	.section	.AMDGPU.csdata,"",@progbits
; Kernel info:
; codeLenInByte = 17836
; TotalNumSgprs: 24
; NumVgprs: 171
; ScratchSize: 0
; MemoryBound: 0
; FloatMode: 240
; IeeeMode: 1
; LDSByteSize: 46720 bytes/workgroup (compile time only)
; SGPRBlocks: 12
; VGPRBlocks: 42
; NumSGPRsForWavesPerEU: 102
; NumVGPRsForWavesPerEU: 171
; Occupancy: 1
; WaveLimiterHint : 0
; COMPUTE_PGM_RSRC2:SCRATCH_EN: 0
; COMPUTE_PGM_RSRC2:USER_SGPR: 6
; COMPUTE_PGM_RSRC2:TRAP_HANDLER: 0
; COMPUTE_PGM_RSRC2:TGID_X_EN: 1
; COMPUTE_PGM_RSRC2:TGID_Y_EN: 1
; COMPUTE_PGM_RSRC2:TGID_Z_EN: 0
; COMPUTE_PGM_RSRC2:TIDIG_COMP_CNT: 1
	.section	.text._ZL12mul_mat_q5_1IN3c108BFloat16ELb0EEvPKvS3_PT_iiiii,"axG",@progbits,_ZL12mul_mat_q5_1IN3c108BFloat16ELb0EEvPKvS3_PT_iiiii,comdat
	.globl	_ZL12mul_mat_q5_1IN3c108BFloat16ELb0EEvPKvS3_PT_iiiii ; -- Begin function _ZL12mul_mat_q5_1IN3c108BFloat16ELb0EEvPKvS3_PT_iiiii
	.p2align	8
	.type	_ZL12mul_mat_q5_1IN3c108BFloat16ELb0EEvPKvS3_PT_iiiii,@function
_ZL12mul_mat_q5_1IN3c108BFloat16ELb0EEvPKvS3_PT_iiiii: ; @_ZL12mul_mat_q5_1IN3c108BFloat16ELb0EEvPKvS3_PT_iiiii
; %bb.0:
	s_load_dword s14, s[4:5], 0x18
	s_load_dwordx4 s[8:11], s[4:5], 0x20
	s_waitcnt lgkmcnt(0)
	s_lshl_b32 s11, s7, 6
	v_add_u32_e32 v60, s11, v1
	s_cmp_gt_i32 s14, 31
	s_cbranch_scc1 .LBB163_2
; %bb.1:
	v_add_u32_e32 v2, s11, v1
	s_mov_b64 s[0:1], 0
	s_branch .LBB163_3
.LBB163_2:
	s_mov_b64 s[0:1], -1
                                        ; implicit-def: $vgpr2
.LBB163_3:
	s_load_dwordx2 s[12:13], s[4:5], 0x10
	s_lshl_b32 s6, s6, 7
	v_mov_b32_e32 v37, 0
	s_andn2_b64 vcc, exec, s[0:1]
	v_mov_b32_e32 v41, 0
	v_mov_b32_e32 v45, 0
	;; [unrolled: 1-line block ×31, first 2 shown]
	s_cbranch_vccnz .LBB163_14
; %bb.4:
	s_load_dwordx4 s[0:3], s[4:5], 0x0
	s_ashr_i32 s4, s14, 31
	s_lshr_b32 s4, s4, 27
	s_ashr_i32 s5, s9, 31
	s_add_i32 s14, s14, s4
	s_lshr_b32 s5, s5, 27
	s_ashr_i32 s4, s14, 5
	s_add_i32 s5, s9, s5
	s_ashr_i32 s16, s5, 5
	s_mul_i32 s5, s4, s6
	v_mul_lo_u32 v69, s4, v1
	s_mul_hi_i32 s7, s5, 24
	s_mul_i32 s5, s5, 24
	s_waitcnt lgkmcnt(0)
	s_add_u32 s5, s0, s5
	s_addc_u32 s7, s1, s7
	s_lshl_b32 s1, s4, 3
	v_add_u32_e32 v71, s1, v69
	v_add_u32_e32 v73, s1, v71
	;; [unrolled: 1-line block ×12, first 2 shown]
	v_lshlrev_b32_e32 v3, 3, v0
	s_movk_i32 s0, 0x104
	v_add_u32_e32 v96, s1, v94
	v_lshrrev_b32_e32 v103, 3, v0
	v_mad_u32_u24 v70, v1, s0, v3
	v_add_u32_e32 v98, s1, v96
	v_and_b32_e32 v102, 7, v0
	v_lshl_add_u32 v3, v1, 2, v103
	v_add_u32_e32 v100, s1, v98
	v_and_b32_e32 v4, 0x7fc, v3
	v_lshlrev_b32_e32 v5, 2, v102
	s_mov_b32 s1, 0xa200
	v_add3_u32 v16, v4, v5, s1
	v_add_u32_e32 v4, 32, v3
	v_mul_lo_u32 v104, s4, v3
	v_lshlrev_b32_e32 v17, 5, v3
	v_and_b32_e32 v6, 0xffc, v4
	v_lshlrev_b32_e32 v19, 5, v4
	v_add_u32_e32 v4, 64, v3
	v_add_u32_e32 v3, 0x60, v3
	v_add3_u32 v18, v6, v5, s1
	v_and_b32_e32 v6, 0xffc, v4
	v_lshlrev_b32_e32 v21, 5, v4
	v_and_b32_e32 v4, 0xffc, v3
	v_add3_u32 v20, v6, v5, s1
	v_add3_u32 v22, v4, v5, s1
	s_add_i32 s1, s8, -1
	v_lshlrev_b32_e32 v6, 2, v0
	v_lshrrev_b32_e32 v66, 2, v0
	v_lshlrev_b32_e32 v23, 5, v3
	v_cvt_f64_i32_e32 v[4:5], s1
	v_and_b32_e32 v3, 31, v0
	v_and_b32_e32 v24, 28, v6
	v_mov_b32_e32 v8, 0x8200
	v_cvt_f64_u32_e32 v[6:7], v60
	v_lshl_or_b32 v25, v3, 2, v8
	v_lshl_add_u32 v3, v1, 3, v66
	v_and_b32_e32 v12, 63, v3
	v_add_u32_e32 v3, 8, v60
	v_cvt_f64_u32_e32 v[8:9], v3
	v_add_u32_e32 v3, 16, v60
	v_min_f64 v[6:7], v[6:7], v[4:5]
	v_cvt_f64_u32_e32 v[10:11], v3
	v_min_f64 v[8:9], v[8:9], v[4:5]
	s_andn2_b32 s14, s14, 31
	v_add_u32_e32 v106, s14, v104
	v_min_f64 v[10:11], v[10:11], v[4:5]
	v_or_b32_e32 v3, s11, v12
	v_and_b32_e32 v2, 3, v0
	v_add_u32_e32 v107, s14, v106
	v_min_i32_e32 v3, s1, v3
	v_cvt_i32_f64_e32 v6, v[6:7]
	v_lshlrev_b32_e32 v68, 2, v2
	v_add_u32_e32 v108, s14, v107
	v_mad_u64_u32 v[2:3], s[14:15], v3, s16, v[2:3]
	v_lshl_or_b32 v3, v12, 4, v68
	v_add_u32_e32 v110, 0xb280, v3
	v_cvt_i32_f64_e32 v3, v[8:9]
	v_mul_lo_u32 v111, s16, v6
	v_cvt_i32_f64_e32 v6, v[10:11]
	v_lshlrev_b32_e32 v26, 7, v1
	v_mul_lo_u32 v112, s16, v3
	v_add_u32_e32 v3, 24, v60
	v_mul_lo_u32 v113, s16, v6
	v_cvt_f64_u32_e32 v[6:7], v3
	v_add_u32_e32 v3, 32, v60
	v_cvt_f64_u32_e32 v[8:9], v3
	v_add_u32_e32 v3, 40, v60
	v_min_f64 v[6:7], v[6:7], v[4:5]
	v_cvt_f64_u32_e32 v[10:11], v3
	v_add_u32_e32 v3, 48, v60
	v_cvt_f64_u32_e32 v[12:13], v3
	v_add_u32_e32 v3, 56, v60
	v_cvt_f64_u32_e32 v[14:15], v3
	v_min_f64 v[8:9], v[8:9], v[4:5]
	v_min_f64 v[10:11], v[10:11], v[4:5]
	v_cvt_i32_f64_e32 v29, v[6:7]
	v_min_f64 v[6:7], v[12:13], v[4:5]
	v_min_f64 v[3:4], v[14:15], v[4:5]
	v_add_u32_e32 v12, 0x60, v0
	v_mul_lo_u32 v114, s16, v29
	v_lshlrev_b32_e32 v13, 5, v0
	v_cvt_i32_f64_e32 v8, v[8:9]
	v_cvt_i32_f64_e32 v9, v[10:11]
	v_add_u32_e32 v10, 32, v0
	v_cvt_i32_f64_e32 v6, v[6:7]
	v_cvt_i32_f64_e32 v3, v[3:4]
	v_mul_lo_u32 v115, s16, v8
	v_mul_lo_u32 v116, s16, v9
	;; [unrolled: 1-line block ×4, first 2 shown]
	v_add_u32_e32 v11, 64, v0
	v_lshrrev_b32_e32 v120, 3, v10
	v_and_b32_e32 v10, 0x1fc, v10
	v_and_b32_e32 v12, 0x1fc, v12
	;; [unrolled: 1-line block ×3, first 2 shown]
	v_add_u32_e32 v10, v13, v10
	v_and_b32_e32 v14, 0xfc, v0
	v_add_u32_e32 v27, 0x400, v26
	v_add_u32_e32 v28, 0x800, v26
	v_add_u32_e32 v5, 0xc00, v26
	v_add_u32_e32 v8, 0x1000, v26
	v_add_u32_e32 v7, 0x1400, v26
	v_add_u32_e32 v6, 0x1800, v26
	v_add_u32_e32 v9, 0x1c00, v26
	v_mov_b32_e32 v4, s3
	v_add_co_u32_e32 v3, vcc, s2, v24
	v_add_u32_e32 v12, v13, v12
	v_add_u32_e32 v11, v13, v11
	v_add_u32_e32 v123, 0xa600, v10
	v_add_u32_e32 v13, v13, v14
	v_mov_b32_e32 v14, 0xb280
	v_add_u32_e32 v129, 0xa610, v10
	v_mov_b32_e32 v10, 0x80
	v_mov_b32_e32 v62, 0
	v_add_u32_e32 v72, 0x820, v70
	v_add_u32_e32 v74, 0x1040, v70
	;; [unrolled: 1-line block ×15, first 2 shown]
	s_add_i32 s9, s4, 3
	v_mul_u32_u24_e32 v119, 0x104, v0
	v_addc_co_u32_e32 v4, vcc, 0, v4, vcc
	v_add_u32_e32 v121, 0xae00, v12
	v_add_u32_e32 v122, 0xaa00, v11
	v_add_u32_e32 v124, 0xa200, v13
	v_lshl_add_u32 v125, v1, 4, v14
	v_add_u32_e32 v126, 0x8200, v26
	v_add_u32_e32 v127, 0xae10, v12
	;; [unrolled: 1-line block ×4, first 2 shown]
	v_mad_u32_u24 v131, v0, s0, v10
	s_mov_b32 s14, 0
	v_add_u32_e32 v132, v16, v17
	v_add_u32_e32 v133, v18, v19
	;; [unrolled: 1-line block ×12, first 2 shown]
	v_mov_b32_e32 v67, 0
	v_mov_b32_e32 v61, 0
	;; [unrolled: 1-line block ×31, first 2 shown]
	s_branch .LBB163_6
.LBB163_5:                              ;   in Loop: Header=BB163_6 Depth=1
	s_add_i32 s14, s14, 8
	s_add_i32 s9, s9, -8
	s_cmp_ge_i32 s14, s4
	s_cbranch_scc1 .LBB163_13
.LBB163_6:                              ; =>This Loop Header: Depth=1
                                        ;     Child Loop BB163_8 Depth 2
                                        ;     Child Loop BB163_11 Depth 2
	s_mul_i32 s0, s14, 24
	s_mul_hi_u32 s1, s14, 24
	s_add_u32 s0, s5, s0
	s_addc_u32 s1, s7, s1
	v_mad_u64_u32 v[5:6], s[16:17], v66, 24, s[0:1]
	s_cmp_gt_u32 s9, 3
	v_mad_u64_u32 v[7:8], s[16:17], v69, 24, v[5:6]
	v_mad_u64_u32 v[13:14], s[16:17], v75, 24, v[5:6]
	v_add_co_u32_e32 v9, vcc, v7, v68
	v_mad_u64_u32 v[11:12], s[16:17], v73, 24, v[5:6]
	v_addc_co_u32_e32 v10, vcc, 0, v8, vcc
	v_mad_u64_u32 v[15:16], s[16:17], v71, 24, v[5:6]
	global_load_dword v23, v[9:10], off offset:8
	global_load_dword v24, v[13:14], off offset:4
	;; [unrolled: 1-line block ×4, first 2 shown]
                                        ; kill: killed $vgpr9 killed $vgpr10
	global_load_dword v27, v[7:8], off offset:4
	v_add_co_u32_e32 v7, vcc, v15, v68
	v_addc_co_u32_e32 v8, vcc, 0, v16, vcc
	global_load_dword v28, v[7:8], off offset:8
	v_add_co_u32_e32 v7, vcc, v11, v68
	v_addc_co_u32_e32 v8, vcc, 0, v12, vcc
	v_add_co_u32_e32 v9, vcc, v13, v68
	v_addc_co_u32_e32 v10, vcc, 0, v14, vcc
	global_load_dword v29, v[7:8], off offset:8
	global_load_dword v30, v[9:10], off offset:8
	v_mad_u64_u32 v[7:8], s[16:17], v77, 24, v[5:6]
	v_mad_u64_u32 v[9:10], s[16:17], v79, 24, v[5:6]
	;; [unrolled: 1-line block ×3, first 2 shown]
	v_add_co_u32_e32 v15, vcc, v7, v68
	v_addc_co_u32_e32 v16, vcc, 0, v8, vcc
	v_mad_u64_u32 v[13:14], s[16:17], v83, 24, v[5:6]
	v_add_co_u32_e32 v17, vcc, v9, v68
	v_addc_co_u32_e32 v18, vcc, 0, v10, vcc
	v_add_co_u32_e32 v19, vcc, v11, v68
	v_addc_co_u32_e32 v20, vcc, 0, v12, vcc
	v_add_co_u32_e32 v21, vcc, v13, v68
	v_addc_co_u32_e32 v22, vcc, 0, v14, vcc
	global_load_dword v15, v[15:16], off offset:8
	s_nop 0
	global_load_dword v31, v[17:18], off offset:8
	global_load_dword v32, v[19:20], off offset:8
	;; [unrolled: 1-line block ×6, first 2 shown]
	s_nop 0
	global_load_dword v7, v[7:8], off offset:4
	s_waitcnt vmcnt(15)
	v_lshrrev_b32_e32 v10, 4, v23
	v_and_b32_e32 v9, 0xf0f0f0f, v23
	v_and_b32_e32 v10, 0xf0f0f0f, v10
	s_waitcnt vmcnt(12)
	v_ashrrev_i32_e32 v11, v68, v26
	v_lshlrev_b32_e32 v21, 4, v11
	s_waitcnt vmcnt(11)
	v_ashrrev_i32_e32 v8, v68, v27
	v_lshlrev_b32_e32 v13, 4, v8
	v_lshlrev_b32_e32 v14, 11, v8
	v_lshrrev_b32_e32 v18, 12, v8
	v_lshrrev_b32_e32 v19, 5, v8
	v_lshlrev_b32_e32 v16, 18, v8
	v_lshlrev_b32_e32 v17, 25, v8
	;; [unrolled: 1-line block ×4, first 2 shown]
	v_and_b32_e32 v13, 16, v13
	v_and_b32_e32 v14, 0x1000, v14
	;; [unrolled: 1-line block ×8, first 2 shown]
	v_or3_b32 v9, v13, v9, v14
	v_or3_b32 v10, v18, v10, v19
	;; [unrolled: 1-line block ×4, first 2 shown]
	ds_write2_b32 v70, v9, v8 offset1:1
	v_lshlrev_b32_e32 v9, 11, v11
	s_waitcnt vmcnt(10)
	v_and_b32_e32 v12, 0xf0f0f0f, v28
	v_and_b32_e32 v8, 16, v21
	;; [unrolled: 1-line block ×3, first 2 shown]
	v_or3_b32 v8, v8, v12, v9
	v_lshlrev_b32_e32 v9, 18, v11
	v_lshlrev_b32_e32 v10, 25, v11
	v_and_b32_e32 v9, 0x100000, v9
	v_and_b32_e32 v10, 0x10000000, v10
	v_or3_b32 v8, v8, v9, v10
	v_lshrrev_b32_e32 v9, 4, v28
	v_lshrrev_b32_e32 v10, 12, v11
	;; [unrolled: 1-line block ×3, first 2 shown]
	v_and_b32_e32 v9, 0xf0f0f0f, v9
	v_and_b32_e32 v10, 16, v10
	;; [unrolled: 1-line block ×3, first 2 shown]
	v_or3_b32 v9, v10, v9, v12
	v_lshlrev_b32_e32 v10, 2, v11
	v_lshlrev_b32_e32 v11, 9, v11
	v_and_b32_e32 v10, 0x100000, v10
	v_and_b32_e32 v11, 0x10000000, v11
	v_or3_b32 v9, v9, v10, v11
	ds_write2_b32 v72, v8, v9 offset1:1
	v_ashrrev_i32_e32 v8, v68, v25
	v_lshlrev_b32_e32 v10, 4, v8
	v_lshlrev_b32_e32 v11, 11, v8
	s_waitcnt vmcnt(9)
	v_and_b32_e32 v9, 0xf0f0f0f, v29
	v_and_b32_e32 v10, 16, v10
	;; [unrolled: 1-line block ×3, first 2 shown]
	v_or3_b32 v9, v10, v9, v11
	v_lshlrev_b32_e32 v10, 18, v8
	v_lshlrev_b32_e32 v11, 25, v8
	v_and_b32_e32 v10, 0x100000, v10
	v_and_b32_e32 v11, 0x10000000, v11
	v_or3_b32 v9, v9, v10, v11
	v_lshrrev_b32_e32 v10, 4, v29
	v_lshrrev_b32_e32 v11, 12, v8
	;; [unrolled: 1-line block ×3, first 2 shown]
	v_and_b32_e32 v10, 0xf0f0f0f, v10
	v_and_b32_e32 v11, 16, v11
	;; [unrolled: 1-line block ×3, first 2 shown]
	v_or3_b32 v10, v11, v10, v12
	v_lshlrev_b32_e32 v11, 2, v8
	v_lshlrev_b32_e32 v8, 9, v8
	v_and_b32_e32 v11, 0x100000, v11
	v_and_b32_e32 v8, 0x10000000, v8
	v_or3_b32 v8, v10, v11, v8
	ds_write2_b32 v74, v9, v8 offset1:1
	v_ashrrev_i32_e32 v8, v68, v24
	v_lshlrev_b32_e32 v10, 4, v8
	v_lshlrev_b32_e32 v11, 11, v8
	s_waitcnt vmcnt(8)
	v_and_b32_e32 v9, 0xf0f0f0f, v30
	v_and_b32_e32 v10, 16, v10
	;; [unrolled: 1-line block ×3, first 2 shown]
	v_or3_b32 v9, v10, v9, v11
	v_lshlrev_b32_e32 v10, 18, v8
	v_lshlrev_b32_e32 v11, 25, v8
	v_and_b32_e32 v10, 0x100000, v10
	v_and_b32_e32 v11, 0x10000000, v11
	v_or3_b32 v9, v9, v10, v11
	v_lshrrev_b32_e32 v10, 4, v30
	v_lshrrev_b32_e32 v11, 12, v8
	v_lshrrev_b32_e32 v12, 5, v8
	v_and_b32_e32 v10, 0xf0f0f0f, v10
	v_and_b32_e32 v11, 16, v11
	;; [unrolled: 1-line block ×3, first 2 shown]
	v_or3_b32 v10, v11, v10, v12
	v_lshlrev_b32_e32 v11, 2, v8
	v_lshlrev_b32_e32 v8, 9, v8
	v_and_b32_e32 v11, 0x100000, v11
	v_and_b32_e32 v8, 0x10000000, v8
	v_or3_b32 v8, v10, v11, v8
	s_waitcnt vmcnt(0)
	v_ashrrev_i32_e32 v23, v68, v7
	ds_write2_b32 v76, v9, v8 offset1:1
	v_lshlrev_b32_e32 v8, 4, v23
	v_lshlrev_b32_e32 v9, 11, v23
	v_and_b32_e32 v7, 0xf0f0f0f, v15
	v_and_b32_e32 v8, 16, v8
	;; [unrolled: 1-line block ×3, first 2 shown]
	v_or3_b32 v7, v8, v7, v9
	v_lshlrev_b32_e32 v8, 18, v23
	v_lshlrev_b32_e32 v9, 25, v23
	v_and_b32_e32 v8, 0x100000, v8
	v_and_b32_e32 v9, 0x10000000, v9
	v_or3_b32 v24, v7, v8, v9
	v_lshrrev_b32_e32 v7, 4, v15
	v_lshrrev_b32_e32 v8, 12, v23
	;; [unrolled: 1-line block ×3, first 2 shown]
	v_and_b32_e32 v7, 0xf0f0f0f, v7
	v_and_b32_e32 v8, 16, v8
	;; [unrolled: 1-line block ×3, first 2 shown]
	v_or3_b32 v25, v8, v7, v9
	v_lshlrev_b32_e32 v7, 2, v23
	v_and_b32_e32 v26, 0x100000, v7
	v_mad_u64_u32 v[7:8], s[16:17], v85, 24, v[5:6]
	v_mad_u64_u32 v[9:10], s[16:17], v87, 24, v[5:6]
	v_add_co_u32_e32 v11, vcc, v7, v68
	v_mad_u64_u32 v[15:16], s[16:17], v90, 24, v[5:6]
	v_addc_co_u32_e32 v12, vcc, 0, v8, vcc
	v_add_co_u32_e32 v13, vcc, v9, v68
	v_mad_u64_u32 v[17:18], s[16:17], v92, 24, v[5:6]
	v_addc_co_u32_e32 v14, vcc, 0, v10, vcc
	v_add_co_u32_e32 v19, vcc, v15, v68
	v_addc_co_u32_e32 v20, vcc, 0, v16, vcc
	v_add_co_u32_e32 v21, vcc, v17, v68
	v_addc_co_u32_e32 v22, vcc, 0, v18, vcc
	global_load_dword v11, v[11:12], off offset:8
	s_nop 0
	global_load_dword v27, v[13:14], off offset:8
	global_load_dword v28, v[19:20], off offset:8
	s_nop 0
	global_load_dword v21, v[21:22], off offset:8
	s_nop 0
	global_load_dword v22, v[17:18], off offset:4
	global_load_dword v29, v[15:16], off offset:4
	;; [unrolled: 1-line block ×3, first 2 shown]
	s_nop 0
	global_load_dword v7, v[7:8], off offset:4
	v_lshlrev_b32_e32 v8, 9, v23
	v_and_b32_e32 v8, 0x10000000, v8
	v_or3_b32 v8, v25, v26, v8
	ds_write2_b32 v78, v24, v8 offset1:1
	v_ashrrev_i32_e32 v8, v68, v36
	v_lshlrev_b32_e32 v10, 4, v8
	v_lshlrev_b32_e32 v12, 11, v8
	v_and_b32_e32 v9, 0xf0f0f0f, v31
	v_and_b32_e32 v10, 16, v10
	v_and_b32_e32 v12, 0x1000, v12
	v_or3_b32 v9, v10, v9, v12
	v_lshlrev_b32_e32 v10, 18, v8
	v_lshlrev_b32_e32 v12, 25, v8
	v_and_b32_e32 v10, 0x100000, v10
	v_and_b32_e32 v12, 0x10000000, v12
	v_or3_b32 v9, v9, v10, v12
	v_lshrrev_b32_e32 v10, 4, v31
	v_lshrrev_b32_e32 v12, 12, v8
	v_lshrrev_b32_e32 v13, 5, v8
	v_and_b32_e32 v10, 0xf0f0f0f, v10
	v_and_b32_e32 v12, 16, v12
	v_and_b32_e32 v13, 0x1000, v13
	v_or3_b32 v10, v12, v10, v13
	v_lshlrev_b32_e32 v12, 2, v8
	v_lshlrev_b32_e32 v8, 9, v8
	v_and_b32_e32 v12, 0x100000, v12
	v_and_b32_e32 v8, 0x10000000, v8
	v_or3_b32 v8, v10, v12, v8
	ds_write2_b32 v80, v9, v8 offset1:1
	v_ashrrev_i32_e32 v8, v68, v35
	v_lshlrev_b32_e32 v10, 4, v8
	v_lshlrev_b32_e32 v12, 11, v8
	v_and_b32_e32 v9, 0xf0f0f0f, v32
	v_and_b32_e32 v10, 16, v10
	v_and_b32_e32 v12, 0x1000, v12
	v_or3_b32 v9, v10, v9, v12
	v_lshlrev_b32_e32 v10, 18, v8
	v_lshlrev_b32_e32 v12, 25, v8
	v_and_b32_e32 v10, 0x100000, v10
	v_and_b32_e32 v12, 0x10000000, v12
	v_or3_b32 v9, v9, v10, v12
	v_lshrrev_b32_e32 v10, 4, v32
	v_lshrrev_b32_e32 v12, 12, v8
	v_lshrrev_b32_e32 v13, 5, v8
	v_and_b32_e32 v10, 0xf0f0f0f, v10
	v_and_b32_e32 v12, 16, v12
	v_and_b32_e32 v13, 0x1000, v13
	v_or3_b32 v10, v12, v10, v13
	v_lshlrev_b32_e32 v12, 2, v8
	v_lshlrev_b32_e32 v8, 9, v8
	v_and_b32_e32 v12, 0x100000, v12
	;; [unrolled: 25-line block ×3, first 2 shown]
	v_and_b32_e32 v8, 0x10000000, v8
	v_or3_b32 v8, v10, v12, v8
	ds_write2_b32 v84, v9, v8 offset1:1
	s_waitcnt vmcnt(0)
	v_ashrrev_i32_e32 v23, v68, v7
	v_lshlrev_b32_e32 v8, 4, v23
	v_lshlrev_b32_e32 v9, 11, v23
	v_and_b32_e32 v7, 0xf0f0f0f, v11
	v_and_b32_e32 v8, 16, v8
	;; [unrolled: 1-line block ×3, first 2 shown]
	v_or3_b32 v7, v8, v7, v9
	v_lshlrev_b32_e32 v8, 18, v23
	v_lshlrev_b32_e32 v9, 25, v23
	v_and_b32_e32 v8, 0x100000, v8
	v_and_b32_e32 v9, 0x10000000, v9
	v_or3_b32 v24, v7, v8, v9
	v_lshrrev_b32_e32 v7, 4, v11
	v_lshrrev_b32_e32 v8, 12, v23
	;; [unrolled: 1-line block ×3, first 2 shown]
	v_and_b32_e32 v7, 0xf0f0f0f, v7
	v_and_b32_e32 v8, 16, v8
	;; [unrolled: 1-line block ×3, first 2 shown]
	v_or3_b32 v25, v8, v7, v9
	v_lshlrev_b32_e32 v7, 2, v23
	v_and_b32_e32 v26, 0x100000, v7
	v_mad_u64_u32 v[7:8], s[16:17], v94, 24, v[5:6]
	v_mad_u64_u32 v[9:10], s[16:17], v96, 24, v[5:6]
	v_add_co_u32_e32 v11, vcc, v7, v68
	v_mad_u64_u32 v[15:16], s[16:17], v98, 24, v[5:6]
	v_addc_co_u32_e32 v12, vcc, 0, v8, vcc
	v_add_co_u32_e32 v13, vcc, v9, v68
	v_mad_u64_u32 v[5:6], s[16:17], v100, 24, v[5:6]
	v_addc_co_u32_e32 v14, vcc, 0, v10, vcc
	v_add_co_u32_e32 v17, vcc, v15, v68
	v_addc_co_u32_e32 v18, vcc, 0, v16, vcc
	v_add_co_u32_e32 v19, vcc, v5, v68
	v_addc_co_u32_e32 v20, vcc, 0, v6, vcc
	global_load_dword v11, v[11:12], off offset:8
	s_nop 0
	global_load_dword v13, v[13:14], off offset:8
	s_nop 0
	;; [unrolled: 2-line block ×3, first 2 shown]
	global_load_dword v17, v[19:20], off offset:8
	global_load_dword v18, v[5:6], off offset:4
	s_nop 0
	global_load_dword v15, v[15:16], off offset:4
	s_nop 0
	global_load_dword v16, v[9:10], off offset:4
	global_load_dword v5, v[7:8], off offset:4
	v_lshlrev_b32_e32 v6, 9, v23
	v_and_b32_e32 v6, 0x10000000, v6
	v_or3_b32 v6, v25, v26, v6
	ds_write2_b32 v86, v24, v6 offset1:1
	v_ashrrev_i32_e32 v6, v68, v30
	v_lshlrev_b32_e32 v8, 4, v6
	v_lshlrev_b32_e32 v9, 11, v6
	v_and_b32_e32 v7, 0xf0f0f0f, v27
	v_and_b32_e32 v8, 16, v8
	v_and_b32_e32 v9, 0x1000, v9
	v_or3_b32 v7, v8, v7, v9
	v_lshlrev_b32_e32 v8, 18, v6
	v_lshlrev_b32_e32 v9, 25, v6
	v_and_b32_e32 v8, 0x100000, v8
	v_and_b32_e32 v9, 0x10000000, v9
	v_or3_b32 v7, v7, v8, v9
	v_lshrrev_b32_e32 v8, 4, v27
	v_lshrrev_b32_e32 v9, 12, v6
	v_lshrrev_b32_e32 v10, 5, v6
	v_and_b32_e32 v8, 0xf0f0f0f, v8
	v_and_b32_e32 v9, 16, v9
	v_and_b32_e32 v10, 0x1000, v10
	v_or3_b32 v8, v9, v8, v10
	v_lshlrev_b32_e32 v9, 2, v6
	v_lshlrev_b32_e32 v6, 9, v6
	v_and_b32_e32 v9, 0x100000, v9
	v_and_b32_e32 v6, 0x10000000, v6
	v_or3_b32 v6, v8, v9, v6
	ds_write2_b32 v88, v7, v6 offset1:1
	v_ashrrev_i32_e32 v6, v68, v29
	v_lshlrev_b32_e32 v8, 4, v6
	v_lshlrev_b32_e32 v9, 11, v6
	v_and_b32_e32 v7, 0xf0f0f0f, v28
	v_and_b32_e32 v8, 16, v8
	v_and_b32_e32 v9, 0x1000, v9
	v_or3_b32 v7, v8, v7, v9
	v_lshlrev_b32_e32 v8, 18, v6
	v_lshlrev_b32_e32 v9, 25, v6
	v_and_b32_e32 v8, 0x100000, v8
	v_and_b32_e32 v9, 0x10000000, v9
	v_or3_b32 v7, v7, v8, v9
	v_lshrrev_b32_e32 v8, 4, v28
	v_lshrrev_b32_e32 v9, 12, v6
	v_lshrrev_b32_e32 v10, 5, v6
	v_and_b32_e32 v8, 0xf0f0f0f, v8
	v_and_b32_e32 v9, 16, v9
	v_and_b32_e32 v10, 0x1000, v10
	v_or3_b32 v8, v9, v8, v10
	v_lshlrev_b32_e32 v9, 2, v6
	v_lshlrev_b32_e32 v6, 9, v6
	v_and_b32_e32 v9, 0x100000, v9
	;; [unrolled: 25-line block ×3, first 2 shown]
	v_and_b32_e32 v6, 0x10000000, v6
	v_or3_b32 v6, v8, v9, v6
	ds_write2_b32 v93, v7, v6 offset1:1
	s_waitcnt vmcnt(0)
	v_ashrrev_i32_e32 v5, v68, v5
	v_lshlrev_b32_e32 v7, 4, v5
	v_lshlrev_b32_e32 v8, 11, v5
	v_and_b32_e32 v6, 0xf0f0f0f, v11
	v_and_b32_e32 v7, 16, v7
	;; [unrolled: 1-line block ×3, first 2 shown]
	v_or3_b32 v6, v7, v6, v8
	v_lshlrev_b32_e32 v7, 18, v5
	v_lshlrev_b32_e32 v8, 25, v5
	v_and_b32_e32 v7, 0x100000, v7
	v_and_b32_e32 v8, 0x10000000, v8
	v_or3_b32 v19, v6, v7, v8
	v_lshrrev_b32_e32 v6, 4, v11
	v_lshrrev_b32_e32 v7, 12, v5
	;; [unrolled: 1-line block ×3, first 2 shown]
	v_and_b32_e32 v6, 0xf0f0f0f, v6
	v_and_b32_e32 v7, 16, v7
	;; [unrolled: 1-line block ×3, first 2 shown]
	v_or3_b32 v7, v7, v6, v8
	v_lshlrev_b32_e32 v6, 2, v5
	v_and_b32_e32 v8, 0x100000, v6
	v_lshlrev_b32_e32 v9, 9, v5
	v_mad_u64_u32 v[5:6], s[0:1], v102, 24, s[0:1]
	v_and_b32_e32 v9, 0x10000000, v9
	v_or3_b32 v20, v7, v8, v9
	v_mad_u64_u32 v[7:8], s[0:1], v104, 24, v[5:6]
	v_mad_u64_u32 v[9:10], s[0:1], v106, 24, v[5:6]
	;; [unrolled: 1-line block ×4, first 2 shown]
	global_load_dword v7, v[7:8], off
	s_nop 0
	global_load_dword v8, v[9:10], off
	s_nop 0
	global_load_dword v9, v[11:12], off
	v_and_b32_e32 v10, 0xf0f0f0f, v13
	global_load_dword v5, v[5:6], off
	v_ashrrev_i32_e32 v6, v68, v16
	v_lshlrev_b32_e32 v11, 4, v6
	v_lshlrev_b32_e32 v12, 11, v6
	v_and_b32_e32 v11, 16, v11
	v_and_b32_e32 v12, 0x1000, v12
	v_or3_b32 v10, v11, v10, v12
	v_lshlrev_b32_e32 v11, 18, v6
	v_lshlrev_b32_e32 v12, 25, v6
	v_and_b32_e32 v11, 0x100000, v11
	v_and_b32_e32 v12, 0x10000000, v12
	v_or3_b32 v10, v10, v11, v12
	v_lshrrev_b32_e32 v11, 4, v13
	v_lshrrev_b32_e32 v12, 12, v6
	;; [unrolled: 1-line block ×3, first 2 shown]
	v_and_b32_e32 v11, 0xf0f0f0f, v11
	v_and_b32_e32 v12, 16, v12
	;; [unrolled: 1-line block ×3, first 2 shown]
	v_or3_b32 v11, v12, v11, v13
	v_lshlrev_b32_e32 v12, 2, v6
	v_lshlrev_b32_e32 v6, 9, v6
	v_and_b32_e32 v12, 0x100000, v12
	v_and_b32_e32 v6, 0x10000000, v6
	v_or3_b32 v6, v11, v12, v6
	ds_write2_b32 v97, v10, v6 offset1:1
	v_ashrrev_i32_e32 v6, v68, v15
	v_lshlrev_b32_e32 v11, 4, v6
	v_lshlrev_b32_e32 v12, 11, v6
	v_and_b32_e32 v10, 0xf0f0f0f, v14
	v_and_b32_e32 v11, 16, v11
	;; [unrolled: 1-line block ×3, first 2 shown]
	v_or3_b32 v10, v11, v10, v12
	v_lshlrev_b32_e32 v11, 18, v6
	v_lshlrev_b32_e32 v12, 25, v6
	v_and_b32_e32 v11, 0x100000, v11
	v_and_b32_e32 v12, 0x10000000, v12
	v_or3_b32 v10, v10, v11, v12
	v_lshrrev_b32_e32 v11, 4, v14
	v_lshrrev_b32_e32 v12, 12, v6
	;; [unrolled: 1-line block ×3, first 2 shown]
	v_and_b32_e32 v11, 0xf0f0f0f, v11
	v_and_b32_e32 v12, 16, v12
	v_and_b32_e32 v13, 0x1000, v13
	v_or3_b32 v11, v12, v11, v13
	v_lshlrev_b32_e32 v12, 2, v6
	v_lshlrev_b32_e32 v6, 9, v6
	v_and_b32_e32 v12, 0x100000, v12
	v_and_b32_e32 v6, 0x10000000, v6
	v_or3_b32 v6, v11, v12, v6
	ds_write2_b32 v99, v10, v6 offset1:1
	v_ashrrev_i32_e32 v6, v68, v18
	v_lshlrev_b32_e32 v11, 4, v6
	v_lshlrev_b32_e32 v12, 11, v6
	v_and_b32_e32 v10, 0xf0f0f0f, v17
	v_and_b32_e32 v11, 16, v11
	;; [unrolled: 1-line block ×3, first 2 shown]
	v_or3_b32 v10, v11, v10, v12
	v_lshlrev_b32_e32 v11, 18, v6
	v_lshlrev_b32_e32 v12, 25, v6
	v_and_b32_e32 v11, 0x100000, v11
	v_and_b32_e32 v12, 0x10000000, v12
	v_or3_b32 v10, v10, v11, v12
	v_lshrrev_b32_e32 v11, 4, v17
	v_lshrrev_b32_e32 v12, 12, v6
	;; [unrolled: 1-line block ×3, first 2 shown]
	v_and_b32_e32 v11, 0xf0f0f0f, v11
	v_and_b32_e32 v12, 16, v12
	;; [unrolled: 1-line block ×3, first 2 shown]
	v_or3_b32 v11, v12, v11, v13
	v_lshlrev_b32_e32 v12, 2, v6
	v_lshlrev_b32_e32 v6, 9, v6
	v_and_b32_e32 v12, 0x100000, v12
	v_and_b32_e32 v6, 0x10000000, v6
	v_or3_b32 v6, v11, v12, v6
	ds_write2_b32 v95, v19, v20 offset1:1
	ds_write2_b32 v101, v10, v6 offset1:1
	s_waitcnt vmcnt(3)
	ds_write_b32 v132, v7
	s_waitcnt vmcnt(2)
	ds_write_b32 v133, v8
	s_waitcnt vmcnt(1)
	ds_write_b32 v134, v9
	s_waitcnt vmcnt(0)
	ds_write_b32 v135, v5
	s_cbranch_scc0 .LBB163_5
; %bb.7:                                ;   in Loop: Header=BB163_6 Depth=1
	v_add_u32_e32 v144, s14, v2
	v_add_u32_e32 v21, s14, v103
	;; [unrolled: 1-line block ×3, first 2 shown]
	v_mad_u64_u32 v[19:20], s[0:1], v144, 36, s[2:3]
	v_mad_i64_i32 v[5:6], s[0:1], v5, 36, v[3:4]
	v_add_u32_e32 v7, v21, v112
	v_mad_i64_i32 v[7:8], s[0:1], v7, 36, v[3:4]
	v_add_u32_e32 v9, v21, v113
	v_add_u32_e32 v11, v21, v114
	v_mad_i64_i32 v[9:10], s[0:1], v9, 36, v[3:4]
	v_mad_i64_i32 v[11:12], s[0:1], v11, 36, v[3:4]
	v_add_u32_e32 v13, v21, v115
	v_add_u32_e32 v15, v21, v116
	;; [unrolled: 1-line block ×4, first 2 shown]
	v_mad_i64_i32 v[13:14], s[0:1], v13, 36, v[3:4]
	v_mad_i64_i32 v[15:16], s[0:1], v15, 36, v[3:4]
	;; [unrolled: 1-line block ×4, first 2 shown]
	global_load_dword v19, v[19:20], off
	s_nop 0
	global_load_dword v5, v[5:6], off offset:4
	s_nop 0
	global_load_dword v6, v[7:8], off offset:4
	;; [unrolled: 2-line block ×3, first 2 shown]
	global_load_dword v8, v[11:12], off offset:4
	s_nop 0
	global_load_dword v9, v[13:14], off offset:4
	global_load_dword v10, v[15:16], off offset:4
                                        ; kill: killed $vgpr13_vgpr14
                                        ; kill: killed $vgpr15_vgpr16
	global_load_dword v11, v[17:18], off offset:4
	global_load_dword v12, v[21:22], off offset:4
	s_mov_b32 s0, -4
	v_mov_b32_e32 v145, v126
	v_mov_b32_e32 v146, v119
	;; [unrolled: 1-line block ×7, first 2 shown]
	s_waitcnt vmcnt(8)
	ds_write_b32 v110, v19
	s_waitcnt vmcnt(7)
	ds_write_b32 v136, v5
	s_waitcnt vmcnt(6)
	ds_write_b32 v137, v6
	s_waitcnt vmcnt(5)
	ds_write_b32 v138, v7
	s_waitcnt vmcnt(4)
	ds_write_b32 v139, v8
	s_waitcnt vmcnt(3)
	ds_write_b32 v140, v9
	s_waitcnt vmcnt(2)
	ds_write_b32 v141, v10
	s_waitcnt vmcnt(1)
	ds_write_b32 v142, v11
	s_waitcnt vmcnt(0)
	ds_write_b32 v143, v12
	s_waitcnt lgkmcnt(0)
	s_barrier
.LBB163_8:                              ;   Parent Loop BB163_6 Depth=1
                                        ; =>  This Inner Loop Header: Depth=2
	ds_read_b128 v[156:159], v145
	ds_read_b128 v[160:163], v145 offset:16
	ds_read2_b32 v[164:165], v147 offset1:32
	ds_read_b32 v152, v148
	ds_read2_b32 v[5:6], v146 offset1:1
	s_add_i32 s0, s0, 4
	v_add_u32_e32 v148, 4, v148
	s_cmp_lt_u32 s0, 12
	s_waitcnt lgkmcnt(1)
	v_pk_mul_f16 v14, v164, v152
	s_waitcnt lgkmcnt(0)
	v_dot4_i32_i8 v7, v5, v156, 0
	v_dot4_i32_i8 v9, v6, v160, v7
	ds_read2_b32 v[7:8], v146 offset0:2 offset1:3
	v_pk_mul_f16 v166, v152, v165
	s_waitcnt lgkmcnt(0)
	v_dot4_i32_i8 v9, v7, v157, v9
	v_dot4_i32_i8 v11, v8, v161, v9
	ds_read2_b32 v[9:10], v146 offset0:4 offset1:5
	s_waitcnt lgkmcnt(0)
	v_dot4_i32_i8 v11, v9, v158, v11
	v_dot4_i32_i8 v13, v10, v162, v11
	ds_read2_b32 v[11:12], v146 offset0:6 offset1:7
	s_waitcnt lgkmcnt(0)
	v_dot4_i32_i8 v13, v11, v159, v13
	v_dot4_i32_i8 v13, v12, v163, v13
	v_cvt_f32_i32_e32 v13, v13
	v_fma_mix_f32 v13, v14, v13, v14 op_sel:[0,0,1] op_sel_hi:[1,0,1]
	v_add_f32_e32 v62, v62, v13
	v_add_u32_e32 v13, 0x2080, v146
	ds_read_b32 v153, v149
	ds_read2_b32 v[13:14], v13 offset1:1
	v_add_u32_e32 v149, 4, v149
	s_waitcnt lgkmcnt(1)
	v_pk_mul_f16 v22, v164, v153
	s_waitcnt lgkmcnt(0)
	v_dot4_i32_i8 v15, v13, v156, 0
	v_dot4_i32_i8 v17, v14, v160, v15
	v_add_u32_e32 v15, 0x2088, v146
	ds_read2_b32 v[15:16], v15 offset1:1
	s_waitcnt lgkmcnt(0)
	v_dot4_i32_i8 v17, v15, v157, v17
	v_dot4_i32_i8 v19, v16, v161, v17
	v_add_u32_e32 v17, 0x2090, v146
	ds_read2_b32 v[17:18], v17 offset1:1
	;; [unrolled: 5-line block ×3, first 2 shown]
	s_waitcnt lgkmcnt(0)
	v_dot4_i32_i8 v21, v19, v159, v21
	v_dot4_i32_i8 v21, v20, v163, v21
	v_cvt_f32_i32_e32 v21, v21
	v_fma_mix_f32 v21, v22, v21, v22 op_sel:[0,0,1] op_sel_hi:[1,0,1]
	v_add_f32_e32 v109, v109, v21
	v_add_u32_e32 v21, 0x4100, v146
	ds_read_b32 v154, v150
	ds_read2_b32 v[21:22], v21 offset1:1
	v_add_u32_e32 v150, 4, v150
	s_waitcnt lgkmcnt(1)
	v_pk_mul_f16 v30, v164, v154
	s_waitcnt lgkmcnt(0)
	v_dot4_i32_i8 v23, v21, v156, 0
	v_dot4_i32_i8 v25, v22, v160, v23
	v_add_u32_e32 v23, 0x4108, v146
	ds_read2_b32 v[23:24], v23 offset1:1
	s_waitcnt lgkmcnt(0)
	v_dot4_i32_i8 v25, v23, v157, v25
	v_dot4_i32_i8 v27, v24, v161, v25
	v_add_u32_e32 v25, 0x4110, v146
	ds_read2_b32 v[25:26], v25 offset1:1
	s_waitcnt lgkmcnt(0)
	v_dot4_i32_i8 v27, v25, v158, v27
	v_dot4_i32_i8 v29, v26, v162, v27
	v_add_u32_e32 v27, 0x4118, v146
	ds_read2_b32 v[27:28], v27 offset1:1
	s_waitcnt lgkmcnt(0)
	v_dot4_i32_i8 v29, v27, v159, v29
	v_dot4_i32_i8 v29, v28, v163, v29
	v_cvt_f32_i32_e32 v29, v29
	v_fma_mix_f32 v29, v30, v29, v30 op_sel:[0,0,1] op_sel_hi:[1,0,1]
	v_add_f32_e32 v105, v105, v29
	v_add_u32_e32 v29, 0x6180, v146
	ds_read_b32 v155, v151
	ds_read2_b32 v[29:30], v29 offset1:1
	v_add_u32_e32 v151, 4, v151
	s_waitcnt lgkmcnt(0)
	v_dot4_i32_i8 v31, v29, v156, 0
	v_dot4_i32_i8 v33, v30, v160, v31
	v_add_u32_e32 v31, 0x6188, v146
	ds_read2_b32 v[31:32], v31 offset1:1
	s_waitcnt lgkmcnt(0)
	v_dot4_i32_i8 v33, v31, v157, v33
	v_dot4_i32_i8 v35, v32, v161, v33
	v_add_u32_e32 v33, 0x6190, v146
	ds_read2_b32 v[33:34], v33 offset1:1
	v_pk_mul_f16 v157, v164, v155
	s_waitcnt lgkmcnt(0)
	v_dot4_i32_i8 v35, v33, v158, v35
	v_dot4_i32_i8 v156, v34, v162, v35
	v_add_u32_e32 v35, 0x6198, v146
	ds_read2_b32 v[35:36], v35 offset1:1
	v_add_u32_e32 v146, 32, v146
	s_waitcnt lgkmcnt(0)
	v_dot4_i32_i8 v156, v35, v159, v156
	v_dot4_i32_i8 v156, v36, v163, v156
	v_cvt_f32_i32_e32 v156, v156
	v_fma_mix_f32 v156, v157, v156, v157 op_sel:[0,0,1] op_sel_hi:[1,0,1]
	v_add_f32_e32 v89, v89, v156
	ds_read_b128 v[156:159], v145 offset:1024
	ds_read_b128 v[160:163], v145 offset:1040
	s_waitcnt lgkmcnt(1)
	v_dot4_i32_i8 v164, v5, v156, 0
	s_waitcnt lgkmcnt(0)
	v_dot4_i32_i8 v164, v6, v160, v164
	v_dot4_i32_i8 v164, v7, v157, v164
	v_dot4_i32_i8 v164, v8, v161, v164
	v_dot4_i32_i8 v164, v9, v158, v164
	v_dot4_i32_i8 v164, v10, v162, v164
	v_dot4_i32_i8 v164, v11, v159, v164
	v_dot4_i32_i8 v164, v12, v163, v164
	v_cvt_f32_i32_e32 v164, v164
	v_fma_mix_f32 v164, v164, v166, v166 op_sel:[0,0,1] op_sel_hi:[0,1,1]
	v_add_f32_e32 v67, v67, v164
	v_dot4_i32_i8 v164, v13, v156, 0
	v_dot4_i32_i8 v164, v14, v160, v164
	;; [unrolled: 1-line block ×8, first 2 shown]
	v_cvt_f32_i32_e32 v164, v164
	v_pk_mul_f16 v166, v153, v165
	v_fma_mix_f32 v164, v164, v166, v166 op_sel:[0,0,1] op_sel_hi:[0,1,1]
	v_add_f32_e32 v65, v65, v164
	v_dot4_i32_i8 v164, v21, v156, 0
	v_dot4_i32_i8 v156, v29, v156, 0
	;; [unrolled: 1-line block ×16, first 2 shown]
	v_cvt_f32_i32_e32 v164, v164
	v_cvt_f32_i32_e32 v156, v156
	v_pk_mul_f16 v166, v154, v165
	v_pk_mul_f16 v157, v155, v165
	v_fma_mix_f32 v164, v164, v166, v166 op_sel:[0,0,1] op_sel_hi:[0,1,1]
	v_fma_mix_f32 v156, v156, v157, v157 op_sel:[0,0,1] op_sel_hi:[0,1,1]
	v_add_f32_e32 v64, v64, v164
	v_add_f32_e32 v63, v63, v156
	ds_read_b128 v[156:159], v145 offset:2048
	ds_read_b128 v[160:163], v145 offset:2064
	ds_read2_b32 v[164:165], v147 offset0:64 offset1:96
	s_waitcnt lgkmcnt(2)
	v_dot4_i32_i8 v166, v5, v156, 0
	s_waitcnt lgkmcnt(1)
	v_dot4_i32_i8 v166, v6, v160, v166
	v_dot4_i32_i8 v166, v7, v157, v166
	;; [unrolled: 1-line block ×7, first 2 shown]
	v_cvt_f32_i32_e32 v166, v166
	s_waitcnt lgkmcnt(0)
	v_pk_mul_f16 v167, v152, v164
	v_fma_mix_f32 v166, v166, v167, v167 op_sel:[0,0,1] op_sel_hi:[0,1,1]
	v_add_f32_e32 v61, v61, v166
	v_dot4_i32_i8 v166, v13, v156, 0
	v_dot4_i32_i8 v166, v14, v160, v166
	;; [unrolled: 1-line block ×8, first 2 shown]
	v_cvt_f32_i32_e32 v166, v166
	v_pk_mul_f16 v167, v153, v164
	v_fma_mix_f32 v166, v166, v167, v167 op_sel:[0,0,1] op_sel_hi:[0,1,1]
	v_add_f32_e32 v59, v59, v166
	v_dot4_i32_i8 v166, v21, v156, 0
	v_dot4_i32_i8 v156, v29, v156, 0
	;; [unrolled: 1-line block ×11, first 2 shown]
	v_cvt_f32_i32_e32 v156, v156
	v_dot4_i32_i8 v166, v24, v161, v166
	v_dot4_i32_i8 v166, v25, v158, v166
	;; [unrolled: 1-line block ×3, first 2 shown]
	v_pk_mul_f16 v157, v155, v164
	v_dot4_i32_i8 v166, v27, v159, v166
	v_fma_mix_f32 v156, v156, v157, v157 op_sel:[0,0,1] op_sel_hi:[0,1,1]
	v_dot4_i32_i8 v166, v28, v163, v166
	v_add_f32_e32 v57, v57, v156
	ds_read_b128 v[156:159], v145 offset:3072
	ds_read_b128 v[160:163], v145 offset:3088
	v_pk_mul_f16 v167, v154, v164
	v_cvt_f32_i32_e32 v166, v166
	s_waitcnt lgkmcnt(1)
	v_dot4_i32_i8 v164, v5, v156, 0
	s_waitcnt lgkmcnt(0)
	v_dot4_i32_i8 v164, v6, v160, v164
	v_dot4_i32_i8 v164, v7, v157, v164
	;; [unrolled: 1-line block ×7, first 2 shown]
	v_cvt_f32_i32_e32 v164, v164
	v_fma_mix_f32 v166, v166, v167, v167 op_sel:[0,0,1] op_sel_hi:[0,1,1]
	v_add_f32_e32 v58, v58, v166
	v_pk_mul_f16 v166, v152, v165
	v_fma_mix_f32 v164, v164, v166, v166 op_sel:[0,0,1] op_sel_hi:[0,1,1]
	v_add_f32_e32 v56, v56, v164
	v_dot4_i32_i8 v164, v13, v156, 0
	v_dot4_i32_i8 v164, v14, v160, v164
	;; [unrolled: 1-line block ×8, first 2 shown]
	v_cvt_f32_i32_e32 v164, v164
	v_pk_mul_f16 v166, v153, v165
	v_fma_mix_f32 v164, v164, v166, v166 op_sel:[0,0,1] op_sel_hi:[0,1,1]
	v_add_f32_e32 v55, v55, v164
	v_dot4_i32_i8 v164, v21, v156, 0
	v_dot4_i32_i8 v156, v29, v156, 0
	;; [unrolled: 1-line block ×16, first 2 shown]
	v_cvt_f32_i32_e32 v164, v164
	v_cvt_f32_i32_e32 v156, v156
	v_pk_mul_f16 v166, v154, v165
	v_pk_mul_f16 v157, v155, v165
	v_fma_mix_f32 v164, v164, v166, v166 op_sel:[0,0,1] op_sel_hi:[0,1,1]
	v_fma_mix_f32 v156, v156, v157, v157 op_sel:[0,0,1] op_sel_hi:[0,1,1]
	v_add_f32_e32 v54, v54, v164
	v_add_f32_e32 v53, v53, v156
	ds_read_b128 v[156:159], v145 offset:4096
	ds_read_b128 v[160:163], v145 offset:4112
	ds_read2_b32 v[164:165], v147 offset0:128 offset1:160
	s_waitcnt lgkmcnt(2)
	v_dot4_i32_i8 v166, v5, v156, 0
	s_waitcnt lgkmcnt(1)
	v_dot4_i32_i8 v166, v6, v160, v166
	v_dot4_i32_i8 v166, v7, v157, v166
	;; [unrolled: 1-line block ×7, first 2 shown]
	v_cvt_f32_i32_e32 v166, v166
	s_waitcnt lgkmcnt(0)
	v_pk_mul_f16 v167, v152, v164
	v_fma_mix_f32 v166, v166, v167, v167 op_sel:[0,0,1] op_sel_hi:[0,1,1]
	v_add_f32_e32 v52, v52, v166
	v_dot4_i32_i8 v166, v13, v156, 0
	v_dot4_i32_i8 v166, v14, v160, v166
	;; [unrolled: 1-line block ×8, first 2 shown]
	v_cvt_f32_i32_e32 v166, v166
	v_pk_mul_f16 v167, v153, v164
	v_fma_mix_f32 v166, v166, v167, v167 op_sel:[0,0,1] op_sel_hi:[0,1,1]
	v_add_f32_e32 v51, v51, v166
	v_dot4_i32_i8 v166, v21, v156, 0
	v_dot4_i32_i8 v156, v29, v156, 0
	;; [unrolled: 1-line block ×11, first 2 shown]
	v_cvt_f32_i32_e32 v156, v156
	v_dot4_i32_i8 v166, v24, v161, v166
	v_dot4_i32_i8 v166, v25, v158, v166
	;; [unrolled: 1-line block ×3, first 2 shown]
	v_pk_mul_f16 v157, v155, v164
	v_dot4_i32_i8 v166, v27, v159, v166
	v_fma_mix_f32 v156, v156, v157, v157 op_sel:[0,0,1] op_sel_hi:[0,1,1]
	v_dot4_i32_i8 v166, v28, v163, v166
	v_add_f32_e32 v49, v49, v156
	ds_read_b128 v[156:159], v145 offset:5120
	ds_read_b128 v[160:163], v145 offset:5136
	v_pk_mul_f16 v167, v154, v164
	v_cvt_f32_i32_e32 v166, v166
	s_waitcnt lgkmcnt(1)
	v_dot4_i32_i8 v164, v5, v156, 0
	s_waitcnt lgkmcnt(0)
	v_dot4_i32_i8 v164, v6, v160, v164
	v_dot4_i32_i8 v164, v7, v157, v164
	;; [unrolled: 1-line block ×7, first 2 shown]
	v_cvt_f32_i32_e32 v164, v164
	v_fma_mix_f32 v166, v166, v167, v167 op_sel:[0,0,1] op_sel_hi:[0,1,1]
	v_add_f32_e32 v50, v50, v166
	v_pk_mul_f16 v166, v152, v165
	v_fma_mix_f32 v164, v164, v166, v166 op_sel:[0,0,1] op_sel_hi:[0,1,1]
	v_add_f32_e32 v48, v48, v164
	v_dot4_i32_i8 v164, v13, v156, 0
	v_dot4_i32_i8 v164, v14, v160, v164
	;; [unrolled: 1-line block ×8, first 2 shown]
	v_cvt_f32_i32_e32 v164, v164
	v_pk_mul_f16 v166, v153, v165
	v_fma_mix_f32 v164, v164, v166, v166 op_sel:[0,0,1] op_sel_hi:[0,1,1]
	v_add_f32_e32 v47, v47, v164
	v_dot4_i32_i8 v164, v21, v156, 0
	v_dot4_i32_i8 v156, v29, v156, 0
	;; [unrolled: 1-line block ×16, first 2 shown]
	v_cvt_f32_i32_e32 v164, v164
	v_cvt_f32_i32_e32 v156, v156
	v_pk_mul_f16 v166, v154, v165
	v_pk_mul_f16 v157, v155, v165
	v_fma_mix_f32 v164, v164, v166, v166 op_sel:[0,0,1] op_sel_hi:[0,1,1]
	v_fma_mix_f32 v156, v156, v157, v157 op_sel:[0,0,1] op_sel_hi:[0,1,1]
	v_add_f32_e32 v46, v46, v164
	v_add_f32_e32 v45, v45, v156
	ds_read_b128 v[156:159], v145 offset:6144
	ds_read_b128 v[160:163], v145 offset:6160
	ds_read2_b32 v[164:165], v147 offset0:192 offset1:224
	v_add_u32_e32 v147, 4, v147
	s_waitcnt lgkmcnt(2)
	v_dot4_i32_i8 v166, v5, v156, 0
	s_waitcnt lgkmcnt(1)
	v_dot4_i32_i8 v166, v6, v160, v166
	v_dot4_i32_i8 v166, v7, v157, v166
	;; [unrolled: 1-line block ×7, first 2 shown]
	v_cvt_f32_i32_e32 v166, v166
	s_waitcnt lgkmcnt(0)
	v_pk_mul_f16 v167, v152, v164
	v_fma_mix_f32 v166, v166, v167, v167 op_sel:[0,0,1] op_sel_hi:[0,1,1]
	v_add_f32_e32 v44, v44, v166
	v_dot4_i32_i8 v166, v13, v156, 0
	v_dot4_i32_i8 v166, v14, v160, v166
	v_dot4_i32_i8 v166, v15, v157, v166
	v_dot4_i32_i8 v166, v16, v161, v166
	v_dot4_i32_i8 v166, v17, v158, v166
	v_dot4_i32_i8 v166, v18, v162, v166
	v_dot4_i32_i8 v166, v19, v159, v166
	v_dot4_i32_i8 v166, v20, v163, v166
	v_cvt_f32_i32_e32 v166, v166
	v_pk_mul_f16 v167, v153, v164
	v_fma_mix_f32 v166, v166, v167, v167 op_sel:[0,0,1] op_sel_hi:[0,1,1]
	v_add_f32_e32 v43, v43, v166
	v_dot4_i32_i8 v166, v21, v156, 0
	v_dot4_i32_i8 v156, v29, v156, 0
	v_dot4_i32_i8 v156, v30, v160, v156
	v_dot4_i32_i8 v156, v31, v157, v156
	v_dot4_i32_i8 v156, v32, v161, v156
	v_dot4_i32_i8 v156, v33, v158, v156
	v_dot4_i32_i8 v156, v34, v162, v156
	v_dot4_i32_i8 v156, v35, v159, v156
	v_dot4_i32_i8 v166, v22, v160, v166
	v_dot4_i32_i8 v156, v36, v163, v156
	v_dot4_i32_i8 v166, v23, v157, v166
	v_cvt_f32_i32_e32 v156, v156
	v_dot4_i32_i8 v166, v24, v161, v166
	v_dot4_i32_i8 v166, v25, v158, v166
	;; [unrolled: 1-line block ×3, first 2 shown]
	v_pk_mul_f16 v157, v155, v164
	v_dot4_i32_i8 v166, v27, v159, v166
	v_fma_mix_f32 v156, v156, v157, v157 op_sel:[0,0,1] op_sel_hi:[0,1,1]
	v_dot4_i32_i8 v166, v28, v163, v166
	v_add_f32_e32 v41, v41, v156
	ds_read_b128 v[156:159], v145 offset:7168
	ds_read_b128 v[160:163], v145 offset:7184
	v_cvt_f32_i32_e32 v166, v166
	v_pk_mul_f16 v167, v154, v164
	v_add_u32_e32 v145, 32, v145
	s_waitcnt lgkmcnt(1)
	v_dot4_i32_i8 v5, v5, v156, 0
	s_waitcnt lgkmcnt(0)
	v_dot4_i32_i8 v5, v6, v160, v5
	v_dot4_i32_i8 v5, v7, v157, v5
	v_dot4_i32_i8 v5, v8, v161, v5
	v_dot4_i32_i8 v5, v9, v158, v5
	v_dot4_i32_i8 v5, v10, v162, v5
	v_dot4_i32_i8 v5, v11, v159, v5
	v_dot4_i32_i8 v5, v12, v163, v5
	v_cvt_f32_i32_e32 v5, v5
	v_pk_mul_f16 v6, v152, v165
	v_fma_mix_f32 v166, v166, v167, v167 op_sel:[0,0,1] op_sel_hi:[0,1,1]
	v_add_f32_e32 v42, v42, v166
	v_fma_mix_f32 v5, v5, v6, v6 op_sel:[0,0,1] op_sel_hi:[0,1,1]
	v_add_f32_e32 v40, v40, v5
	v_dot4_i32_i8 v5, v13, v156, 0
	v_dot4_i32_i8 v5, v14, v160, v5
	v_dot4_i32_i8 v5, v15, v157, v5
	v_dot4_i32_i8 v5, v16, v161, v5
	v_dot4_i32_i8 v5, v17, v158, v5
	v_dot4_i32_i8 v5, v18, v162, v5
	v_dot4_i32_i8 v5, v19, v159, v5
	v_dot4_i32_i8 v5, v20, v163, v5
	v_cvt_f32_i32_e32 v5, v5
	v_pk_mul_f16 v6, v153, v165
	v_fma_mix_f32 v5, v5, v6, v6 op_sel:[0,0,1] op_sel_hi:[0,1,1]
	v_add_f32_e32 v39, v39, v5
	v_dot4_i32_i8 v5, v21, v156, 0
	v_dot4_i32_i8 v5, v22, v160, v5
	v_dot4_i32_i8 v5, v23, v157, v5
	v_dot4_i32_i8 v5, v24, v161, v5
	v_dot4_i32_i8 v5, v25, v158, v5
	v_dot4_i32_i8 v5, v26, v162, v5
	v_dot4_i32_i8 v5, v27, v159, v5
	v_dot4_i32_i8 v5, v28, v163, v5
	v_cvt_f32_i32_e32 v5, v5
	v_pk_mul_f16 v6, v154, v165
	;; [unrolled: 12-line block ×3, first 2 shown]
	v_fma_mix_f32 v5, v5, v6, v6 op_sel:[0,0,1] op_sel_hi:[0,1,1]
	v_add_f32_e32 v37, v37, v5
	s_cbranch_scc1 .LBB163_8
; %bb.9:                                ;   in Loop: Header=BB163_6 Depth=1
	s_and_b32 s0, s9, -4
	s_cmp_eq_u32 s0, 4
	s_barrier
	s_cbranch_scc1 .LBB163_5
; %bb.10:                               ;   in Loop: Header=BB163_6 Depth=1
	v_add_u32_e32 v21, s14, v120
	v_add_u32_e32 v19, 4, v144
	;; [unrolled: 1-line block ×3, first 2 shown]
	v_mad_u64_u32 v[19:20], s[0:1], v19, 36, s[2:3]
	v_mad_i64_i32 v[5:6], s[0:1], v5, 36, v[3:4]
	v_add_u32_e32 v7, v21, v112
	v_mad_i64_i32 v[7:8], s[0:1], v7, 36, v[3:4]
	v_add_u32_e32 v9, v21, v113
	v_add_u32_e32 v11, v21, v114
	v_mad_i64_i32 v[9:10], s[0:1], v9, 36, v[3:4]
	v_mad_i64_i32 v[11:12], s[0:1], v11, 36, v[3:4]
	v_add_u32_e32 v13, v21, v115
	v_add_u32_e32 v15, v21, v116
	;; [unrolled: 1-line block ×4, first 2 shown]
	v_mad_i64_i32 v[13:14], s[0:1], v13, 36, v[3:4]
	v_mad_i64_i32 v[15:16], s[0:1], v15, 36, v[3:4]
	;; [unrolled: 1-line block ×4, first 2 shown]
	global_load_dword v19, v[19:20], off
	s_nop 0
	global_load_dword v5, v[5:6], off offset:4
	s_nop 0
	global_load_dword v6, v[7:8], off offset:4
	;; [unrolled: 2-line block ×3, first 2 shown]
	global_load_dword v8, v[11:12], off offset:4
	s_nop 0
	global_load_dword v9, v[13:14], off offset:4
                                        ; kill: killed $vgpr11_vgpr12
                                        ; kill: killed $vgpr13_vgpr14
	global_load_dword v10, v[15:16], off offset:4
	global_load_dword v11, v[17:18], off offset:4
	;; [unrolled: 1-line block ×3, first 2 shown]
	s_mov_b32 s0, 12
	v_mov_b32_e32 v144, v125
	v_mov_b32_e32 v145, v126
	;; [unrolled: 1-line block ×7, first 2 shown]
	s_waitcnt vmcnt(8)
	ds_write_b32 v110, v19
	s_waitcnt vmcnt(7)
	ds_write_b32 v136, v5
	;; [unrolled: 2-line block ×9, first 2 shown]
	s_waitcnt lgkmcnt(0)
	s_barrier
.LBB163_11:                             ;   Parent Loop BB163_6 Depth=1
                                        ; =>  This Inner Loop Header: Depth=2
	ds_read_b128 v[155:158], v145
	ds_read_b128 v[159:162], v145 offset:16
	ds_read2_b32 v[163:164], v144 offset1:32
	ds_read_b32 v151, v147
	ds_read2_b32 v[5:6], v146 offset1:1
	s_add_i32 s0, s0, 4
	v_add_u32_e32 v147, 4, v147
	s_cmp_lt_u32 s0, 28
	s_waitcnt lgkmcnt(1)
	v_pk_mul_f16 v14, v163, v151
	s_waitcnt lgkmcnt(0)
	v_dot4_i32_i8 v7, v5, v155, 0
	v_dot4_i32_i8 v9, v6, v159, v7
	ds_read2_b32 v[7:8], v146 offset0:2 offset1:3
	v_pk_mul_f16 v165, v151, v164
	s_waitcnt lgkmcnt(0)
	v_dot4_i32_i8 v9, v7, v156, v9
	v_dot4_i32_i8 v11, v8, v160, v9
	ds_read2_b32 v[9:10], v146 offset0:4 offset1:5
	s_waitcnt lgkmcnt(0)
	v_dot4_i32_i8 v11, v9, v157, v11
	v_dot4_i32_i8 v13, v10, v161, v11
	ds_read2_b32 v[11:12], v146 offset0:6 offset1:7
	s_waitcnt lgkmcnt(0)
	v_dot4_i32_i8 v13, v11, v158, v13
	v_dot4_i32_i8 v13, v12, v162, v13
	v_cvt_f32_i32_e32 v13, v13
	v_fma_mix_f32 v13, v14, v13, v14 op_sel:[0,0,1] op_sel_hi:[1,0,1]
	v_add_f32_e32 v62, v62, v13
	v_add_u32_e32 v13, 0x2080, v146
	ds_read_b32 v152, v148
	ds_read2_b32 v[13:14], v13 offset1:1
	v_add_u32_e32 v148, 4, v148
	s_waitcnt lgkmcnt(1)
	v_pk_mul_f16 v22, v163, v152
	s_waitcnt lgkmcnt(0)
	v_dot4_i32_i8 v15, v13, v155, 0
	v_dot4_i32_i8 v17, v14, v159, v15
	v_add_u32_e32 v15, 0x2088, v146
	ds_read2_b32 v[15:16], v15 offset1:1
	s_waitcnt lgkmcnt(0)
	v_dot4_i32_i8 v17, v15, v156, v17
	v_dot4_i32_i8 v19, v16, v160, v17
	v_add_u32_e32 v17, 0x2090, v146
	ds_read2_b32 v[17:18], v17 offset1:1
	;; [unrolled: 5-line block ×3, first 2 shown]
	s_waitcnt lgkmcnt(0)
	v_dot4_i32_i8 v21, v19, v158, v21
	v_dot4_i32_i8 v21, v20, v162, v21
	v_cvt_f32_i32_e32 v21, v21
	v_fma_mix_f32 v21, v22, v21, v22 op_sel:[0,0,1] op_sel_hi:[1,0,1]
	v_add_f32_e32 v109, v109, v21
	v_add_u32_e32 v21, 0x4100, v146
	ds_read_b32 v153, v149
	ds_read2_b32 v[21:22], v21 offset1:1
	v_add_u32_e32 v149, 4, v149
	s_waitcnt lgkmcnt(1)
	v_pk_mul_f16 v30, v163, v153
	s_waitcnt lgkmcnt(0)
	v_dot4_i32_i8 v23, v21, v155, 0
	v_dot4_i32_i8 v25, v22, v159, v23
	v_add_u32_e32 v23, 0x4108, v146
	ds_read2_b32 v[23:24], v23 offset1:1
	s_waitcnt lgkmcnt(0)
	v_dot4_i32_i8 v25, v23, v156, v25
	v_dot4_i32_i8 v27, v24, v160, v25
	v_add_u32_e32 v25, 0x4110, v146
	ds_read2_b32 v[25:26], v25 offset1:1
	;; [unrolled: 5-line block ×3, first 2 shown]
	s_waitcnt lgkmcnt(0)
	v_dot4_i32_i8 v29, v27, v158, v29
	v_dot4_i32_i8 v29, v28, v162, v29
	v_cvt_f32_i32_e32 v29, v29
	v_fma_mix_f32 v29, v30, v29, v30 op_sel:[0,0,1] op_sel_hi:[1,0,1]
	v_add_f32_e32 v105, v105, v29
	v_add_u32_e32 v29, 0x6180, v146
	ds_read_b32 v154, v150
	ds_read2_b32 v[29:30], v29 offset1:1
	v_add_u32_e32 v150, 4, v150
	s_waitcnt lgkmcnt(0)
	v_dot4_i32_i8 v31, v29, v155, 0
	v_dot4_i32_i8 v33, v30, v159, v31
	v_add_u32_e32 v31, 0x6188, v146
	ds_read2_b32 v[31:32], v31 offset1:1
	s_waitcnt lgkmcnt(0)
	v_dot4_i32_i8 v33, v31, v156, v33
	v_dot4_i32_i8 v35, v32, v160, v33
	v_add_u32_e32 v33, 0x6190, v146
	ds_read2_b32 v[33:34], v33 offset1:1
	v_pk_mul_f16 v156, v163, v154
	s_waitcnt lgkmcnt(0)
	v_dot4_i32_i8 v35, v33, v157, v35
	v_dot4_i32_i8 v155, v34, v161, v35
	v_add_u32_e32 v35, 0x6198, v146
	ds_read2_b32 v[35:36], v35 offset1:1
	v_add_u32_e32 v146, 32, v146
	s_waitcnt lgkmcnt(0)
	v_dot4_i32_i8 v155, v35, v158, v155
	v_dot4_i32_i8 v155, v36, v162, v155
	v_cvt_f32_i32_e32 v155, v155
	v_fma_mix_f32 v155, v156, v155, v156 op_sel:[0,0,1] op_sel_hi:[1,0,1]
	v_add_f32_e32 v89, v89, v155
	ds_read_b128 v[155:158], v145 offset:1024
	ds_read_b128 v[159:162], v145 offset:1040
	s_waitcnt lgkmcnt(1)
	v_dot4_i32_i8 v163, v5, v155, 0
	s_waitcnt lgkmcnt(0)
	v_dot4_i32_i8 v163, v6, v159, v163
	v_dot4_i32_i8 v163, v7, v156, v163
	;; [unrolled: 1-line block ×7, first 2 shown]
	v_cvt_f32_i32_e32 v163, v163
	v_fma_mix_f32 v163, v163, v165, v165 op_sel:[0,0,1] op_sel_hi:[0,1,1]
	v_add_f32_e32 v67, v67, v163
	v_dot4_i32_i8 v163, v13, v155, 0
	v_dot4_i32_i8 v163, v14, v159, v163
	v_dot4_i32_i8 v163, v15, v156, v163
	v_dot4_i32_i8 v163, v16, v160, v163
	v_dot4_i32_i8 v163, v17, v157, v163
	v_dot4_i32_i8 v163, v18, v161, v163
	v_dot4_i32_i8 v163, v19, v158, v163
	v_dot4_i32_i8 v163, v20, v162, v163
	v_cvt_f32_i32_e32 v163, v163
	v_pk_mul_f16 v165, v152, v164
	v_fma_mix_f32 v163, v163, v165, v165 op_sel:[0,0,1] op_sel_hi:[0,1,1]
	v_add_f32_e32 v65, v65, v163
	v_dot4_i32_i8 v163, v21, v155, 0
	v_dot4_i32_i8 v155, v29, v155, 0
	;; [unrolled: 1-line block ×16, first 2 shown]
	v_cvt_f32_i32_e32 v163, v163
	v_cvt_f32_i32_e32 v155, v155
	v_pk_mul_f16 v165, v153, v164
	v_pk_mul_f16 v156, v154, v164
	v_fma_mix_f32 v163, v163, v165, v165 op_sel:[0,0,1] op_sel_hi:[0,1,1]
	v_fma_mix_f32 v155, v155, v156, v156 op_sel:[0,0,1] op_sel_hi:[0,1,1]
	v_add_f32_e32 v64, v64, v163
	v_add_f32_e32 v63, v63, v155
	ds_read_b128 v[155:158], v145 offset:2048
	ds_read_b128 v[159:162], v145 offset:2064
	ds_read2_b32 v[163:164], v144 offset0:64 offset1:96
	s_waitcnt lgkmcnt(2)
	v_dot4_i32_i8 v165, v5, v155, 0
	s_waitcnt lgkmcnt(1)
	v_dot4_i32_i8 v165, v6, v159, v165
	v_dot4_i32_i8 v165, v7, v156, v165
	;; [unrolled: 1-line block ×7, first 2 shown]
	v_cvt_f32_i32_e32 v165, v165
	s_waitcnt lgkmcnt(0)
	v_pk_mul_f16 v166, v151, v163
	v_fma_mix_f32 v165, v165, v166, v166 op_sel:[0,0,1] op_sel_hi:[0,1,1]
	v_add_f32_e32 v61, v61, v165
	v_dot4_i32_i8 v165, v13, v155, 0
	v_dot4_i32_i8 v165, v14, v159, v165
	;; [unrolled: 1-line block ×8, first 2 shown]
	v_cvt_f32_i32_e32 v165, v165
	v_pk_mul_f16 v166, v152, v163
	v_fma_mix_f32 v165, v165, v166, v166 op_sel:[0,0,1] op_sel_hi:[0,1,1]
	v_add_f32_e32 v59, v59, v165
	v_dot4_i32_i8 v165, v21, v155, 0
	v_dot4_i32_i8 v155, v29, v155, 0
	v_dot4_i32_i8 v155, v30, v159, v155
	v_dot4_i32_i8 v155, v31, v156, v155
	v_dot4_i32_i8 v155, v32, v160, v155
	v_dot4_i32_i8 v155, v33, v157, v155
	v_dot4_i32_i8 v155, v34, v161, v155
	v_dot4_i32_i8 v155, v35, v158, v155
	v_dot4_i32_i8 v165, v22, v159, v165
	v_dot4_i32_i8 v155, v36, v162, v155
	v_dot4_i32_i8 v165, v23, v156, v165
	v_cvt_f32_i32_e32 v155, v155
	v_dot4_i32_i8 v165, v24, v160, v165
	v_dot4_i32_i8 v165, v25, v157, v165
	;; [unrolled: 1-line block ×3, first 2 shown]
	v_pk_mul_f16 v156, v154, v163
	v_dot4_i32_i8 v165, v27, v158, v165
	v_fma_mix_f32 v155, v155, v156, v156 op_sel:[0,0,1] op_sel_hi:[0,1,1]
	v_dot4_i32_i8 v165, v28, v162, v165
	v_add_f32_e32 v57, v57, v155
	ds_read_b128 v[155:158], v145 offset:3072
	ds_read_b128 v[159:162], v145 offset:3088
	v_pk_mul_f16 v166, v153, v163
	v_cvt_f32_i32_e32 v165, v165
	s_waitcnt lgkmcnt(1)
	v_dot4_i32_i8 v163, v5, v155, 0
	s_waitcnt lgkmcnt(0)
	v_dot4_i32_i8 v163, v6, v159, v163
	v_dot4_i32_i8 v163, v7, v156, v163
	;; [unrolled: 1-line block ×7, first 2 shown]
	v_cvt_f32_i32_e32 v163, v163
	v_fma_mix_f32 v165, v165, v166, v166 op_sel:[0,0,1] op_sel_hi:[0,1,1]
	v_add_f32_e32 v58, v58, v165
	v_pk_mul_f16 v165, v151, v164
	v_fma_mix_f32 v163, v163, v165, v165 op_sel:[0,0,1] op_sel_hi:[0,1,1]
	v_add_f32_e32 v56, v56, v163
	v_dot4_i32_i8 v163, v13, v155, 0
	v_dot4_i32_i8 v163, v14, v159, v163
	;; [unrolled: 1-line block ×8, first 2 shown]
	v_cvt_f32_i32_e32 v163, v163
	v_pk_mul_f16 v165, v152, v164
	v_fma_mix_f32 v163, v163, v165, v165 op_sel:[0,0,1] op_sel_hi:[0,1,1]
	v_add_f32_e32 v55, v55, v163
	v_dot4_i32_i8 v163, v21, v155, 0
	v_dot4_i32_i8 v155, v29, v155, 0
	;; [unrolled: 1-line block ×16, first 2 shown]
	v_cvt_f32_i32_e32 v163, v163
	v_cvt_f32_i32_e32 v155, v155
	v_pk_mul_f16 v165, v153, v164
	v_pk_mul_f16 v156, v154, v164
	v_fma_mix_f32 v163, v163, v165, v165 op_sel:[0,0,1] op_sel_hi:[0,1,1]
	v_fma_mix_f32 v155, v155, v156, v156 op_sel:[0,0,1] op_sel_hi:[0,1,1]
	v_add_f32_e32 v54, v54, v163
	v_add_f32_e32 v53, v53, v155
	ds_read_b128 v[155:158], v145 offset:4096
	ds_read_b128 v[159:162], v145 offset:4112
	ds_read2_b32 v[163:164], v144 offset0:128 offset1:160
	s_waitcnt lgkmcnt(2)
	v_dot4_i32_i8 v165, v5, v155, 0
	s_waitcnt lgkmcnt(1)
	v_dot4_i32_i8 v165, v6, v159, v165
	v_dot4_i32_i8 v165, v7, v156, v165
	;; [unrolled: 1-line block ×7, first 2 shown]
	v_cvt_f32_i32_e32 v165, v165
	s_waitcnt lgkmcnt(0)
	v_pk_mul_f16 v166, v151, v163
	v_fma_mix_f32 v165, v165, v166, v166 op_sel:[0,0,1] op_sel_hi:[0,1,1]
	v_add_f32_e32 v52, v52, v165
	v_dot4_i32_i8 v165, v13, v155, 0
	v_dot4_i32_i8 v165, v14, v159, v165
	;; [unrolled: 1-line block ×8, first 2 shown]
	v_cvt_f32_i32_e32 v165, v165
	v_pk_mul_f16 v166, v152, v163
	v_fma_mix_f32 v165, v165, v166, v166 op_sel:[0,0,1] op_sel_hi:[0,1,1]
	v_add_f32_e32 v51, v51, v165
	v_dot4_i32_i8 v165, v21, v155, 0
	v_dot4_i32_i8 v155, v29, v155, 0
	;; [unrolled: 1-line block ×11, first 2 shown]
	v_cvt_f32_i32_e32 v155, v155
	v_dot4_i32_i8 v165, v24, v160, v165
	v_dot4_i32_i8 v165, v25, v157, v165
	v_dot4_i32_i8 v165, v26, v161, v165
	v_pk_mul_f16 v156, v154, v163
	v_dot4_i32_i8 v165, v27, v158, v165
	v_fma_mix_f32 v155, v155, v156, v156 op_sel:[0,0,1] op_sel_hi:[0,1,1]
	v_dot4_i32_i8 v165, v28, v162, v165
	v_add_f32_e32 v49, v49, v155
	ds_read_b128 v[155:158], v145 offset:5120
	ds_read_b128 v[159:162], v145 offset:5136
	v_pk_mul_f16 v166, v153, v163
	v_cvt_f32_i32_e32 v165, v165
	s_waitcnt lgkmcnt(1)
	v_dot4_i32_i8 v163, v5, v155, 0
	s_waitcnt lgkmcnt(0)
	v_dot4_i32_i8 v163, v6, v159, v163
	v_dot4_i32_i8 v163, v7, v156, v163
	;; [unrolled: 1-line block ×7, first 2 shown]
	v_cvt_f32_i32_e32 v163, v163
	v_fma_mix_f32 v165, v165, v166, v166 op_sel:[0,0,1] op_sel_hi:[0,1,1]
	v_add_f32_e32 v50, v50, v165
	v_pk_mul_f16 v165, v151, v164
	v_fma_mix_f32 v163, v163, v165, v165 op_sel:[0,0,1] op_sel_hi:[0,1,1]
	v_add_f32_e32 v48, v48, v163
	v_dot4_i32_i8 v163, v13, v155, 0
	v_dot4_i32_i8 v163, v14, v159, v163
	;; [unrolled: 1-line block ×8, first 2 shown]
	v_cvt_f32_i32_e32 v163, v163
	v_pk_mul_f16 v165, v152, v164
	v_fma_mix_f32 v163, v163, v165, v165 op_sel:[0,0,1] op_sel_hi:[0,1,1]
	v_add_f32_e32 v47, v47, v163
	v_dot4_i32_i8 v163, v21, v155, 0
	v_dot4_i32_i8 v155, v29, v155, 0
	;; [unrolled: 1-line block ×16, first 2 shown]
	v_cvt_f32_i32_e32 v163, v163
	v_cvt_f32_i32_e32 v155, v155
	v_pk_mul_f16 v165, v153, v164
	v_pk_mul_f16 v156, v154, v164
	v_fma_mix_f32 v163, v163, v165, v165 op_sel:[0,0,1] op_sel_hi:[0,1,1]
	v_fma_mix_f32 v155, v155, v156, v156 op_sel:[0,0,1] op_sel_hi:[0,1,1]
	v_add_f32_e32 v46, v46, v163
	v_add_f32_e32 v45, v45, v155
	ds_read_b128 v[155:158], v145 offset:6144
	ds_read_b128 v[159:162], v145 offset:6160
	ds_read2_b32 v[163:164], v144 offset0:192 offset1:224
	v_add_u32_e32 v144, 4, v144
	s_waitcnt lgkmcnt(2)
	v_dot4_i32_i8 v165, v5, v155, 0
	s_waitcnt lgkmcnt(1)
	v_dot4_i32_i8 v165, v6, v159, v165
	v_dot4_i32_i8 v165, v7, v156, v165
	;; [unrolled: 1-line block ×7, first 2 shown]
	v_cvt_f32_i32_e32 v165, v165
	s_waitcnt lgkmcnt(0)
	v_pk_mul_f16 v166, v151, v163
	v_fma_mix_f32 v165, v165, v166, v166 op_sel:[0,0,1] op_sel_hi:[0,1,1]
	v_add_f32_e32 v44, v44, v165
	v_dot4_i32_i8 v165, v13, v155, 0
	v_dot4_i32_i8 v165, v14, v159, v165
	v_dot4_i32_i8 v165, v15, v156, v165
	v_dot4_i32_i8 v165, v16, v160, v165
	v_dot4_i32_i8 v165, v17, v157, v165
	v_dot4_i32_i8 v165, v18, v161, v165
	v_dot4_i32_i8 v165, v19, v158, v165
	v_dot4_i32_i8 v165, v20, v162, v165
	v_cvt_f32_i32_e32 v165, v165
	v_pk_mul_f16 v166, v152, v163
	v_fma_mix_f32 v165, v165, v166, v166 op_sel:[0,0,1] op_sel_hi:[0,1,1]
	v_add_f32_e32 v43, v43, v165
	v_dot4_i32_i8 v165, v21, v155, 0
	v_dot4_i32_i8 v155, v29, v155, 0
	;; [unrolled: 1-line block ×11, first 2 shown]
	v_cvt_f32_i32_e32 v155, v155
	v_dot4_i32_i8 v165, v24, v160, v165
	v_dot4_i32_i8 v165, v25, v157, v165
	;; [unrolled: 1-line block ×3, first 2 shown]
	v_pk_mul_f16 v156, v154, v163
	v_dot4_i32_i8 v165, v27, v158, v165
	v_fma_mix_f32 v155, v155, v156, v156 op_sel:[0,0,1] op_sel_hi:[0,1,1]
	v_dot4_i32_i8 v165, v28, v162, v165
	v_add_f32_e32 v41, v41, v155
	ds_read_b128 v[155:158], v145 offset:7168
	ds_read_b128 v[159:162], v145 offset:7184
	v_cvt_f32_i32_e32 v165, v165
	v_pk_mul_f16 v166, v153, v163
	v_add_u32_e32 v145, 32, v145
	s_waitcnt lgkmcnt(1)
	v_dot4_i32_i8 v5, v5, v155, 0
	s_waitcnt lgkmcnt(0)
	v_dot4_i32_i8 v5, v6, v159, v5
	v_dot4_i32_i8 v5, v7, v156, v5
	;; [unrolled: 1-line block ×7, first 2 shown]
	v_cvt_f32_i32_e32 v5, v5
	v_pk_mul_f16 v6, v151, v164
	v_fma_mix_f32 v165, v165, v166, v166 op_sel:[0,0,1] op_sel_hi:[0,1,1]
	v_add_f32_e32 v42, v42, v165
	v_fma_mix_f32 v5, v5, v6, v6 op_sel:[0,0,1] op_sel_hi:[0,1,1]
	v_add_f32_e32 v40, v40, v5
	v_dot4_i32_i8 v5, v13, v155, 0
	v_dot4_i32_i8 v5, v14, v159, v5
	v_dot4_i32_i8 v5, v15, v156, v5
	v_dot4_i32_i8 v5, v16, v160, v5
	v_dot4_i32_i8 v5, v17, v157, v5
	v_dot4_i32_i8 v5, v18, v161, v5
	v_dot4_i32_i8 v5, v19, v158, v5
	v_dot4_i32_i8 v5, v20, v162, v5
	v_cvt_f32_i32_e32 v5, v5
	v_pk_mul_f16 v6, v152, v164
	v_fma_mix_f32 v5, v5, v6, v6 op_sel:[0,0,1] op_sel_hi:[0,1,1]
	v_add_f32_e32 v39, v39, v5
	v_dot4_i32_i8 v5, v21, v155, 0
	v_dot4_i32_i8 v5, v22, v159, v5
	v_dot4_i32_i8 v5, v23, v156, v5
	v_dot4_i32_i8 v5, v24, v160, v5
	v_dot4_i32_i8 v5, v25, v157, v5
	v_dot4_i32_i8 v5, v26, v161, v5
	v_dot4_i32_i8 v5, v27, v158, v5
	v_dot4_i32_i8 v5, v28, v162, v5
	v_cvt_f32_i32_e32 v5, v5
	v_pk_mul_f16 v6, v153, v164
	;; [unrolled: 12-line block ×3, first 2 shown]
	v_fma_mix_f32 v5, v5, v6, v6 op_sel:[0,0,1] op_sel_hi:[0,1,1]
	v_add_f32_e32 v37, v37, v5
	s_cbranch_scc1 .LBB163_11
; %bb.12:                               ;   in Loop: Header=BB163_6 Depth=1
	s_barrier
	s_branch .LBB163_5
.LBB163_13:
	v_mov_b32_e32 v2, v60
.LBB163_14:
	v_cmp_gt_u32_e32 vcc, s8, v2
	s_and_saveexec_b64 s[0:1], vcc
	s_cbranch_execz .LBB163_65
; %bb.15:
	v_mul_lo_u32 v5, v2, s10
	v_add_u32_e32 v0, s6, v0
	v_cmp_gt_u32_e64 s[0:1], s10, v0
	s_and_saveexec_b64 s[2:3], s[0:1]
	s_cbranch_execz .LBB163_17
; %bb.16:
	v_bfe_u32 v2, v62, 16, 1
	s_movk_i32 s4, 0x7fff
	v_add3_u32 v2, v62, v2, s4
	v_cmp_o_f32_e32 vcc, v62, v62
	v_mov_b32_e32 v3, 0x7fc0
	v_cndmask_b32_sdwa v4, v3, v2, vcc dst_sel:DWORD dst_unused:UNUSED_PAD src0_sel:DWORD src1_sel:WORD_1
	v_add_u32_e32 v2, v0, v5
	v_mov_b32_e32 v3, 0
	v_lshlrev_b64 v[2:3], 1, v[2:3]
	s_waitcnt lgkmcnt(0)
	v_mov_b32_e32 v6, s13
	v_add_co_u32_e32 v2, vcc, s12, v2
	v_addc_co_u32_e32 v3, vcc, v6, v3, vcc
	global_store_short v[2:3], v4, off
.LBB163_17:
	s_or_b64 exec, exec, s[2:3]
	v_add_u32_e32 v2, 32, v0
	v_cmp_gt_u32_e64 s[2:3], s10, v2
	s_and_saveexec_b64 s[4:5], s[2:3]
	s_cbranch_execz .LBB163_19
; %bb.18:
	v_bfe_u32 v3, v109, 16, 1
	s_movk_i32 s6, 0x7fff
	v_add3_u32 v3, v109, v3, s6
	v_cmp_o_f32_e32 vcc, v109, v109
	v_mov_b32_e32 v4, 0x7fc0
	v_cndmask_b32_sdwa v6, v4, v3, vcc dst_sel:DWORD dst_unused:UNUSED_PAD src0_sel:DWORD src1_sel:WORD_1
	v_add_u32_e32 v3, v2, v5
	v_mov_b32_e32 v4, 0
	v_lshlrev_b64 v[3:4], 1, v[3:4]
	s_waitcnt lgkmcnt(0)
	v_mov_b32_e32 v7, s13
	v_add_co_u32_e32 v3, vcc, s12, v3
	v_addc_co_u32_e32 v4, vcc, v7, v4, vcc
	global_store_short v[3:4], v6, off
.LBB163_19:
	s_or_b64 exec, exec, s[4:5]
	;; [unrolled: 21-line block ×4, first 2 shown]
	v_add3_u32 v5, v1, s11, 8
	v_cmp_gt_u32_e32 vcc, s8, v5
	s_and_b64 exec, exec, vcc
	s_cbranch_execz .LBB163_65
; %bb.24:
	v_mul_lo_u32 v5, v5, s10
	s_and_saveexec_b64 s[14:15], s[0:1]
	s_cbranch_execnz .LBB163_66
; %bb.25:
	s_or_b64 exec, exec, s[14:15]
	s_and_saveexec_b64 s[14:15], s[2:3]
	s_cbranch_execnz .LBB163_67
.LBB163_26:
	s_or_b64 exec, exec, s[14:15]
	s_and_saveexec_b64 s[14:15], s[4:5]
	s_cbranch_execnz .LBB163_68
.LBB163_27:
	s_or_b64 exec, exec, s[14:15]
	s_and_saveexec_b64 s[14:15], s[6:7]
	s_cbranch_execz .LBB163_29
.LBB163_28:
	v_bfe_u32 v6, v63, 16, 1
	s_movk_i32 s9, 0x7fff
	v_add3_u32 v6, v63, v6, s9
	v_cmp_o_f32_e32 vcc, v63, v63
	v_mov_b32_e32 v7, 0x7fc0
	v_cndmask_b32_sdwa v7, v7, v6, vcc dst_sel:DWORD dst_unused:UNUSED_PAD src0_sel:DWORD src1_sel:WORD_1
	v_add_u32_e32 v5, v5, v4
	v_mov_b32_e32 v6, 0
	v_lshlrev_b64 v[5:6], 1, v[5:6]
	s_waitcnt lgkmcnt(0)
	v_mov_b32_e32 v8, s13
	v_add_co_u32_e32 v5, vcc, s12, v5
	v_addc_co_u32_e32 v6, vcc, v8, v6, vcc
	global_store_short v[5:6], v7, off
.LBB163_29:
	s_or_b64 exec, exec, s[14:15]
	v_add3_u32 v5, v1, s11, 16
	v_cmp_gt_u32_e32 vcc, s8, v5
	s_and_b64 exec, exec, vcc
	s_cbranch_execz .LBB163_65
; %bb.30:
	v_mul_lo_u32 v5, v5, s10
	s_and_saveexec_b64 s[14:15], s[0:1]
	s_cbranch_execnz .LBB163_69
; %bb.31:
	s_or_b64 exec, exec, s[14:15]
	s_and_saveexec_b64 s[14:15], s[2:3]
	s_cbranch_execnz .LBB163_70
.LBB163_32:
	s_or_b64 exec, exec, s[14:15]
	s_and_saveexec_b64 s[14:15], s[4:5]
	s_cbranch_execnz .LBB163_71
.LBB163_33:
	s_or_b64 exec, exec, s[14:15]
	s_and_saveexec_b64 s[14:15], s[6:7]
	s_cbranch_execz .LBB163_35
.LBB163_34:
	v_bfe_u32 v6, v57, 16, 1
	s_movk_i32 s9, 0x7fff
	v_add3_u32 v6, v57, v6, s9
	v_cmp_o_f32_e32 vcc, v57, v57
	v_mov_b32_e32 v7, 0x7fc0
	v_cndmask_b32_sdwa v7, v7, v6, vcc dst_sel:DWORD dst_unused:UNUSED_PAD src0_sel:DWORD src1_sel:WORD_1
	v_add_u32_e32 v5, v5, v4
	v_mov_b32_e32 v6, 0
	v_lshlrev_b64 v[5:6], 1, v[5:6]
	s_waitcnt lgkmcnt(0)
	v_mov_b32_e32 v8, s13
	v_add_co_u32_e32 v5, vcc, s12, v5
	v_addc_co_u32_e32 v6, vcc, v8, v6, vcc
	global_store_short v[5:6], v7, off
.LBB163_35:
	s_or_b64 exec, exec, s[14:15]
	v_add3_u32 v5, v1, s11, 24
	v_cmp_gt_u32_e32 vcc, s8, v5
	s_and_b64 exec, exec, vcc
	s_cbranch_execz .LBB163_65
; %bb.36:
	v_mul_lo_u32 v5, v5, s10
	s_and_saveexec_b64 s[14:15], s[0:1]
	s_cbranch_execnz .LBB163_72
; %bb.37:
	s_or_b64 exec, exec, s[14:15]
	s_and_saveexec_b64 s[14:15], s[2:3]
	s_cbranch_execnz .LBB163_73
.LBB163_38:
	s_or_b64 exec, exec, s[14:15]
	s_and_saveexec_b64 s[14:15], s[4:5]
	s_cbranch_execnz .LBB163_74
.LBB163_39:
	s_or_b64 exec, exec, s[14:15]
	s_and_saveexec_b64 s[14:15], s[6:7]
	s_cbranch_execz .LBB163_41
.LBB163_40:
	v_bfe_u32 v6, v53, 16, 1
	s_movk_i32 s9, 0x7fff
	v_add3_u32 v6, v53, v6, s9
	v_cmp_o_f32_e32 vcc, v53, v53
	v_mov_b32_e32 v7, 0x7fc0
	v_cndmask_b32_sdwa v7, v7, v6, vcc dst_sel:DWORD dst_unused:UNUSED_PAD src0_sel:DWORD src1_sel:WORD_1
	v_add_u32_e32 v5, v5, v4
	v_mov_b32_e32 v6, 0
	v_lshlrev_b64 v[5:6], 1, v[5:6]
	s_waitcnt lgkmcnt(0)
	v_mov_b32_e32 v8, s13
	v_add_co_u32_e32 v5, vcc, s12, v5
	v_addc_co_u32_e32 v6, vcc, v8, v6, vcc
	global_store_short v[5:6], v7, off
.LBB163_41:
	s_or_b64 exec, exec, s[14:15]
	v_add3_u32 v5, v1, s11, 32
	v_cmp_gt_u32_e32 vcc, s8, v5
	s_and_b64 exec, exec, vcc
	s_cbranch_execz .LBB163_65
; %bb.42:
	v_mul_lo_u32 v5, v5, s10
	s_and_saveexec_b64 s[14:15], s[0:1]
	s_cbranch_execnz .LBB163_75
; %bb.43:
	s_or_b64 exec, exec, s[14:15]
	s_and_saveexec_b64 s[14:15], s[2:3]
	s_cbranch_execnz .LBB163_76
.LBB163_44:
	s_or_b64 exec, exec, s[14:15]
	s_and_saveexec_b64 s[14:15], s[4:5]
	s_cbranch_execnz .LBB163_77
.LBB163_45:
	s_or_b64 exec, exec, s[14:15]
	s_and_saveexec_b64 s[14:15], s[6:7]
	s_cbranch_execz .LBB163_47
.LBB163_46:
	v_bfe_u32 v6, v49, 16, 1
	s_movk_i32 s9, 0x7fff
	v_add3_u32 v6, v49, v6, s9
	v_cmp_o_f32_e32 vcc, v49, v49
	v_mov_b32_e32 v7, 0x7fc0
	v_cndmask_b32_sdwa v7, v7, v6, vcc dst_sel:DWORD dst_unused:UNUSED_PAD src0_sel:DWORD src1_sel:WORD_1
	v_add_u32_e32 v5, v5, v4
	v_mov_b32_e32 v6, 0
	v_lshlrev_b64 v[5:6], 1, v[5:6]
	s_waitcnt lgkmcnt(0)
	v_mov_b32_e32 v8, s13
	v_add_co_u32_e32 v5, vcc, s12, v5
	v_addc_co_u32_e32 v6, vcc, v8, v6, vcc
	global_store_short v[5:6], v7, off
.LBB163_47:
	s_or_b64 exec, exec, s[14:15]
	v_add3_u32 v5, v1, s11, 40
	v_cmp_gt_u32_e32 vcc, s8, v5
	s_and_b64 exec, exec, vcc
	s_cbranch_execz .LBB163_65
; %bb.48:
	v_mul_lo_u32 v5, v5, s10
	s_and_saveexec_b64 s[14:15], s[0:1]
	s_cbranch_execnz .LBB163_78
; %bb.49:
	s_or_b64 exec, exec, s[14:15]
	s_and_saveexec_b64 s[14:15], s[2:3]
	s_cbranch_execnz .LBB163_79
.LBB163_50:
	s_or_b64 exec, exec, s[14:15]
	s_and_saveexec_b64 s[14:15], s[4:5]
	s_cbranch_execnz .LBB163_80
.LBB163_51:
	s_or_b64 exec, exec, s[14:15]
	s_and_saveexec_b64 s[14:15], s[6:7]
	s_cbranch_execz .LBB163_53
.LBB163_52:
	v_bfe_u32 v6, v45, 16, 1
	s_movk_i32 s9, 0x7fff
	v_add3_u32 v6, v45, v6, s9
	v_cmp_o_f32_e32 vcc, v45, v45
	v_mov_b32_e32 v7, 0x7fc0
	v_cndmask_b32_sdwa v7, v7, v6, vcc dst_sel:DWORD dst_unused:UNUSED_PAD src0_sel:DWORD src1_sel:WORD_1
	v_add_u32_e32 v5, v5, v4
	v_mov_b32_e32 v6, 0
	v_lshlrev_b64 v[5:6], 1, v[5:6]
	s_waitcnt lgkmcnt(0)
	v_mov_b32_e32 v8, s13
	v_add_co_u32_e32 v5, vcc, s12, v5
	v_addc_co_u32_e32 v6, vcc, v8, v6, vcc
	global_store_short v[5:6], v7, off
.LBB163_53:
	s_or_b64 exec, exec, s[14:15]
	v_add3_u32 v5, v1, s11, 48
	v_cmp_gt_u32_e32 vcc, s8, v5
	s_and_b64 exec, exec, vcc
	s_cbranch_execz .LBB163_65
; %bb.54:
	v_mul_lo_u32 v5, v5, s10
	s_and_saveexec_b64 s[14:15], s[0:1]
	s_cbranch_execnz .LBB163_81
; %bb.55:
	s_or_b64 exec, exec, s[14:15]
	s_and_saveexec_b64 s[14:15], s[2:3]
	s_cbranch_execnz .LBB163_82
.LBB163_56:
	s_or_b64 exec, exec, s[14:15]
	s_and_saveexec_b64 s[14:15], s[4:5]
	s_cbranch_execnz .LBB163_83
.LBB163_57:
	s_or_b64 exec, exec, s[14:15]
	s_and_saveexec_b64 s[14:15], s[6:7]
	s_cbranch_execz .LBB163_59
.LBB163_58:
	v_bfe_u32 v6, v41, 16, 1
	s_movk_i32 s9, 0x7fff
	v_add3_u32 v6, v41, v6, s9
	v_cmp_o_f32_e32 vcc, v41, v41
	v_mov_b32_e32 v7, 0x7fc0
	v_cndmask_b32_sdwa v7, v7, v6, vcc dst_sel:DWORD dst_unused:UNUSED_PAD src0_sel:DWORD src1_sel:WORD_1
	v_add_u32_e32 v5, v5, v4
	v_mov_b32_e32 v6, 0
	v_lshlrev_b64 v[5:6], 1, v[5:6]
	s_waitcnt lgkmcnt(0)
	v_mov_b32_e32 v8, s13
	v_add_co_u32_e32 v5, vcc, s12, v5
	v_addc_co_u32_e32 v6, vcc, v8, v6, vcc
	global_store_short v[5:6], v7, off
.LBB163_59:
	s_or_b64 exec, exec, s[14:15]
	v_add3_u32 v1, v1, s11, 56
	v_cmp_gt_u32_e32 vcc, s8, v1
	s_and_b64 exec, exec, vcc
	s_cbranch_execz .LBB163_65
; %bb.60:
	v_mul_lo_u32 v1, v1, s10
	s_and_saveexec_b64 s[8:9], s[0:1]
	s_cbranch_execnz .LBB163_84
; %bb.61:
	s_or_b64 exec, exec, s[8:9]
	s_and_saveexec_b64 s[0:1], s[2:3]
	s_cbranch_execnz .LBB163_85
.LBB163_62:
	s_or_b64 exec, exec, s[0:1]
	s_and_saveexec_b64 s[0:1], s[4:5]
	s_cbranch_execnz .LBB163_86
.LBB163_63:
	s_or_b64 exec, exec, s[0:1]
	s_and_b64 exec, exec, s[6:7]
	s_cbranch_execz .LBB163_65
.LBB163_64:
	v_bfe_u32 v0, v37, 16, 1
	s_movk_i32 s0, 0x7fff
	v_add3_u32 v0, v37, v0, s0
	v_cmp_o_f32_e32 vcc, v37, v37
	v_mov_b32_e32 v2, 0x7fc0
	v_cndmask_b32_sdwa v2, v2, v0, vcc dst_sel:DWORD dst_unused:UNUSED_PAD src0_sel:DWORD src1_sel:WORD_1
	v_add_u32_e32 v0, v1, v4
	v_mov_b32_e32 v1, 0
	v_lshlrev_b64 v[0:1], 1, v[0:1]
	s_waitcnt lgkmcnt(0)
	v_mov_b32_e32 v3, s13
	v_add_co_u32_e32 v0, vcc, s12, v0
	v_addc_co_u32_e32 v1, vcc, v3, v1, vcc
	global_store_short v[0:1], v2, off
.LBB163_65:
	s_endpgm
.LBB163_66:
	v_bfe_u32 v6, v67, 16, 1
	s_movk_i32 s9, 0x7fff
	v_add3_u32 v6, v67, v6, s9
	v_cmp_o_f32_e32 vcc, v67, v67
	v_mov_b32_e32 v7, 0x7fc0
	v_cndmask_b32_sdwa v8, v7, v6, vcc dst_sel:DWORD dst_unused:UNUSED_PAD src0_sel:DWORD src1_sel:WORD_1
	v_add_u32_e32 v6, v5, v0
	v_mov_b32_e32 v7, 0
	v_lshlrev_b64 v[6:7], 1, v[6:7]
	s_waitcnt lgkmcnt(0)
	v_mov_b32_e32 v9, s13
	v_add_co_u32_e32 v6, vcc, s12, v6
	v_addc_co_u32_e32 v7, vcc, v9, v7, vcc
	global_store_short v[6:7], v8, off
	s_or_b64 exec, exec, s[14:15]
	s_and_saveexec_b64 s[14:15], s[2:3]
	s_cbranch_execz .LBB163_26
.LBB163_67:
	v_bfe_u32 v6, v65, 16, 1
	s_movk_i32 s9, 0x7fff
	v_add3_u32 v6, v65, v6, s9
	v_cmp_o_f32_e32 vcc, v65, v65
	v_mov_b32_e32 v7, 0x7fc0
	v_cndmask_b32_sdwa v8, v7, v6, vcc dst_sel:DWORD dst_unused:UNUSED_PAD src0_sel:DWORD src1_sel:WORD_1
	v_add_u32_e32 v6, v5, v2
	v_mov_b32_e32 v7, 0
	v_lshlrev_b64 v[6:7], 1, v[6:7]
	s_waitcnt lgkmcnt(0)
	v_mov_b32_e32 v9, s13
	v_add_co_u32_e32 v6, vcc, s12, v6
	v_addc_co_u32_e32 v7, vcc, v9, v7, vcc
	global_store_short v[6:7], v8, off
	s_or_b64 exec, exec, s[14:15]
	s_and_saveexec_b64 s[14:15], s[4:5]
	s_cbranch_execz .LBB163_27
.LBB163_68:
	v_bfe_u32 v6, v64, 16, 1
	s_movk_i32 s9, 0x7fff
	v_add3_u32 v6, v64, v6, s9
	v_cmp_o_f32_e32 vcc, v64, v64
	v_mov_b32_e32 v7, 0x7fc0
	v_cndmask_b32_sdwa v8, v7, v6, vcc dst_sel:DWORD dst_unused:UNUSED_PAD src0_sel:DWORD src1_sel:WORD_1
	v_add_u32_e32 v6, v5, v3
	v_mov_b32_e32 v7, 0
	v_lshlrev_b64 v[6:7], 1, v[6:7]
	s_waitcnt lgkmcnt(0)
	v_mov_b32_e32 v9, s13
	v_add_co_u32_e32 v6, vcc, s12, v6
	v_addc_co_u32_e32 v7, vcc, v9, v7, vcc
	global_store_short v[6:7], v8, off
	s_or_b64 exec, exec, s[14:15]
	s_and_saveexec_b64 s[14:15], s[6:7]
	s_cbranch_execnz .LBB163_28
	s_branch .LBB163_29
.LBB163_69:
	v_bfe_u32 v6, v61, 16, 1
	s_movk_i32 s9, 0x7fff
	v_add3_u32 v6, v61, v6, s9
	v_cmp_o_f32_e32 vcc, v61, v61
	v_mov_b32_e32 v7, 0x7fc0
	v_cndmask_b32_sdwa v8, v7, v6, vcc dst_sel:DWORD dst_unused:UNUSED_PAD src0_sel:DWORD src1_sel:WORD_1
	v_add_u32_e32 v6, v5, v0
	v_mov_b32_e32 v7, 0
	v_lshlrev_b64 v[6:7], 1, v[6:7]
	s_waitcnt lgkmcnt(0)
	v_mov_b32_e32 v9, s13
	v_add_co_u32_e32 v6, vcc, s12, v6
	v_addc_co_u32_e32 v7, vcc, v9, v7, vcc
	global_store_short v[6:7], v8, off
	s_or_b64 exec, exec, s[14:15]
	s_and_saveexec_b64 s[14:15], s[2:3]
	s_cbranch_execz .LBB163_32
.LBB163_70:
	v_bfe_u32 v6, v59, 16, 1
	s_movk_i32 s9, 0x7fff
	v_add3_u32 v6, v59, v6, s9
	v_cmp_o_f32_e32 vcc, v59, v59
	v_mov_b32_e32 v7, 0x7fc0
	v_cndmask_b32_sdwa v8, v7, v6, vcc dst_sel:DWORD dst_unused:UNUSED_PAD src0_sel:DWORD src1_sel:WORD_1
	v_add_u32_e32 v6, v5, v2
	v_mov_b32_e32 v7, 0
	v_lshlrev_b64 v[6:7], 1, v[6:7]
	s_waitcnt lgkmcnt(0)
	v_mov_b32_e32 v9, s13
	v_add_co_u32_e32 v6, vcc, s12, v6
	v_addc_co_u32_e32 v7, vcc, v9, v7, vcc
	global_store_short v[6:7], v8, off
	s_or_b64 exec, exec, s[14:15]
	s_and_saveexec_b64 s[14:15], s[4:5]
	s_cbranch_execz .LBB163_33
.LBB163_71:
	v_bfe_u32 v6, v58, 16, 1
	s_movk_i32 s9, 0x7fff
	v_add3_u32 v6, v58, v6, s9
	v_cmp_o_f32_e32 vcc, v58, v58
	v_mov_b32_e32 v7, 0x7fc0
	v_cndmask_b32_sdwa v8, v7, v6, vcc dst_sel:DWORD dst_unused:UNUSED_PAD src0_sel:DWORD src1_sel:WORD_1
	v_add_u32_e32 v6, v5, v3
	v_mov_b32_e32 v7, 0
	v_lshlrev_b64 v[6:7], 1, v[6:7]
	s_waitcnt lgkmcnt(0)
	v_mov_b32_e32 v9, s13
	v_add_co_u32_e32 v6, vcc, s12, v6
	v_addc_co_u32_e32 v7, vcc, v9, v7, vcc
	global_store_short v[6:7], v8, off
	s_or_b64 exec, exec, s[14:15]
	s_and_saveexec_b64 s[14:15], s[6:7]
	s_cbranch_execnz .LBB163_34
	s_branch .LBB163_35
.LBB163_72:
	v_bfe_u32 v6, v56, 16, 1
	s_movk_i32 s9, 0x7fff
	v_add3_u32 v6, v56, v6, s9
	v_cmp_o_f32_e32 vcc, v56, v56
	v_mov_b32_e32 v7, 0x7fc0
	v_cndmask_b32_sdwa v8, v7, v6, vcc dst_sel:DWORD dst_unused:UNUSED_PAD src0_sel:DWORD src1_sel:WORD_1
	v_add_u32_e32 v6, v5, v0
	v_mov_b32_e32 v7, 0
	v_lshlrev_b64 v[6:7], 1, v[6:7]
	s_waitcnt lgkmcnt(0)
	v_mov_b32_e32 v9, s13
	v_add_co_u32_e32 v6, vcc, s12, v6
	v_addc_co_u32_e32 v7, vcc, v9, v7, vcc
	global_store_short v[6:7], v8, off
	s_or_b64 exec, exec, s[14:15]
	s_and_saveexec_b64 s[14:15], s[2:3]
	s_cbranch_execz .LBB163_38
.LBB163_73:
	v_bfe_u32 v6, v55, 16, 1
	s_movk_i32 s9, 0x7fff
	v_add3_u32 v6, v55, v6, s9
	v_cmp_o_f32_e32 vcc, v55, v55
	v_mov_b32_e32 v7, 0x7fc0
	v_cndmask_b32_sdwa v8, v7, v6, vcc dst_sel:DWORD dst_unused:UNUSED_PAD src0_sel:DWORD src1_sel:WORD_1
	v_add_u32_e32 v6, v5, v2
	v_mov_b32_e32 v7, 0
	v_lshlrev_b64 v[6:7], 1, v[6:7]
	s_waitcnt lgkmcnt(0)
	v_mov_b32_e32 v9, s13
	v_add_co_u32_e32 v6, vcc, s12, v6
	v_addc_co_u32_e32 v7, vcc, v9, v7, vcc
	global_store_short v[6:7], v8, off
	s_or_b64 exec, exec, s[14:15]
	s_and_saveexec_b64 s[14:15], s[4:5]
	s_cbranch_execz .LBB163_39
.LBB163_74:
	v_bfe_u32 v6, v54, 16, 1
	s_movk_i32 s9, 0x7fff
	v_add3_u32 v6, v54, v6, s9
	v_cmp_o_f32_e32 vcc, v54, v54
	v_mov_b32_e32 v7, 0x7fc0
	v_cndmask_b32_sdwa v8, v7, v6, vcc dst_sel:DWORD dst_unused:UNUSED_PAD src0_sel:DWORD src1_sel:WORD_1
	v_add_u32_e32 v6, v5, v3
	v_mov_b32_e32 v7, 0
	v_lshlrev_b64 v[6:7], 1, v[6:7]
	s_waitcnt lgkmcnt(0)
	v_mov_b32_e32 v9, s13
	v_add_co_u32_e32 v6, vcc, s12, v6
	v_addc_co_u32_e32 v7, vcc, v9, v7, vcc
	global_store_short v[6:7], v8, off
	s_or_b64 exec, exec, s[14:15]
	s_and_saveexec_b64 s[14:15], s[6:7]
	s_cbranch_execnz .LBB163_40
	s_branch .LBB163_41
.LBB163_75:
	v_bfe_u32 v6, v52, 16, 1
	s_movk_i32 s9, 0x7fff
	v_add3_u32 v6, v52, v6, s9
	v_cmp_o_f32_e32 vcc, v52, v52
	v_mov_b32_e32 v7, 0x7fc0
	v_cndmask_b32_sdwa v8, v7, v6, vcc dst_sel:DWORD dst_unused:UNUSED_PAD src0_sel:DWORD src1_sel:WORD_1
	v_add_u32_e32 v6, v5, v0
	v_mov_b32_e32 v7, 0
	v_lshlrev_b64 v[6:7], 1, v[6:7]
	s_waitcnt lgkmcnt(0)
	v_mov_b32_e32 v9, s13
	v_add_co_u32_e32 v6, vcc, s12, v6
	v_addc_co_u32_e32 v7, vcc, v9, v7, vcc
	global_store_short v[6:7], v8, off
	s_or_b64 exec, exec, s[14:15]
	s_and_saveexec_b64 s[14:15], s[2:3]
	s_cbranch_execz .LBB163_44
.LBB163_76:
	v_bfe_u32 v6, v51, 16, 1
	s_movk_i32 s9, 0x7fff
	v_add3_u32 v6, v51, v6, s9
	v_cmp_o_f32_e32 vcc, v51, v51
	v_mov_b32_e32 v7, 0x7fc0
	v_cndmask_b32_sdwa v8, v7, v6, vcc dst_sel:DWORD dst_unused:UNUSED_PAD src0_sel:DWORD src1_sel:WORD_1
	v_add_u32_e32 v6, v5, v2
	v_mov_b32_e32 v7, 0
	v_lshlrev_b64 v[6:7], 1, v[6:7]
	s_waitcnt lgkmcnt(0)
	v_mov_b32_e32 v9, s13
	v_add_co_u32_e32 v6, vcc, s12, v6
	v_addc_co_u32_e32 v7, vcc, v9, v7, vcc
	global_store_short v[6:7], v8, off
	s_or_b64 exec, exec, s[14:15]
	s_and_saveexec_b64 s[14:15], s[4:5]
	s_cbranch_execz .LBB163_45
.LBB163_77:
	v_bfe_u32 v6, v50, 16, 1
	s_movk_i32 s9, 0x7fff
	v_add3_u32 v6, v50, v6, s9
	v_cmp_o_f32_e32 vcc, v50, v50
	v_mov_b32_e32 v7, 0x7fc0
	v_cndmask_b32_sdwa v8, v7, v6, vcc dst_sel:DWORD dst_unused:UNUSED_PAD src0_sel:DWORD src1_sel:WORD_1
	v_add_u32_e32 v6, v5, v3
	v_mov_b32_e32 v7, 0
	v_lshlrev_b64 v[6:7], 1, v[6:7]
	s_waitcnt lgkmcnt(0)
	v_mov_b32_e32 v9, s13
	v_add_co_u32_e32 v6, vcc, s12, v6
	v_addc_co_u32_e32 v7, vcc, v9, v7, vcc
	global_store_short v[6:7], v8, off
	s_or_b64 exec, exec, s[14:15]
	s_and_saveexec_b64 s[14:15], s[6:7]
	s_cbranch_execnz .LBB163_46
	s_branch .LBB163_47
.LBB163_78:
	v_bfe_u32 v6, v48, 16, 1
	s_movk_i32 s9, 0x7fff
	v_add3_u32 v6, v48, v6, s9
	v_cmp_o_f32_e32 vcc, v48, v48
	v_mov_b32_e32 v7, 0x7fc0
	v_cndmask_b32_sdwa v8, v7, v6, vcc dst_sel:DWORD dst_unused:UNUSED_PAD src0_sel:DWORD src1_sel:WORD_1
	v_add_u32_e32 v6, v5, v0
	v_mov_b32_e32 v7, 0
	v_lshlrev_b64 v[6:7], 1, v[6:7]
	s_waitcnt lgkmcnt(0)
	v_mov_b32_e32 v9, s13
	v_add_co_u32_e32 v6, vcc, s12, v6
	v_addc_co_u32_e32 v7, vcc, v9, v7, vcc
	global_store_short v[6:7], v8, off
	s_or_b64 exec, exec, s[14:15]
	s_and_saveexec_b64 s[14:15], s[2:3]
	s_cbranch_execz .LBB163_50
.LBB163_79:
	v_bfe_u32 v6, v47, 16, 1
	s_movk_i32 s9, 0x7fff
	v_add3_u32 v6, v47, v6, s9
	v_cmp_o_f32_e32 vcc, v47, v47
	v_mov_b32_e32 v7, 0x7fc0
	v_cndmask_b32_sdwa v8, v7, v6, vcc dst_sel:DWORD dst_unused:UNUSED_PAD src0_sel:DWORD src1_sel:WORD_1
	v_add_u32_e32 v6, v5, v2
	v_mov_b32_e32 v7, 0
	v_lshlrev_b64 v[6:7], 1, v[6:7]
	s_waitcnt lgkmcnt(0)
	v_mov_b32_e32 v9, s13
	v_add_co_u32_e32 v6, vcc, s12, v6
	v_addc_co_u32_e32 v7, vcc, v9, v7, vcc
	global_store_short v[6:7], v8, off
	s_or_b64 exec, exec, s[14:15]
	s_and_saveexec_b64 s[14:15], s[4:5]
	s_cbranch_execz .LBB163_51
.LBB163_80:
	v_bfe_u32 v6, v46, 16, 1
	s_movk_i32 s9, 0x7fff
	v_add3_u32 v6, v46, v6, s9
	v_cmp_o_f32_e32 vcc, v46, v46
	v_mov_b32_e32 v7, 0x7fc0
	v_cndmask_b32_sdwa v8, v7, v6, vcc dst_sel:DWORD dst_unused:UNUSED_PAD src0_sel:DWORD src1_sel:WORD_1
	v_add_u32_e32 v6, v5, v3
	v_mov_b32_e32 v7, 0
	v_lshlrev_b64 v[6:7], 1, v[6:7]
	s_waitcnt lgkmcnt(0)
	v_mov_b32_e32 v9, s13
	v_add_co_u32_e32 v6, vcc, s12, v6
	v_addc_co_u32_e32 v7, vcc, v9, v7, vcc
	global_store_short v[6:7], v8, off
	s_or_b64 exec, exec, s[14:15]
	s_and_saveexec_b64 s[14:15], s[6:7]
	s_cbranch_execnz .LBB163_52
	s_branch .LBB163_53
.LBB163_81:
	v_bfe_u32 v6, v44, 16, 1
	s_movk_i32 s9, 0x7fff
	v_add3_u32 v6, v44, v6, s9
	v_cmp_o_f32_e32 vcc, v44, v44
	v_mov_b32_e32 v7, 0x7fc0
	v_cndmask_b32_sdwa v8, v7, v6, vcc dst_sel:DWORD dst_unused:UNUSED_PAD src0_sel:DWORD src1_sel:WORD_1
	v_add_u32_e32 v6, v5, v0
	v_mov_b32_e32 v7, 0
	v_lshlrev_b64 v[6:7], 1, v[6:7]
	s_waitcnt lgkmcnt(0)
	v_mov_b32_e32 v9, s13
	v_add_co_u32_e32 v6, vcc, s12, v6
	v_addc_co_u32_e32 v7, vcc, v9, v7, vcc
	global_store_short v[6:7], v8, off
	s_or_b64 exec, exec, s[14:15]
	s_and_saveexec_b64 s[14:15], s[2:3]
	s_cbranch_execz .LBB163_56
.LBB163_82:
	v_bfe_u32 v6, v43, 16, 1
	s_movk_i32 s9, 0x7fff
	v_add3_u32 v6, v43, v6, s9
	v_cmp_o_f32_e32 vcc, v43, v43
	v_mov_b32_e32 v7, 0x7fc0
	v_cndmask_b32_sdwa v8, v7, v6, vcc dst_sel:DWORD dst_unused:UNUSED_PAD src0_sel:DWORD src1_sel:WORD_1
	v_add_u32_e32 v6, v5, v2
	v_mov_b32_e32 v7, 0
	v_lshlrev_b64 v[6:7], 1, v[6:7]
	s_waitcnt lgkmcnt(0)
	v_mov_b32_e32 v9, s13
	v_add_co_u32_e32 v6, vcc, s12, v6
	v_addc_co_u32_e32 v7, vcc, v9, v7, vcc
	global_store_short v[6:7], v8, off
	s_or_b64 exec, exec, s[14:15]
	s_and_saveexec_b64 s[14:15], s[4:5]
	s_cbranch_execz .LBB163_57
.LBB163_83:
	v_bfe_u32 v6, v42, 16, 1
	s_movk_i32 s9, 0x7fff
	v_add3_u32 v6, v42, v6, s9
	v_cmp_o_f32_e32 vcc, v42, v42
	v_mov_b32_e32 v7, 0x7fc0
	v_cndmask_b32_sdwa v8, v7, v6, vcc dst_sel:DWORD dst_unused:UNUSED_PAD src0_sel:DWORD src1_sel:WORD_1
	v_add_u32_e32 v6, v5, v3
	v_mov_b32_e32 v7, 0
	v_lshlrev_b64 v[6:7], 1, v[6:7]
	s_waitcnt lgkmcnt(0)
	v_mov_b32_e32 v9, s13
	v_add_co_u32_e32 v6, vcc, s12, v6
	v_addc_co_u32_e32 v7, vcc, v9, v7, vcc
	global_store_short v[6:7], v8, off
	s_or_b64 exec, exec, s[14:15]
	s_and_saveexec_b64 s[14:15], s[6:7]
	s_cbranch_execnz .LBB163_58
	s_branch .LBB163_59
.LBB163_84:
	v_bfe_u32 v5, v40, 16, 1
	s_movk_i32 s0, 0x7fff
	v_add3_u32 v5, v40, v5, s0
	v_cmp_o_f32_e32 vcc, v40, v40
	v_mov_b32_e32 v6, 0x7fc0
	v_cndmask_b32_sdwa v7, v6, v5, vcc dst_sel:DWORD dst_unused:UNUSED_PAD src0_sel:DWORD src1_sel:WORD_1
	v_add_u32_e32 v5, v1, v0
	v_mov_b32_e32 v6, 0
	v_lshlrev_b64 v[5:6], 1, v[5:6]
	s_waitcnt lgkmcnt(0)
	v_mov_b32_e32 v0, s13
	v_add_co_u32_e32 v5, vcc, s12, v5
	v_addc_co_u32_e32 v6, vcc, v0, v6, vcc
	global_store_short v[5:6], v7, off
	s_or_b64 exec, exec, s[8:9]
	s_and_saveexec_b64 s[0:1], s[2:3]
	s_cbranch_execz .LBB163_62
.LBB163_85:
	v_bfe_u32 v0, v39, 16, 1
	s_movk_i32 s2, 0x7fff
	v_add3_u32 v0, v39, v0, s2
	v_cmp_o_f32_e32 vcc, v39, v39
	v_mov_b32_e32 v5, 0x7fc0
	v_cndmask_b32_sdwa v0, v5, v0, vcc dst_sel:DWORD dst_unused:UNUSED_PAD src0_sel:DWORD src1_sel:WORD_1
	v_add_u32_e32 v5, v1, v2
	v_mov_b32_e32 v6, 0
	v_lshlrev_b64 v[5:6], 1, v[5:6]
	s_waitcnt lgkmcnt(0)
	v_mov_b32_e32 v2, s13
	v_add_co_u32_e32 v5, vcc, s12, v5
	v_addc_co_u32_e32 v6, vcc, v2, v6, vcc
	global_store_short v[5:6], v0, off
	s_or_b64 exec, exec, s[0:1]
	s_and_saveexec_b64 s[0:1], s[4:5]
	s_cbranch_execz .LBB163_63
.LBB163_86:
	v_bfe_u32 v0, v38, 16, 1
	s_movk_i32 s2, 0x7fff
	v_add3_u32 v0, v38, v0, s2
	v_cmp_o_f32_e32 vcc, v38, v38
	v_mov_b32_e32 v2, 0x7fc0
	v_cndmask_b32_sdwa v0, v2, v0, vcc dst_sel:DWORD dst_unused:UNUSED_PAD src0_sel:DWORD src1_sel:WORD_1
	v_add_u32_e32 v2, v1, v3
	v_mov_b32_e32 v3, 0
	v_lshlrev_b64 v[2:3], 1, v[2:3]
	s_waitcnt lgkmcnt(0)
	v_mov_b32_e32 v5, s13
	v_add_co_u32_e32 v2, vcc, s12, v2
	v_addc_co_u32_e32 v3, vcc, v5, v3, vcc
	global_store_short v[2:3], v0, off
	s_or_b64 exec, exec, s[0:1]
	s_and_b64 exec, exec, s[6:7]
	s_cbranch_execnz .LBB163_64
	s_branch .LBB163_65
	.section	.rodata,"a",@progbits
	.p2align	6, 0x0
	.amdhsa_kernel _ZL12mul_mat_q5_1IN3c108BFloat16ELb0EEvPKvS3_PT_iiiii
		.amdhsa_group_segment_fixed_size 46720
		.amdhsa_private_segment_fixed_size 0
		.amdhsa_kernarg_size 44
		.amdhsa_user_sgpr_count 6
		.amdhsa_user_sgpr_private_segment_buffer 1
		.amdhsa_user_sgpr_dispatch_ptr 0
		.amdhsa_user_sgpr_queue_ptr 0
		.amdhsa_user_sgpr_kernarg_segment_ptr 1
		.amdhsa_user_sgpr_dispatch_id 0
		.amdhsa_user_sgpr_flat_scratch_init 0
		.amdhsa_user_sgpr_private_segment_size 0
		.amdhsa_uses_dynamic_stack 0
		.amdhsa_system_sgpr_private_segment_wavefront_offset 0
		.amdhsa_system_sgpr_workgroup_id_x 1
		.amdhsa_system_sgpr_workgroup_id_y 1
		.amdhsa_system_sgpr_workgroup_id_z 0
		.amdhsa_system_sgpr_workgroup_info 0
		.amdhsa_system_vgpr_workitem_id 1
		.amdhsa_next_free_vgpr 168
		.amdhsa_next_free_sgpr 98
		.amdhsa_reserve_vcc 1
		.amdhsa_reserve_flat_scratch 0
		.amdhsa_float_round_mode_32 0
		.amdhsa_float_round_mode_16_64 0
		.amdhsa_float_denorm_mode_32 3
		.amdhsa_float_denorm_mode_16_64 3
		.amdhsa_dx10_clamp 1
		.amdhsa_ieee_mode 1
		.amdhsa_fp16_overflow 0
		.amdhsa_exception_fp_ieee_invalid_op 0
		.amdhsa_exception_fp_denorm_src 0
		.amdhsa_exception_fp_ieee_div_zero 0
		.amdhsa_exception_fp_ieee_overflow 0
		.amdhsa_exception_fp_ieee_underflow 0
		.amdhsa_exception_fp_ieee_inexact 0
		.amdhsa_exception_int_div_zero 0
	.end_amdhsa_kernel
	.section	.text._ZL12mul_mat_q5_1IN3c108BFloat16ELb0EEvPKvS3_PT_iiiii,"axG",@progbits,_ZL12mul_mat_q5_1IN3c108BFloat16ELb0EEvPKvS3_PT_iiiii,comdat
.Lfunc_end163:
	.size	_ZL12mul_mat_q5_1IN3c108BFloat16ELb0EEvPKvS3_PT_iiiii, .Lfunc_end163-_ZL12mul_mat_q5_1IN3c108BFloat16ELb0EEvPKvS3_PT_iiiii
                                        ; -- End function
	.set _ZL12mul_mat_q5_1IN3c108BFloat16ELb0EEvPKvS3_PT_iiiii.num_vgpr, 168
	.set _ZL12mul_mat_q5_1IN3c108BFloat16ELb0EEvPKvS3_PT_iiiii.num_agpr, 0
	.set _ZL12mul_mat_q5_1IN3c108BFloat16ELb0EEvPKvS3_PT_iiiii.numbered_sgpr, 18
	.set _ZL12mul_mat_q5_1IN3c108BFloat16ELb0EEvPKvS3_PT_iiiii.num_named_barrier, 0
	.set _ZL12mul_mat_q5_1IN3c108BFloat16ELb0EEvPKvS3_PT_iiiii.private_seg_size, 0
	.set _ZL12mul_mat_q5_1IN3c108BFloat16ELb0EEvPKvS3_PT_iiiii.uses_vcc, 1
	.set _ZL12mul_mat_q5_1IN3c108BFloat16ELb0EEvPKvS3_PT_iiiii.uses_flat_scratch, 0
	.set _ZL12mul_mat_q5_1IN3c108BFloat16ELb0EEvPKvS3_PT_iiiii.has_dyn_sized_stack, 0
	.set _ZL12mul_mat_q5_1IN3c108BFloat16ELb0EEvPKvS3_PT_iiiii.has_recursion, 0
	.set _ZL12mul_mat_q5_1IN3c108BFloat16ELb0EEvPKvS3_PT_iiiii.has_indirect_call, 0
	.section	.AMDGPU.csdata,"",@progbits
; Kernel info:
; codeLenInByte = 15624
; TotalNumSgprs: 22
; NumVgprs: 168
; ScratchSize: 0
; MemoryBound: 0
; FloatMode: 240
; IeeeMode: 1
; LDSByteSize: 46720 bytes/workgroup (compile time only)
; SGPRBlocks: 12
; VGPRBlocks: 41
; NumSGPRsForWavesPerEU: 102
; NumVGPRsForWavesPerEU: 168
; Occupancy: 1
; WaveLimiterHint : 0
; COMPUTE_PGM_RSRC2:SCRATCH_EN: 0
; COMPUTE_PGM_RSRC2:USER_SGPR: 6
; COMPUTE_PGM_RSRC2:TRAP_HANDLER: 0
; COMPUTE_PGM_RSRC2:TGID_X_EN: 1
; COMPUTE_PGM_RSRC2:TGID_Y_EN: 1
; COMPUTE_PGM_RSRC2:TGID_Z_EN: 0
; COMPUTE_PGM_RSRC2:TIDIG_COMP_CNT: 1
	.section	.text._ZL12mul_mat_q5_1IN3c108BFloat16ELb1EEvPKvS3_PT_iiiii,"axG",@progbits,_ZL12mul_mat_q5_1IN3c108BFloat16ELb1EEvPKvS3_PT_iiiii,comdat
	.globl	_ZL12mul_mat_q5_1IN3c108BFloat16ELb1EEvPKvS3_PT_iiiii ; -- Begin function _ZL12mul_mat_q5_1IN3c108BFloat16ELb1EEvPKvS3_PT_iiiii
	.p2align	8
	.type	_ZL12mul_mat_q5_1IN3c108BFloat16ELb1EEvPKvS3_PT_iiiii,@function
_ZL12mul_mat_q5_1IN3c108BFloat16ELb1EEvPKvS3_PT_iiiii: ; @_ZL12mul_mat_q5_1IN3c108BFloat16ELb1EEvPKvS3_PT_iiiii
; %bb.0:
	s_load_dwordx4 s[8:11], s[4:5], 0x18
	s_load_dword s14, s[4:5], 0x28
	s_lshl_b32 s15, s7, 6
	v_add_u32_e32 v75, s15, v1
	s_waitcnt lgkmcnt(0)
	s_cmp_gt_i32 s8, 31
	s_cbranch_scc1 .LBB164_2
; %bb.1:
	v_add_u32_e32 v2, s15, v1
	s_mov_b64 s[0:1], 0
	s_branch .LBB164_3
.LBB164_2:
	s_mov_b64 s[0:1], -1
                                        ; implicit-def: $vgpr2
.LBB164_3:
	s_load_dwordx2 s[12:13], s[4:5], 0x10
	s_lshl_b32 s6, s6, 7
	v_mov_b32_e32 v53, 0
	s_andn2_b64 vcc, exec, s[0:1]
	v_mov_b32_e32 v57, 0
	v_mov_b32_e32 v61, 0
	;; [unrolled: 1-line block ×31, first 2 shown]
	s_cbranch_vccnz .LBB164_14
; %bb.4:
	s_load_dwordx4 s[0:3], s[4:5], 0x0
	s_ashr_i32 s4, s8, 31
	s_lshr_b32 s4, s4, 27
	s_ashr_i32 s5, s11, 31
	s_add_i32 s4, s8, s4
	s_lshr_b32 s5, s5, 27
	s_ashr_i32 s4, s4, 5
	s_add_i32 s5, s11, s5
	s_ashr_i32 s11, s5, 5
	s_mul_i32 s5, s4, s6
	s_mul_hi_i32 s7, s5, 24
	s_mul_i32 s5, s5, 24
	s_waitcnt lgkmcnt(0)
	s_add_u32 s5, s0, s5
	s_addc_u32 s7, s1, s7
	s_not_b32 s0, s6
	s_add_i32 s1, s9, s0
	v_and_b32_e32 v19, 3, v0
	v_min_i32_e32 v2, s1, v1
	v_lshlrev_b32_e32 v18, 3, v0
	s_movk_i32 s0, 0x104
	v_mul_lo_u32 v83, v2, s4
	v_mad_u64_u32 v[2:3], s[8:9], v2, s0, v[18:19]
	v_add_u32_e32 v28, 8, v1
	v_min_i32_e32 v3, s1, v28
	v_mul_lo_u32 v84, v3, s4
	v_mad_u64_u32 v[3:4], s[8:9], v3, s0, v[18:19]
	v_add_u32_e32 v29, 16, v1
	v_min_i32_e32 v4, s1, v29
	;; [unrolled: 4-line block ×15, first 2 shown]
	v_mul_lo_u32 v101, v17, s4
	v_mad_u64_u32 v[17:18], s[8:9], v17, s0, v[18:19]
	v_lshrrev_b32_e32 v103, 3, v0
	v_lshl_add_u32 v18, v1, 2, v103
	v_min_i32_e32 v20, s1, v18
	v_ashrrev_i32_e32 v21, 31, v20
	v_lshrrev_b32_e32 v21, 30, v21
	v_and_b32_e32 v102, 7, v0
	v_mul_lo_u32 v104, v20, s4
	v_add_u32_e32 v21, v20, v21
	v_lshlrev_b32_e32 v38, 5, v20
	v_add_u32_e32 v20, 32, v18
	v_and_b32_e32 v21, -4, v21
	v_lshlrev_b32_e32 v22, 2, v102
	s_mov_b32 s8, 0xa200
	v_min_i32_e32 v20, s1, v20
	v_add3_u32 v37, v21, v22, s8
	v_ashrrev_i32_e32 v21, 31, v20
	v_lshrrev_b32_e32 v21, 30, v21
	v_mul_lo_u32 v105, v20, s4
	v_add_u32_e32 v21, v20, v21
	v_lshlrev_b32_e32 v40, 5, v20
	v_add_u32_e32 v20, 64, v18
	v_and_b32_e32 v21, -4, v21
	v_min_i32_e32 v20, s1, v20
	v_add3_u32 v39, v21, v22, s8
	v_ashrrev_i32_e32 v21, 31, v20
	v_add_u32_e32 v18, 0x60, v18
	v_lshrrev_b32_e32 v21, 30, v21
	v_min_i32_e32 v18, s1, v18
	v_mul_lo_u32 v107, v20, s4
	v_add_u32_e32 v21, v20, v21
	v_lshlrev_b32_e32 v42, 5, v20
	v_ashrrev_i32_e32 v20, 31, v18
	v_lshrrev_b32_e32 v20, 30, v20
	v_add_u32_e32 v20, v18, v20
	v_and_b32_e32 v21, -4, v21
	v_and_b32_e32 v20, -4, v20
	v_add3_u32 v41, v21, v22, s8
	v_add3_u32 v43, v20, v22, s8
	s_add_i32 s1, s10, -1
	v_lshlrev_b32_e32 v22, 2, v0
	v_lshrrev_b32_e32 v81, 2, v0
	v_mul_lo_u32 v108, v18, s4
	v_lshlrev_b32_e32 v44, 5, v18
	v_cvt_f64_i32_e32 v[20:21], s1
	v_and_b32_e32 v18, 31, v0
	v_and_b32_e32 v45, 28, v22
	v_mov_b32_e32 v24, 0x8200
	v_cvt_f64_u32_e32 v[22:23], v75
	v_lshl_or_b32 v46, v18, 2, v24
	v_lshl_add_u32 v18, v1, 3, v81
	v_and_b32_e32 v30, 63, v18
	v_add_u32_e32 v18, 8, v75
	v_cvt_f64_u32_e32 v[24:25], v18
	v_add_u32_e32 v18, 16, v75
	v_min_f64 v[22:23], v[22:23], v[20:21]
	v_cvt_f64_u32_e32 v[26:27], v18
	v_min_f64 v[24:25], v[24:25], v[20:21]
	v_or_b32_e32 v18, s15, v30
	v_min_i32_e32 v18, s1, v18
	v_min_f64 v[26:27], v[26:27], v[20:21]
	v_lshlrev_b32_e32 v82, 2, v19
	v_mad_u64_u32 v[18:19], s[8:9], v18, s11, v[19:20]
	v_cvt_i32_f64_e32 v22, v[22:23]
	v_lshl_or_b32 v19, v30, 4, v82
	v_add_u32_e32 v110, 0xb280, v19
	v_cvt_i32_f64_e32 v19, v[24:25]
	v_mul_lo_u32 v111, s11, v22
	v_cvt_i32_f64_e32 v22, v[26:27]
	v_lshlrev_b32_e32 v48, 7, v28
	v_mul_lo_u32 v112, s11, v19
	v_add_u32_e32 v19, 24, v75
	v_mul_lo_u32 v113, s11, v22
	v_cvt_f64_u32_e32 v[22:23], v19
	v_add_u32_e32 v19, 32, v75
	v_cvt_f64_u32_e32 v[24:25], v19
	v_add_u32_e32 v19, 40, v75
	v_min_f64 v[22:23], v[22:23], v[20:21]
	v_cvt_f64_u32_e32 v[26:27], v19
	v_add_u32_e32 v19, 48, v75
	v_lshlrev_b32_e32 v49, 7, v29
	v_cvt_f64_u32_e32 v[28:29], v19
	v_add_u32_e32 v19, 56, v75
	v_cvt_f64_u32_e32 v[30:31], v19
	v_min_f64 v[24:25], v[24:25], v[20:21]
	v_min_f64 v[26:27], v[26:27], v[20:21]
	v_cvt_i32_f64_e32 v50, v[22:23]
	v_min_f64 v[22:23], v[28:29], v[20:21]
	v_min_f64 v[19:20], v[30:31], v[20:21]
	v_add_u32_e32 v28, 0x60, v0
	v_mul_lo_u32 v114, s11, v50
	v_lshlrev_b32_e32 v29, 5, v0
	v_cvt_i32_f64_e32 v24, v[24:25]
	v_cvt_i32_f64_e32 v25, v[26:27]
	v_add_u32_e32 v26, 32, v0
	v_cvt_i32_f64_e32 v22, v[22:23]
	v_cvt_i32_f64_e32 v19, v[19:20]
	v_mul_lo_u32 v115, s11, v24
	v_mul_lo_u32 v116, s11, v25
	;; [unrolled: 1-line block ×4, first 2 shown]
	v_add_u32_e32 v27, 64, v0
	v_lshrrev_b32_e32 v120, 3, v26
	v_and_b32_e32 v26, 0x1fc, v26
	v_and_b32_e32 v28, 0x1fc, v28
	;; [unrolled: 1-line block ×3, first 2 shown]
	v_add_u32_e32 v26, v29, v26
	v_and_b32_e32 v30, 0xfc, v0
	v_lshlrev_b32_e32 v47, 7, v1
	v_lshlrev_b32_e32 v21, 7, v32
	;; [unrolled: 1-line block ×6, first 2 shown]
	v_mov_b32_e32 v20, s3
	v_add_co_u32_e32 v19, vcc, s2, v45
	v_add_u32_e32 v28, v29, v28
	v_add_u32_e32 v27, v29, v27
	;; [unrolled: 1-line block ×4, first 2 shown]
	v_mov_b32_e32 v30, 0xb280
	v_add_u32_e32 v129, 0xa610, v26
	v_mov_b32_e32 v26, 0x80
	v_mov_b32_e32 v76, 0
	s_add_i32 s8, s4, 3
	v_mul_u32_u24_e32 v119, 0x104, v0
	v_addc_co_u32_e32 v20, vcc, 0, v20, vcc
	v_add_u32_e32 v121, 0xae00, v28
	v_add_u32_e32 v122, 0xaa00, v27
	;; [unrolled: 1-line block ×3, first 2 shown]
	v_lshl_add_u32 v125, v1, 4, v30
	v_add_u32_e32 v126, 0x8200, v47
	v_add_u32_e32 v127, 0xae10, v28
	;; [unrolled: 1-line block ×4, first 2 shown]
	v_mad_u32_u24 v131, v0, s0, v26
	s_mov_b32 s9, 0
	v_add_u32_e32 v132, v37, v38
	v_add_u32_e32 v133, v39, v40
	;; [unrolled: 1-line block ×12, first 2 shown]
	v_mov_b32_e32 v92, 0
	v_mov_b32_e32 v78, 0
	;; [unrolled: 1-line block ×31, first 2 shown]
	s_branch .LBB164_6
.LBB164_5:                              ;   in Loop: Header=BB164_6 Depth=1
	s_add_i32 s9, s9, 8
	s_add_i32 s8, s8, -8
	s_cmp_ge_i32 s9, s4
	s_cbranch_scc1 .LBB164_13
.LBB164_6:                              ; =>This Loop Header: Depth=1
                                        ;     Child Loop BB164_8 Depth 2
                                        ;     Child Loop BB164_11 Depth 2
	s_mul_i32 s0, s9, 24
	s_mul_hi_u32 s1, s9, 24
	s_add_u32 s0, s5, s0
	s_addc_u32 s1, s7, s1
	v_mad_u64_u32 v[21:22], s[16:17], v81, 24, s[0:1]
	s_cmp_gt_u32 s8, 3
	v_mad_i64_i32 v[23:24], s[16:17], v83, 24, v[21:22]
	v_mad_i64_i32 v[29:30], s[16:17], v87, 24, v[21:22]
	v_add_co_u32_e32 v25, vcc, v23, v82
	v_mad_i64_i32 v[27:28], s[16:17], v85, 24, v[21:22]
	v_addc_co_u32_e32 v26, vcc, 0, v24, vcc
	v_mad_i64_i32 v[31:32], s[16:17], v84, 24, v[21:22]
	global_load_dword v39, v[25:26], off offset:8
	global_load_dword v40, v[29:30], off offset:4
	;; [unrolled: 1-line block ×4, first 2 shown]
                                        ; kill: killed $vgpr25 killed $vgpr26
	global_load_dword v43, v[23:24], off offset:4
	v_add_co_u32_e32 v23, vcc, v31, v82
	v_addc_co_u32_e32 v24, vcc, 0, v32, vcc
	global_load_dword v44, v[23:24], off offset:8
	v_add_co_u32_e32 v23, vcc, v27, v82
	v_addc_co_u32_e32 v24, vcc, 0, v28, vcc
	v_add_co_u32_e32 v25, vcc, v29, v82
	v_addc_co_u32_e32 v26, vcc, 0, v30, vcc
	global_load_dword v45, v[23:24], off offset:8
	global_load_dword v46, v[25:26], off offset:8
	v_mad_i64_i32 v[23:24], s[16:17], v88, 24, v[21:22]
	v_mad_i64_i32 v[25:26], s[16:17], v89, 24, v[21:22]
	;; [unrolled: 1-line block ×3, first 2 shown]
	v_add_co_u32_e32 v31, vcc, v23, v82
	v_addc_co_u32_e32 v32, vcc, 0, v24, vcc
	v_mad_i64_i32 v[29:30], s[16:17], v91, 24, v[21:22]
	v_add_co_u32_e32 v33, vcc, v25, v82
	v_addc_co_u32_e32 v34, vcc, 0, v26, vcc
	v_add_co_u32_e32 v35, vcc, v27, v82
	v_addc_co_u32_e32 v36, vcc, 0, v28, vcc
	;; [unrolled: 2-line block ×3, first 2 shown]
	global_load_dword v31, v[31:32], off offset:8
	s_nop 0
	global_load_dword v47, v[33:34], off offset:8
	global_load_dword v48, v[35:36], off offset:8
	;; [unrolled: 1-line block ×6, first 2 shown]
	s_nop 0
	global_load_dword v23, v[23:24], off offset:4
	s_waitcnt vmcnt(15)
	v_lshrrev_b32_e32 v26, 4, v39
	v_and_b32_e32 v25, 0xf0f0f0f, v39
	v_and_b32_e32 v26, 0xf0f0f0f, v26
	s_waitcnt vmcnt(12)
	v_ashrrev_i32_e32 v27, v82, v42
	v_lshlrev_b32_e32 v37, 4, v27
	s_waitcnt vmcnt(11)
	v_ashrrev_i32_e32 v24, v82, v43
	v_lshlrev_b32_e32 v29, 4, v24
	v_lshlrev_b32_e32 v30, 11, v24
	v_lshrrev_b32_e32 v34, 12, v24
	v_lshrrev_b32_e32 v35, 5, v24
	v_lshlrev_b32_e32 v32, 18, v24
	v_lshlrev_b32_e32 v33, 25, v24
	;; [unrolled: 1-line block ×4, first 2 shown]
	v_and_b32_e32 v29, 16, v29
	v_and_b32_e32 v30, 0x1000, v30
	;; [unrolled: 1-line block ×8, first 2 shown]
	v_or3_b32 v25, v29, v25, v30
	v_or3_b32 v26, v34, v26, v35
	;; [unrolled: 1-line block ×4, first 2 shown]
	ds_write2_b32 v2, v25, v24 offset1:1
	v_lshlrev_b32_e32 v25, 11, v27
	s_waitcnt vmcnt(10)
	v_and_b32_e32 v28, 0xf0f0f0f, v44
	v_and_b32_e32 v24, 16, v37
	;; [unrolled: 1-line block ×3, first 2 shown]
	v_or3_b32 v24, v24, v28, v25
	v_lshlrev_b32_e32 v25, 18, v27
	v_lshlrev_b32_e32 v26, 25, v27
	v_and_b32_e32 v25, 0x100000, v25
	v_and_b32_e32 v26, 0x10000000, v26
	v_or3_b32 v24, v24, v25, v26
	v_lshrrev_b32_e32 v25, 4, v44
	v_lshrrev_b32_e32 v26, 12, v27
	;; [unrolled: 1-line block ×3, first 2 shown]
	v_and_b32_e32 v25, 0xf0f0f0f, v25
	v_and_b32_e32 v26, 16, v26
	;; [unrolled: 1-line block ×3, first 2 shown]
	v_or3_b32 v25, v26, v25, v28
	v_lshlrev_b32_e32 v26, 2, v27
	v_lshlrev_b32_e32 v27, 9, v27
	v_and_b32_e32 v26, 0x100000, v26
	v_and_b32_e32 v27, 0x10000000, v27
	v_or3_b32 v25, v25, v26, v27
	ds_write2_b32 v3, v24, v25 offset1:1
	v_ashrrev_i32_e32 v24, v82, v41
	v_lshlrev_b32_e32 v26, 4, v24
	v_lshlrev_b32_e32 v27, 11, v24
	s_waitcnt vmcnt(9)
	v_and_b32_e32 v25, 0xf0f0f0f, v45
	v_and_b32_e32 v26, 16, v26
	;; [unrolled: 1-line block ×3, first 2 shown]
	v_or3_b32 v25, v26, v25, v27
	v_lshlrev_b32_e32 v26, 18, v24
	v_lshlrev_b32_e32 v27, 25, v24
	v_and_b32_e32 v26, 0x100000, v26
	v_and_b32_e32 v27, 0x10000000, v27
	v_or3_b32 v25, v25, v26, v27
	v_lshrrev_b32_e32 v26, 4, v45
	v_lshrrev_b32_e32 v27, 12, v24
	;; [unrolled: 1-line block ×3, first 2 shown]
	v_and_b32_e32 v26, 0xf0f0f0f, v26
	v_and_b32_e32 v27, 16, v27
	;; [unrolled: 1-line block ×3, first 2 shown]
	v_or3_b32 v26, v27, v26, v28
	v_lshlrev_b32_e32 v27, 2, v24
	v_lshlrev_b32_e32 v24, 9, v24
	v_and_b32_e32 v27, 0x100000, v27
	v_and_b32_e32 v24, 0x10000000, v24
	v_or3_b32 v24, v26, v27, v24
	ds_write2_b32 v4, v25, v24 offset1:1
	v_ashrrev_i32_e32 v24, v82, v40
	v_lshlrev_b32_e32 v26, 4, v24
	v_lshlrev_b32_e32 v27, 11, v24
	s_waitcnt vmcnt(8)
	v_and_b32_e32 v25, 0xf0f0f0f, v46
	v_and_b32_e32 v26, 16, v26
	;; [unrolled: 1-line block ×3, first 2 shown]
	v_or3_b32 v25, v26, v25, v27
	v_lshlrev_b32_e32 v26, 18, v24
	v_lshlrev_b32_e32 v27, 25, v24
	v_and_b32_e32 v26, 0x100000, v26
	v_and_b32_e32 v27, 0x10000000, v27
	v_or3_b32 v25, v25, v26, v27
	v_lshrrev_b32_e32 v26, 4, v46
	v_lshrrev_b32_e32 v27, 12, v24
	;; [unrolled: 1-line block ×3, first 2 shown]
	v_and_b32_e32 v26, 0xf0f0f0f, v26
	v_and_b32_e32 v27, 16, v27
	;; [unrolled: 1-line block ×3, first 2 shown]
	v_or3_b32 v26, v27, v26, v28
	v_lshlrev_b32_e32 v27, 2, v24
	v_lshlrev_b32_e32 v24, 9, v24
	v_and_b32_e32 v27, 0x100000, v27
	v_and_b32_e32 v24, 0x10000000, v24
	v_or3_b32 v24, v26, v27, v24
	s_waitcnt vmcnt(0)
	v_ashrrev_i32_e32 v39, v82, v23
	ds_write2_b32 v5, v25, v24 offset1:1
	v_lshlrev_b32_e32 v24, 4, v39
	v_lshlrev_b32_e32 v25, 11, v39
	v_and_b32_e32 v23, 0xf0f0f0f, v31
	v_and_b32_e32 v24, 16, v24
	;; [unrolled: 1-line block ×3, first 2 shown]
	v_or3_b32 v23, v24, v23, v25
	v_lshlrev_b32_e32 v24, 18, v39
	v_lshlrev_b32_e32 v25, 25, v39
	v_and_b32_e32 v24, 0x100000, v24
	v_and_b32_e32 v25, 0x10000000, v25
	v_or3_b32 v40, v23, v24, v25
	v_lshrrev_b32_e32 v23, 4, v31
	v_lshrrev_b32_e32 v24, 12, v39
	;; [unrolled: 1-line block ×3, first 2 shown]
	v_and_b32_e32 v23, 0xf0f0f0f, v23
	v_and_b32_e32 v24, 16, v24
	;; [unrolled: 1-line block ×3, first 2 shown]
	v_or3_b32 v41, v24, v23, v25
	v_lshlrev_b32_e32 v23, 2, v39
	v_and_b32_e32 v42, 0x100000, v23
	v_mad_i64_i32 v[23:24], s[16:17], v93, 24, v[21:22]
	v_mad_i64_i32 v[25:26], s[16:17], v94, 24, v[21:22]
	v_add_co_u32_e32 v27, vcc, v23, v82
	v_mad_i64_i32 v[31:32], s[16:17], v95, 24, v[21:22]
	v_addc_co_u32_e32 v28, vcc, 0, v24, vcc
	v_add_co_u32_e32 v29, vcc, v25, v82
	v_mad_i64_i32 v[33:34], s[16:17], v96, 24, v[21:22]
	v_addc_co_u32_e32 v30, vcc, 0, v26, vcc
	v_add_co_u32_e32 v35, vcc, v31, v82
	v_addc_co_u32_e32 v36, vcc, 0, v32, vcc
	v_add_co_u32_e32 v37, vcc, v33, v82
	v_addc_co_u32_e32 v38, vcc, 0, v34, vcc
	global_load_dword v27, v[27:28], off offset:8
	s_nop 0
	global_load_dword v43, v[29:30], off offset:8
	global_load_dword v44, v[35:36], off offset:8
	s_nop 0
	global_load_dword v37, v[37:38], off offset:8
	s_nop 0
	global_load_dword v38, v[33:34], off offset:4
	global_load_dword v45, v[31:32], off offset:4
	;; [unrolled: 1-line block ×3, first 2 shown]
	s_nop 0
	global_load_dword v23, v[23:24], off offset:4
	v_lshlrev_b32_e32 v24, 9, v39
	v_and_b32_e32 v24, 0x10000000, v24
	v_or3_b32 v24, v41, v42, v24
	ds_write2_b32 v6, v40, v24 offset1:1
	v_ashrrev_i32_e32 v24, v82, v52
	v_lshlrev_b32_e32 v26, 4, v24
	v_lshlrev_b32_e32 v28, 11, v24
	v_and_b32_e32 v25, 0xf0f0f0f, v47
	v_and_b32_e32 v26, 16, v26
	v_and_b32_e32 v28, 0x1000, v28
	v_or3_b32 v25, v26, v25, v28
	v_lshlrev_b32_e32 v26, 18, v24
	v_lshlrev_b32_e32 v28, 25, v24
	v_and_b32_e32 v26, 0x100000, v26
	v_and_b32_e32 v28, 0x10000000, v28
	v_or3_b32 v25, v25, v26, v28
	v_lshrrev_b32_e32 v26, 4, v47
	v_lshrrev_b32_e32 v28, 12, v24
	v_lshrrev_b32_e32 v29, 5, v24
	v_and_b32_e32 v26, 0xf0f0f0f, v26
	v_and_b32_e32 v28, 16, v28
	v_and_b32_e32 v29, 0x1000, v29
	v_or3_b32 v26, v28, v26, v29
	v_lshlrev_b32_e32 v28, 2, v24
	v_lshlrev_b32_e32 v24, 9, v24
	v_and_b32_e32 v28, 0x100000, v28
	v_and_b32_e32 v24, 0x10000000, v24
	v_or3_b32 v24, v26, v28, v24
	ds_write2_b32 v7, v25, v24 offset1:1
	v_ashrrev_i32_e32 v24, v82, v51
	v_lshlrev_b32_e32 v26, 4, v24
	v_lshlrev_b32_e32 v28, 11, v24
	v_and_b32_e32 v25, 0xf0f0f0f, v48
	v_and_b32_e32 v26, 16, v26
	v_and_b32_e32 v28, 0x1000, v28
	v_or3_b32 v25, v26, v25, v28
	v_lshlrev_b32_e32 v26, 18, v24
	v_lshlrev_b32_e32 v28, 25, v24
	v_and_b32_e32 v26, 0x100000, v26
	v_and_b32_e32 v28, 0x10000000, v28
	v_or3_b32 v25, v25, v26, v28
	v_lshrrev_b32_e32 v26, 4, v48
	v_lshrrev_b32_e32 v28, 12, v24
	v_lshrrev_b32_e32 v29, 5, v24
	v_and_b32_e32 v26, 0xf0f0f0f, v26
	v_and_b32_e32 v28, 16, v28
	v_and_b32_e32 v29, 0x1000, v29
	v_or3_b32 v26, v28, v26, v29
	v_lshlrev_b32_e32 v28, 2, v24
	v_lshlrev_b32_e32 v24, 9, v24
	v_and_b32_e32 v28, 0x100000, v28
	;; [unrolled: 25-line block ×3, first 2 shown]
	v_and_b32_e32 v24, 0x10000000, v24
	v_or3_b32 v24, v26, v28, v24
	ds_write2_b32 v9, v25, v24 offset1:1
	s_waitcnt vmcnt(0)
	v_ashrrev_i32_e32 v39, v82, v23
	v_lshlrev_b32_e32 v24, 4, v39
	v_lshlrev_b32_e32 v25, 11, v39
	v_and_b32_e32 v23, 0xf0f0f0f, v27
	v_and_b32_e32 v24, 16, v24
	;; [unrolled: 1-line block ×3, first 2 shown]
	v_or3_b32 v23, v24, v23, v25
	v_lshlrev_b32_e32 v24, 18, v39
	v_lshlrev_b32_e32 v25, 25, v39
	v_and_b32_e32 v24, 0x100000, v24
	v_and_b32_e32 v25, 0x10000000, v25
	v_or3_b32 v40, v23, v24, v25
	v_lshrrev_b32_e32 v23, 4, v27
	v_lshrrev_b32_e32 v24, 12, v39
	v_lshrrev_b32_e32 v25, 5, v39
	v_and_b32_e32 v23, 0xf0f0f0f, v23
	v_and_b32_e32 v24, 16, v24
	;; [unrolled: 1-line block ×3, first 2 shown]
	v_or3_b32 v41, v24, v23, v25
	v_lshlrev_b32_e32 v23, 2, v39
	v_and_b32_e32 v42, 0x100000, v23
	v_mad_i64_i32 v[23:24], s[16:17], v97, 24, v[21:22]
	v_mad_i64_i32 v[25:26], s[16:17], v98, 24, v[21:22]
	v_add_co_u32_e32 v27, vcc, v23, v82
	v_mad_i64_i32 v[31:32], s[16:17], v99, 24, v[21:22]
	v_addc_co_u32_e32 v28, vcc, 0, v24, vcc
	v_add_co_u32_e32 v29, vcc, v25, v82
	v_mad_i64_i32 v[21:22], s[16:17], v101, 24, v[21:22]
	v_addc_co_u32_e32 v30, vcc, 0, v26, vcc
	v_add_co_u32_e32 v33, vcc, v31, v82
	v_addc_co_u32_e32 v34, vcc, 0, v32, vcc
	v_add_co_u32_e32 v35, vcc, v21, v82
	v_addc_co_u32_e32 v36, vcc, 0, v22, vcc
	global_load_dword v27, v[27:28], off offset:8
	s_nop 0
	global_load_dword v29, v[29:30], off offset:8
	s_nop 0
	;; [unrolled: 2-line block ×3, first 2 shown]
	global_load_dword v33, v[35:36], off offset:8
	global_load_dword v34, v[21:22], off offset:4
	s_nop 0
	global_load_dword v31, v[31:32], off offset:4
	s_nop 0
	global_load_dword v32, v[25:26], off offset:4
	global_load_dword v21, v[23:24], off offset:4
	v_lshlrev_b32_e32 v22, 9, v39
	v_and_b32_e32 v22, 0x10000000, v22
	v_or3_b32 v22, v41, v42, v22
	ds_write2_b32 v10, v40, v22 offset1:1
	v_ashrrev_i32_e32 v22, v82, v46
	v_lshlrev_b32_e32 v24, 4, v22
	v_lshlrev_b32_e32 v25, 11, v22
	v_and_b32_e32 v23, 0xf0f0f0f, v43
	v_and_b32_e32 v24, 16, v24
	v_and_b32_e32 v25, 0x1000, v25
	v_or3_b32 v23, v24, v23, v25
	v_lshlrev_b32_e32 v24, 18, v22
	v_lshlrev_b32_e32 v25, 25, v22
	v_and_b32_e32 v24, 0x100000, v24
	v_and_b32_e32 v25, 0x10000000, v25
	v_or3_b32 v23, v23, v24, v25
	v_lshrrev_b32_e32 v24, 4, v43
	v_lshrrev_b32_e32 v25, 12, v22
	v_lshrrev_b32_e32 v26, 5, v22
	v_and_b32_e32 v24, 0xf0f0f0f, v24
	v_and_b32_e32 v25, 16, v25
	v_and_b32_e32 v26, 0x1000, v26
	v_or3_b32 v24, v25, v24, v26
	v_lshlrev_b32_e32 v25, 2, v22
	v_lshlrev_b32_e32 v22, 9, v22
	v_and_b32_e32 v25, 0x100000, v25
	v_and_b32_e32 v22, 0x10000000, v22
	v_or3_b32 v22, v24, v25, v22
	ds_write2_b32 v11, v23, v22 offset1:1
	v_ashrrev_i32_e32 v22, v82, v45
	v_lshlrev_b32_e32 v24, 4, v22
	v_lshlrev_b32_e32 v25, 11, v22
	v_and_b32_e32 v23, 0xf0f0f0f, v44
	v_and_b32_e32 v24, 16, v24
	v_and_b32_e32 v25, 0x1000, v25
	v_or3_b32 v23, v24, v23, v25
	v_lshlrev_b32_e32 v24, 18, v22
	v_lshlrev_b32_e32 v25, 25, v22
	v_and_b32_e32 v24, 0x100000, v24
	v_and_b32_e32 v25, 0x10000000, v25
	v_or3_b32 v23, v23, v24, v25
	v_lshrrev_b32_e32 v24, 4, v44
	v_lshrrev_b32_e32 v25, 12, v22
	v_lshrrev_b32_e32 v26, 5, v22
	v_and_b32_e32 v24, 0xf0f0f0f, v24
	v_and_b32_e32 v25, 16, v25
	v_and_b32_e32 v26, 0x1000, v26
	v_or3_b32 v24, v25, v24, v26
	v_lshlrev_b32_e32 v25, 2, v22
	v_lshlrev_b32_e32 v22, 9, v22
	v_and_b32_e32 v25, 0x100000, v25
	;; [unrolled: 25-line block ×3, first 2 shown]
	v_and_b32_e32 v22, 0x10000000, v22
	v_or3_b32 v22, v24, v25, v22
	ds_write2_b32 v13, v23, v22 offset1:1
	s_waitcnt vmcnt(0)
	v_ashrrev_i32_e32 v21, v82, v21
	v_lshlrev_b32_e32 v23, 4, v21
	v_lshlrev_b32_e32 v24, 11, v21
	v_and_b32_e32 v22, 0xf0f0f0f, v27
	v_and_b32_e32 v23, 16, v23
	v_and_b32_e32 v24, 0x1000, v24
	v_or3_b32 v22, v23, v22, v24
	v_lshlrev_b32_e32 v23, 18, v21
	v_lshlrev_b32_e32 v24, 25, v21
	v_and_b32_e32 v23, 0x100000, v23
	v_and_b32_e32 v24, 0x10000000, v24
	v_or3_b32 v35, v22, v23, v24
	v_lshrrev_b32_e32 v22, 4, v27
	v_lshrrev_b32_e32 v23, 12, v21
	;; [unrolled: 1-line block ×3, first 2 shown]
	v_and_b32_e32 v22, 0xf0f0f0f, v22
	v_and_b32_e32 v23, 16, v23
	;; [unrolled: 1-line block ×3, first 2 shown]
	v_or3_b32 v23, v23, v22, v24
	v_lshlrev_b32_e32 v22, 2, v21
	v_and_b32_e32 v24, 0x100000, v22
	v_lshlrev_b32_e32 v25, 9, v21
	v_mad_u64_u32 v[21:22], s[0:1], v102, 24, s[0:1]
	v_and_b32_e32 v25, 0x10000000, v25
	v_or3_b32 v36, v23, v24, v25
	v_mad_i64_i32 v[23:24], s[0:1], v104, 24, v[21:22]
	v_mad_i64_i32 v[25:26], s[0:1], v105, 24, v[21:22]
	;; [unrolled: 1-line block ×4, first 2 shown]
	global_load_dword v23, v[23:24], off
	s_nop 0
	global_load_dword v24, v[25:26], off
	s_nop 0
	global_load_dword v25, v[27:28], off
	v_and_b32_e32 v26, 0xf0f0f0f, v29
	global_load_dword v21, v[21:22], off
	v_ashrrev_i32_e32 v22, v82, v32
	v_lshlrev_b32_e32 v27, 4, v22
	v_lshlrev_b32_e32 v28, 11, v22
	v_and_b32_e32 v27, 16, v27
	v_and_b32_e32 v28, 0x1000, v28
	v_or3_b32 v26, v27, v26, v28
	v_lshlrev_b32_e32 v27, 18, v22
	v_lshlrev_b32_e32 v28, 25, v22
	v_and_b32_e32 v27, 0x100000, v27
	v_and_b32_e32 v28, 0x10000000, v28
	v_or3_b32 v26, v26, v27, v28
	v_lshrrev_b32_e32 v27, 4, v29
	v_lshrrev_b32_e32 v28, 12, v22
	v_lshrrev_b32_e32 v29, 5, v22
	v_and_b32_e32 v27, 0xf0f0f0f, v27
	v_and_b32_e32 v28, 16, v28
	;; [unrolled: 1-line block ×3, first 2 shown]
	v_or3_b32 v27, v28, v27, v29
	v_lshlrev_b32_e32 v28, 2, v22
	v_lshlrev_b32_e32 v22, 9, v22
	v_and_b32_e32 v28, 0x100000, v28
	v_and_b32_e32 v22, 0x10000000, v22
	v_or3_b32 v22, v27, v28, v22
	ds_write2_b32 v14, v35, v36 offset1:1
	ds_write2_b32 v15, v26, v22 offset1:1
	v_ashrrev_i32_e32 v22, v82, v31
	v_lshlrev_b32_e32 v27, 4, v22
	v_lshlrev_b32_e32 v28, 11, v22
	v_and_b32_e32 v26, 0xf0f0f0f, v30
	v_and_b32_e32 v27, 16, v27
	;; [unrolled: 1-line block ×3, first 2 shown]
	v_or3_b32 v26, v27, v26, v28
	v_lshlrev_b32_e32 v27, 18, v22
	v_lshlrev_b32_e32 v28, 25, v22
	v_and_b32_e32 v27, 0x100000, v27
	v_and_b32_e32 v28, 0x10000000, v28
	v_or3_b32 v26, v26, v27, v28
	v_lshrrev_b32_e32 v27, 4, v30
	v_lshrrev_b32_e32 v28, 12, v22
	;; [unrolled: 1-line block ×3, first 2 shown]
	v_and_b32_e32 v27, 0xf0f0f0f, v27
	v_and_b32_e32 v28, 16, v28
	;; [unrolled: 1-line block ×3, first 2 shown]
	v_or3_b32 v27, v28, v27, v29
	v_lshlrev_b32_e32 v28, 2, v22
	v_lshlrev_b32_e32 v22, 9, v22
	v_and_b32_e32 v28, 0x100000, v28
	v_and_b32_e32 v22, 0x10000000, v22
	v_or3_b32 v22, v27, v28, v22
	ds_write2_b32 v16, v26, v22 offset1:1
	v_ashrrev_i32_e32 v22, v82, v34
	v_lshlrev_b32_e32 v27, 4, v22
	v_lshlrev_b32_e32 v28, 11, v22
	v_and_b32_e32 v26, 0xf0f0f0f, v33
	v_and_b32_e32 v27, 16, v27
	;; [unrolled: 1-line block ×3, first 2 shown]
	v_or3_b32 v26, v27, v26, v28
	v_lshlrev_b32_e32 v27, 18, v22
	v_lshlrev_b32_e32 v28, 25, v22
	v_and_b32_e32 v27, 0x100000, v27
	v_and_b32_e32 v28, 0x10000000, v28
	v_or3_b32 v26, v26, v27, v28
	v_lshrrev_b32_e32 v27, 4, v33
	v_lshrrev_b32_e32 v28, 12, v22
	;; [unrolled: 1-line block ×3, first 2 shown]
	v_and_b32_e32 v27, 0xf0f0f0f, v27
	v_and_b32_e32 v28, 16, v28
	;; [unrolled: 1-line block ×3, first 2 shown]
	v_or3_b32 v27, v28, v27, v29
	v_lshlrev_b32_e32 v28, 2, v22
	v_lshlrev_b32_e32 v22, 9, v22
	v_and_b32_e32 v28, 0x100000, v28
	v_and_b32_e32 v22, 0x10000000, v22
	v_or3_b32 v22, v27, v28, v22
	ds_write2_b32 v17, v26, v22 offset1:1
	s_waitcnt vmcnt(3)
	ds_write_b32 v132, v23
	s_waitcnt vmcnt(2)
	ds_write_b32 v133, v24
	;; [unrolled: 2-line block ×4, first 2 shown]
	s_cbranch_scc0 .LBB164_5
; %bb.7:                                ;   in Loop: Header=BB164_6 Depth=1
	v_add_u32_e32 v144, s9, v18
	v_add_u32_e32 v37, s9, v103
	;; [unrolled: 1-line block ×3, first 2 shown]
	v_mad_u64_u32 v[35:36], s[0:1], v144, 36, s[2:3]
	v_mad_i64_i32 v[21:22], s[0:1], v21, 36, v[19:20]
	v_add_u32_e32 v23, v37, v112
	v_mad_i64_i32 v[23:24], s[0:1], v23, 36, v[19:20]
	v_add_u32_e32 v25, v37, v113
	v_add_u32_e32 v27, v37, v114
	v_mad_i64_i32 v[25:26], s[0:1], v25, 36, v[19:20]
	v_mad_i64_i32 v[27:28], s[0:1], v27, 36, v[19:20]
	v_add_u32_e32 v29, v37, v115
	v_add_u32_e32 v31, v37, v116
	;; [unrolled: 1-line block ×4, first 2 shown]
	v_mad_i64_i32 v[29:30], s[0:1], v29, 36, v[19:20]
	v_mad_i64_i32 v[31:32], s[0:1], v31, 36, v[19:20]
	v_mad_i64_i32 v[33:34], s[0:1], v33, 36, v[19:20]
	v_mad_i64_i32 v[37:38], s[0:1], v37, 36, v[19:20]
	global_load_dword v35, v[35:36], off
	s_nop 0
	global_load_dword v21, v[21:22], off offset:4
	s_nop 0
	global_load_dword v22, v[23:24], off offset:4
	;; [unrolled: 2-line block ×3, first 2 shown]
	global_load_dword v24, v[27:28], off offset:4
	s_nop 0
	global_load_dword v25, v[29:30], off offset:4
	global_load_dword v26, v[31:32], off offset:4
                                        ; kill: killed $vgpr29_vgpr30
                                        ; kill: killed $vgpr31_vgpr32
	global_load_dword v27, v[33:34], off offset:4
	global_load_dword v28, v[37:38], off offset:4
	s_mov_b32 s0, -4
	v_mov_b32_e32 v145, v126
	v_mov_b32_e32 v146, v119
	;; [unrolled: 1-line block ×7, first 2 shown]
	s_waitcnt vmcnt(8)
	ds_write_b32 v110, v35
	s_waitcnt vmcnt(7)
	ds_write_b32 v136, v21
	;; [unrolled: 2-line block ×9, first 2 shown]
	s_waitcnt lgkmcnt(0)
	s_barrier
.LBB164_8:                              ;   Parent Loop BB164_6 Depth=1
                                        ; =>  This Inner Loop Header: Depth=2
	ds_read_b128 v[156:159], v145
	ds_read_b128 v[160:163], v145 offset:16
	ds_read2_b32 v[164:165], v147 offset1:32
	ds_read_b32 v152, v148
	ds_read2_b32 v[21:22], v146 offset1:1
	s_add_i32 s0, s0, 4
	v_add_u32_e32 v148, 4, v148
	s_cmp_lt_u32 s0, 12
	s_waitcnt lgkmcnt(1)
	v_pk_mul_f16 v30, v164, v152
	s_waitcnt lgkmcnt(0)
	v_dot4_i32_i8 v23, v21, v156, 0
	v_dot4_i32_i8 v25, v22, v160, v23
	ds_read2_b32 v[23:24], v146 offset0:2 offset1:3
	v_pk_mul_f16 v166, v152, v165
	s_waitcnt lgkmcnt(0)
	v_dot4_i32_i8 v25, v23, v157, v25
	v_dot4_i32_i8 v27, v24, v161, v25
	ds_read2_b32 v[25:26], v146 offset0:4 offset1:5
	s_waitcnt lgkmcnt(0)
	v_dot4_i32_i8 v27, v25, v158, v27
	v_dot4_i32_i8 v29, v26, v162, v27
	ds_read2_b32 v[27:28], v146 offset0:6 offset1:7
	s_waitcnt lgkmcnt(0)
	v_dot4_i32_i8 v29, v27, v159, v29
	v_dot4_i32_i8 v29, v28, v163, v29
	v_cvt_f32_i32_e32 v29, v29
	v_fma_mix_f32 v29, v30, v29, v30 op_sel:[0,0,1] op_sel_hi:[1,0,1]
	v_add_f32_e32 v76, v76, v29
	v_add_u32_e32 v29, 0x2080, v146
	ds_read_b32 v153, v149
	ds_read2_b32 v[29:30], v29 offset1:1
	v_add_u32_e32 v149, 4, v149
	s_waitcnt lgkmcnt(1)
	v_pk_mul_f16 v38, v164, v153
	s_waitcnt lgkmcnt(0)
	v_dot4_i32_i8 v31, v29, v156, 0
	v_dot4_i32_i8 v33, v30, v160, v31
	v_add_u32_e32 v31, 0x2088, v146
	ds_read2_b32 v[31:32], v31 offset1:1
	s_waitcnt lgkmcnt(0)
	v_dot4_i32_i8 v33, v31, v157, v33
	v_dot4_i32_i8 v35, v32, v161, v33
	v_add_u32_e32 v33, 0x2090, v146
	ds_read2_b32 v[33:34], v33 offset1:1
	;; [unrolled: 5-line block ×3, first 2 shown]
	s_waitcnt lgkmcnt(0)
	v_dot4_i32_i8 v37, v35, v159, v37
	v_dot4_i32_i8 v37, v36, v163, v37
	v_cvt_f32_i32_e32 v37, v37
	v_fma_mix_f32 v37, v38, v37, v38 op_sel:[0,0,1] op_sel_hi:[1,0,1]
	v_add_f32_e32 v109, v109, v37
	v_add_u32_e32 v37, 0x4100, v146
	ds_read_b32 v154, v150
	ds_read2_b32 v[37:38], v37 offset1:1
	v_add_u32_e32 v150, 4, v150
	s_waitcnt lgkmcnt(1)
	v_pk_mul_f16 v46, v164, v154
	s_waitcnt lgkmcnt(0)
	v_dot4_i32_i8 v39, v37, v156, 0
	v_dot4_i32_i8 v41, v38, v160, v39
	v_add_u32_e32 v39, 0x4108, v146
	ds_read2_b32 v[39:40], v39 offset1:1
	s_waitcnt lgkmcnt(0)
	v_dot4_i32_i8 v41, v39, v157, v41
	v_dot4_i32_i8 v43, v40, v161, v41
	v_add_u32_e32 v41, 0x4110, v146
	ds_read2_b32 v[41:42], v41 offset1:1
	;; [unrolled: 5-line block ×3, first 2 shown]
	s_waitcnt lgkmcnt(0)
	v_dot4_i32_i8 v45, v43, v159, v45
	v_dot4_i32_i8 v45, v44, v163, v45
	v_cvt_f32_i32_e32 v45, v45
	v_fma_mix_f32 v45, v46, v45, v46 op_sel:[0,0,1] op_sel_hi:[1,0,1]
	v_add_f32_e32 v106, v106, v45
	v_add_u32_e32 v45, 0x6180, v146
	ds_read_b32 v155, v151
	ds_read2_b32 v[45:46], v45 offset1:1
	v_add_u32_e32 v151, 4, v151
	s_waitcnt lgkmcnt(0)
	v_dot4_i32_i8 v47, v45, v156, 0
	v_dot4_i32_i8 v49, v46, v160, v47
	v_add_u32_e32 v47, 0x6188, v146
	ds_read2_b32 v[47:48], v47 offset1:1
	s_waitcnt lgkmcnt(0)
	v_dot4_i32_i8 v49, v47, v157, v49
	v_dot4_i32_i8 v51, v48, v161, v49
	v_add_u32_e32 v49, 0x6190, v146
	ds_read2_b32 v[49:50], v49 offset1:1
	v_pk_mul_f16 v157, v164, v155
	s_waitcnt lgkmcnt(0)
	v_dot4_i32_i8 v51, v49, v158, v51
	v_dot4_i32_i8 v156, v50, v162, v51
	v_add_u32_e32 v51, 0x6198, v146
	ds_read2_b32 v[51:52], v51 offset1:1
	v_add_u32_e32 v146, 32, v146
	s_waitcnt lgkmcnt(0)
	v_dot4_i32_i8 v156, v51, v159, v156
	v_dot4_i32_i8 v156, v52, v163, v156
	v_cvt_f32_i32_e32 v156, v156
	v_fma_mix_f32 v156, v157, v156, v157 op_sel:[0,0,1] op_sel_hi:[1,0,1]
	v_add_f32_e32 v100, v100, v156
	ds_read_b128 v[156:159], v145 offset:1024
	ds_read_b128 v[160:163], v145 offset:1040
	s_waitcnt lgkmcnt(1)
	v_dot4_i32_i8 v164, v21, v156, 0
	s_waitcnt lgkmcnt(0)
	v_dot4_i32_i8 v164, v22, v160, v164
	v_dot4_i32_i8 v164, v23, v157, v164
	;; [unrolled: 1-line block ×7, first 2 shown]
	v_cvt_f32_i32_e32 v164, v164
	v_fma_mix_f32 v164, v164, v166, v166 op_sel:[0,0,1] op_sel_hi:[0,1,1]
	v_add_f32_e32 v92, v92, v164
	v_dot4_i32_i8 v164, v29, v156, 0
	v_dot4_i32_i8 v164, v30, v160, v164
	;; [unrolled: 1-line block ×8, first 2 shown]
	v_cvt_f32_i32_e32 v164, v164
	v_pk_mul_f16 v166, v153, v165
	v_fma_mix_f32 v164, v164, v166, v166 op_sel:[0,0,1] op_sel_hi:[0,1,1]
	v_add_f32_e32 v86, v86, v164
	v_dot4_i32_i8 v164, v37, v156, 0
	v_dot4_i32_i8 v156, v45, v156, 0
	;; [unrolled: 1-line block ×16, first 2 shown]
	v_cvt_f32_i32_e32 v164, v164
	v_cvt_f32_i32_e32 v156, v156
	v_pk_mul_f16 v166, v154, v165
	v_pk_mul_f16 v157, v155, v165
	v_fma_mix_f32 v164, v164, v166, v166 op_sel:[0,0,1] op_sel_hi:[0,1,1]
	v_fma_mix_f32 v156, v156, v157, v157 op_sel:[0,0,1] op_sel_hi:[0,1,1]
	v_add_f32_e32 v80, v80, v164
	v_add_f32_e32 v79, v79, v156
	ds_read_b128 v[156:159], v145 offset:2048
	ds_read_b128 v[160:163], v145 offset:2064
	ds_read2_b32 v[164:165], v147 offset0:64 offset1:96
	s_waitcnt lgkmcnt(2)
	v_dot4_i32_i8 v166, v21, v156, 0
	s_waitcnt lgkmcnt(1)
	v_dot4_i32_i8 v166, v22, v160, v166
	v_dot4_i32_i8 v166, v23, v157, v166
	;; [unrolled: 1-line block ×7, first 2 shown]
	v_cvt_f32_i32_e32 v166, v166
	s_waitcnt lgkmcnt(0)
	v_pk_mul_f16 v167, v152, v164
	v_fma_mix_f32 v166, v166, v167, v167 op_sel:[0,0,1] op_sel_hi:[0,1,1]
	v_add_f32_e32 v78, v78, v166
	v_dot4_i32_i8 v166, v29, v156, 0
	v_dot4_i32_i8 v166, v30, v160, v166
	;; [unrolled: 1-line block ×8, first 2 shown]
	v_cvt_f32_i32_e32 v166, v166
	v_pk_mul_f16 v167, v153, v164
	v_fma_mix_f32 v166, v166, v167, v167 op_sel:[0,0,1] op_sel_hi:[0,1,1]
	v_add_f32_e32 v77, v77, v166
	v_dot4_i32_i8 v166, v37, v156, 0
	v_dot4_i32_i8 v156, v45, v156, 0
	v_dot4_i32_i8 v156, v46, v160, v156
	v_dot4_i32_i8 v156, v47, v157, v156
	v_dot4_i32_i8 v156, v48, v161, v156
	v_dot4_i32_i8 v156, v49, v158, v156
	v_dot4_i32_i8 v156, v50, v162, v156
	v_dot4_i32_i8 v156, v51, v159, v156
	v_dot4_i32_i8 v166, v38, v160, v166
	v_dot4_i32_i8 v156, v52, v163, v156
	v_dot4_i32_i8 v166, v39, v157, v166
	v_cvt_f32_i32_e32 v156, v156
	v_dot4_i32_i8 v166, v40, v161, v166
	v_dot4_i32_i8 v166, v41, v158, v166
	;; [unrolled: 1-line block ×3, first 2 shown]
	v_pk_mul_f16 v157, v155, v164
	v_dot4_i32_i8 v166, v43, v159, v166
	v_fma_mix_f32 v156, v156, v157, v157 op_sel:[0,0,1] op_sel_hi:[0,1,1]
	v_dot4_i32_i8 v166, v44, v163, v166
	v_add_f32_e32 v73, v73, v156
	ds_read_b128 v[156:159], v145 offset:3072
	ds_read_b128 v[160:163], v145 offset:3088
	v_pk_mul_f16 v167, v154, v164
	v_cvt_f32_i32_e32 v166, v166
	s_waitcnt lgkmcnt(1)
	v_dot4_i32_i8 v164, v21, v156, 0
	s_waitcnt lgkmcnt(0)
	v_dot4_i32_i8 v164, v22, v160, v164
	v_dot4_i32_i8 v164, v23, v157, v164
	v_dot4_i32_i8 v164, v24, v161, v164
	v_dot4_i32_i8 v164, v25, v158, v164
	v_dot4_i32_i8 v164, v26, v162, v164
	v_dot4_i32_i8 v164, v27, v159, v164
	v_dot4_i32_i8 v164, v28, v163, v164
	v_cvt_f32_i32_e32 v164, v164
	v_fma_mix_f32 v166, v166, v167, v167 op_sel:[0,0,1] op_sel_hi:[0,1,1]
	v_add_f32_e32 v74, v74, v166
	v_pk_mul_f16 v166, v152, v165
	v_fma_mix_f32 v164, v164, v166, v166 op_sel:[0,0,1] op_sel_hi:[0,1,1]
	v_add_f32_e32 v72, v72, v164
	v_dot4_i32_i8 v164, v29, v156, 0
	v_dot4_i32_i8 v164, v30, v160, v164
	;; [unrolled: 1-line block ×8, first 2 shown]
	v_cvt_f32_i32_e32 v164, v164
	v_pk_mul_f16 v166, v153, v165
	v_fma_mix_f32 v164, v164, v166, v166 op_sel:[0,0,1] op_sel_hi:[0,1,1]
	v_add_f32_e32 v71, v71, v164
	v_dot4_i32_i8 v164, v37, v156, 0
	v_dot4_i32_i8 v156, v45, v156, 0
	;; [unrolled: 1-line block ×16, first 2 shown]
	v_cvt_f32_i32_e32 v164, v164
	v_cvt_f32_i32_e32 v156, v156
	v_pk_mul_f16 v166, v154, v165
	v_pk_mul_f16 v157, v155, v165
	v_fma_mix_f32 v164, v164, v166, v166 op_sel:[0,0,1] op_sel_hi:[0,1,1]
	v_fma_mix_f32 v156, v156, v157, v157 op_sel:[0,0,1] op_sel_hi:[0,1,1]
	v_add_f32_e32 v70, v70, v164
	v_add_f32_e32 v69, v69, v156
	ds_read_b128 v[156:159], v145 offset:4096
	ds_read_b128 v[160:163], v145 offset:4112
	ds_read2_b32 v[164:165], v147 offset0:128 offset1:160
	s_waitcnt lgkmcnt(2)
	v_dot4_i32_i8 v166, v21, v156, 0
	s_waitcnt lgkmcnt(1)
	v_dot4_i32_i8 v166, v22, v160, v166
	v_dot4_i32_i8 v166, v23, v157, v166
	;; [unrolled: 1-line block ×7, first 2 shown]
	v_cvt_f32_i32_e32 v166, v166
	s_waitcnt lgkmcnt(0)
	v_pk_mul_f16 v167, v152, v164
	v_fma_mix_f32 v166, v166, v167, v167 op_sel:[0,0,1] op_sel_hi:[0,1,1]
	v_add_f32_e32 v68, v68, v166
	v_dot4_i32_i8 v166, v29, v156, 0
	v_dot4_i32_i8 v166, v30, v160, v166
	;; [unrolled: 1-line block ×8, first 2 shown]
	v_cvt_f32_i32_e32 v166, v166
	v_pk_mul_f16 v167, v153, v164
	v_fma_mix_f32 v166, v166, v167, v167 op_sel:[0,0,1] op_sel_hi:[0,1,1]
	v_add_f32_e32 v67, v67, v166
	v_dot4_i32_i8 v166, v37, v156, 0
	v_dot4_i32_i8 v156, v45, v156, 0
	;; [unrolled: 1-line block ×11, first 2 shown]
	v_cvt_f32_i32_e32 v156, v156
	v_dot4_i32_i8 v166, v40, v161, v166
	v_dot4_i32_i8 v166, v41, v158, v166
	;; [unrolled: 1-line block ×3, first 2 shown]
	v_pk_mul_f16 v157, v155, v164
	v_dot4_i32_i8 v166, v43, v159, v166
	v_fma_mix_f32 v156, v156, v157, v157 op_sel:[0,0,1] op_sel_hi:[0,1,1]
	v_dot4_i32_i8 v166, v44, v163, v166
	v_add_f32_e32 v65, v65, v156
	ds_read_b128 v[156:159], v145 offset:5120
	ds_read_b128 v[160:163], v145 offset:5136
	v_pk_mul_f16 v167, v154, v164
	v_cvt_f32_i32_e32 v166, v166
	s_waitcnt lgkmcnt(1)
	v_dot4_i32_i8 v164, v21, v156, 0
	s_waitcnt lgkmcnt(0)
	v_dot4_i32_i8 v164, v22, v160, v164
	v_dot4_i32_i8 v164, v23, v157, v164
	;; [unrolled: 1-line block ×7, first 2 shown]
	v_cvt_f32_i32_e32 v164, v164
	v_fma_mix_f32 v166, v166, v167, v167 op_sel:[0,0,1] op_sel_hi:[0,1,1]
	v_add_f32_e32 v66, v66, v166
	v_pk_mul_f16 v166, v152, v165
	v_fma_mix_f32 v164, v164, v166, v166 op_sel:[0,0,1] op_sel_hi:[0,1,1]
	v_add_f32_e32 v64, v64, v164
	v_dot4_i32_i8 v164, v29, v156, 0
	v_dot4_i32_i8 v164, v30, v160, v164
	;; [unrolled: 1-line block ×8, first 2 shown]
	v_cvt_f32_i32_e32 v164, v164
	v_pk_mul_f16 v166, v153, v165
	v_fma_mix_f32 v164, v164, v166, v166 op_sel:[0,0,1] op_sel_hi:[0,1,1]
	v_add_f32_e32 v63, v63, v164
	v_dot4_i32_i8 v164, v37, v156, 0
	v_dot4_i32_i8 v156, v45, v156, 0
	;; [unrolled: 1-line block ×16, first 2 shown]
	v_cvt_f32_i32_e32 v164, v164
	v_cvt_f32_i32_e32 v156, v156
	v_pk_mul_f16 v166, v154, v165
	v_pk_mul_f16 v157, v155, v165
	v_fma_mix_f32 v164, v164, v166, v166 op_sel:[0,0,1] op_sel_hi:[0,1,1]
	v_fma_mix_f32 v156, v156, v157, v157 op_sel:[0,0,1] op_sel_hi:[0,1,1]
	v_add_f32_e32 v62, v62, v164
	v_add_f32_e32 v61, v61, v156
	ds_read_b128 v[156:159], v145 offset:6144
	ds_read_b128 v[160:163], v145 offset:6160
	ds_read2_b32 v[164:165], v147 offset0:192 offset1:224
	v_add_u32_e32 v147, 4, v147
	s_waitcnt lgkmcnt(2)
	v_dot4_i32_i8 v166, v21, v156, 0
	s_waitcnt lgkmcnt(1)
	v_dot4_i32_i8 v166, v22, v160, v166
	v_dot4_i32_i8 v166, v23, v157, v166
	;; [unrolled: 1-line block ×7, first 2 shown]
	v_cvt_f32_i32_e32 v166, v166
	s_waitcnt lgkmcnt(0)
	v_pk_mul_f16 v167, v152, v164
	v_fma_mix_f32 v166, v166, v167, v167 op_sel:[0,0,1] op_sel_hi:[0,1,1]
	v_add_f32_e32 v60, v60, v166
	v_dot4_i32_i8 v166, v29, v156, 0
	v_dot4_i32_i8 v166, v30, v160, v166
	;; [unrolled: 1-line block ×8, first 2 shown]
	v_cvt_f32_i32_e32 v166, v166
	v_pk_mul_f16 v167, v153, v164
	v_fma_mix_f32 v166, v166, v167, v167 op_sel:[0,0,1] op_sel_hi:[0,1,1]
	v_add_f32_e32 v59, v59, v166
	v_dot4_i32_i8 v166, v37, v156, 0
	v_dot4_i32_i8 v156, v45, v156, 0
	;; [unrolled: 1-line block ×11, first 2 shown]
	v_cvt_f32_i32_e32 v156, v156
	v_dot4_i32_i8 v166, v40, v161, v166
	v_dot4_i32_i8 v166, v41, v158, v166
	v_dot4_i32_i8 v166, v42, v162, v166
	v_pk_mul_f16 v157, v155, v164
	v_dot4_i32_i8 v166, v43, v159, v166
	v_fma_mix_f32 v156, v156, v157, v157 op_sel:[0,0,1] op_sel_hi:[0,1,1]
	v_dot4_i32_i8 v166, v44, v163, v166
	v_add_f32_e32 v57, v57, v156
	ds_read_b128 v[156:159], v145 offset:7168
	ds_read_b128 v[160:163], v145 offset:7184
	v_cvt_f32_i32_e32 v166, v166
	v_pk_mul_f16 v167, v154, v164
	v_add_u32_e32 v145, 32, v145
	s_waitcnt lgkmcnt(1)
	v_dot4_i32_i8 v21, v21, v156, 0
	s_waitcnt lgkmcnt(0)
	v_dot4_i32_i8 v21, v22, v160, v21
	v_dot4_i32_i8 v21, v23, v157, v21
	;; [unrolled: 1-line block ×7, first 2 shown]
	v_cvt_f32_i32_e32 v21, v21
	v_pk_mul_f16 v22, v152, v165
	v_fma_mix_f32 v166, v166, v167, v167 op_sel:[0,0,1] op_sel_hi:[0,1,1]
	v_add_f32_e32 v58, v58, v166
	v_fma_mix_f32 v21, v21, v22, v22 op_sel:[0,0,1] op_sel_hi:[0,1,1]
	v_add_f32_e32 v56, v56, v21
	v_dot4_i32_i8 v21, v29, v156, 0
	v_dot4_i32_i8 v21, v30, v160, v21
	v_dot4_i32_i8 v21, v31, v157, v21
	v_dot4_i32_i8 v21, v32, v161, v21
	v_dot4_i32_i8 v21, v33, v158, v21
	v_dot4_i32_i8 v21, v34, v162, v21
	v_dot4_i32_i8 v21, v35, v159, v21
	v_dot4_i32_i8 v21, v36, v163, v21
	v_cvt_f32_i32_e32 v21, v21
	v_pk_mul_f16 v22, v153, v165
	v_fma_mix_f32 v21, v21, v22, v22 op_sel:[0,0,1] op_sel_hi:[0,1,1]
	v_add_f32_e32 v55, v55, v21
	v_dot4_i32_i8 v21, v37, v156, 0
	v_dot4_i32_i8 v21, v38, v160, v21
	v_dot4_i32_i8 v21, v39, v157, v21
	v_dot4_i32_i8 v21, v40, v161, v21
	v_dot4_i32_i8 v21, v41, v158, v21
	v_dot4_i32_i8 v21, v42, v162, v21
	v_dot4_i32_i8 v21, v43, v159, v21
	v_dot4_i32_i8 v21, v44, v163, v21
	v_cvt_f32_i32_e32 v21, v21
	v_pk_mul_f16 v22, v154, v165
	;; [unrolled: 12-line block ×3, first 2 shown]
	v_fma_mix_f32 v21, v21, v22, v22 op_sel:[0,0,1] op_sel_hi:[0,1,1]
	v_add_f32_e32 v53, v53, v21
	s_cbranch_scc1 .LBB164_8
; %bb.9:                                ;   in Loop: Header=BB164_6 Depth=1
	s_and_b32 s0, s8, -4
	s_cmp_eq_u32 s0, 4
	s_barrier
	s_cbranch_scc1 .LBB164_5
; %bb.10:                               ;   in Loop: Header=BB164_6 Depth=1
	v_add_u32_e32 v37, s9, v120
	v_add_u32_e32 v35, 4, v144
	v_add_u32_e32 v21, v37, v111
	v_mad_u64_u32 v[35:36], s[0:1], v35, 36, s[2:3]
	v_mad_i64_i32 v[21:22], s[0:1], v21, 36, v[19:20]
	v_add_u32_e32 v23, v37, v112
	v_mad_i64_i32 v[23:24], s[0:1], v23, 36, v[19:20]
	v_add_u32_e32 v25, v37, v113
	v_add_u32_e32 v27, v37, v114
	v_mad_i64_i32 v[25:26], s[0:1], v25, 36, v[19:20]
	v_mad_i64_i32 v[27:28], s[0:1], v27, 36, v[19:20]
	v_add_u32_e32 v29, v37, v115
	v_add_u32_e32 v31, v37, v116
	;; [unrolled: 1-line block ×4, first 2 shown]
	v_mad_i64_i32 v[29:30], s[0:1], v29, 36, v[19:20]
	v_mad_i64_i32 v[31:32], s[0:1], v31, 36, v[19:20]
	;; [unrolled: 1-line block ×4, first 2 shown]
	global_load_dword v35, v[35:36], off
	s_nop 0
	global_load_dword v21, v[21:22], off offset:4
	s_nop 0
	global_load_dword v22, v[23:24], off offset:4
	;; [unrolled: 2-line block ×3, first 2 shown]
	global_load_dword v24, v[27:28], off offset:4
	s_nop 0
	global_load_dword v25, v[29:30], off offset:4
                                        ; kill: killed $vgpr27_vgpr28
                                        ; kill: killed $vgpr29_vgpr30
	global_load_dword v26, v[31:32], off offset:4
	global_load_dword v27, v[33:34], off offset:4
	;; [unrolled: 1-line block ×3, first 2 shown]
	s_mov_b32 s0, 12
	v_mov_b32_e32 v144, v125
	v_mov_b32_e32 v145, v126
	v_mov_b32_e32 v146, v131
	v_mov_b32_e32 v147, v130
	v_mov_b32_e32 v148, v129
	v_mov_b32_e32 v149, v128
	v_mov_b32_e32 v150, v127
	s_waitcnt vmcnt(8)
	ds_write_b32 v110, v35
	s_waitcnt vmcnt(7)
	ds_write_b32 v136, v21
	;; [unrolled: 2-line block ×9, first 2 shown]
	s_waitcnt lgkmcnt(0)
	s_barrier
.LBB164_11:                             ;   Parent Loop BB164_6 Depth=1
                                        ; =>  This Inner Loop Header: Depth=2
	ds_read_b128 v[155:158], v145
	ds_read_b128 v[159:162], v145 offset:16
	ds_read2_b32 v[163:164], v144 offset1:32
	ds_read_b32 v151, v147
	ds_read2_b32 v[21:22], v146 offset1:1
	s_add_i32 s0, s0, 4
	v_add_u32_e32 v147, 4, v147
	s_cmp_lt_u32 s0, 28
	s_waitcnt lgkmcnt(1)
	v_pk_mul_f16 v30, v163, v151
	s_waitcnt lgkmcnt(0)
	v_dot4_i32_i8 v23, v21, v155, 0
	v_dot4_i32_i8 v25, v22, v159, v23
	ds_read2_b32 v[23:24], v146 offset0:2 offset1:3
	v_pk_mul_f16 v165, v151, v164
	s_waitcnt lgkmcnt(0)
	v_dot4_i32_i8 v25, v23, v156, v25
	v_dot4_i32_i8 v27, v24, v160, v25
	ds_read2_b32 v[25:26], v146 offset0:4 offset1:5
	s_waitcnt lgkmcnt(0)
	v_dot4_i32_i8 v27, v25, v157, v27
	v_dot4_i32_i8 v29, v26, v161, v27
	ds_read2_b32 v[27:28], v146 offset0:6 offset1:7
	s_waitcnt lgkmcnt(0)
	v_dot4_i32_i8 v29, v27, v158, v29
	v_dot4_i32_i8 v29, v28, v162, v29
	v_cvt_f32_i32_e32 v29, v29
	v_fma_mix_f32 v29, v30, v29, v30 op_sel:[0,0,1] op_sel_hi:[1,0,1]
	v_add_f32_e32 v76, v76, v29
	v_add_u32_e32 v29, 0x2080, v146
	ds_read_b32 v152, v148
	ds_read2_b32 v[29:30], v29 offset1:1
	v_add_u32_e32 v148, 4, v148
	s_waitcnt lgkmcnt(1)
	v_pk_mul_f16 v38, v163, v152
	s_waitcnt lgkmcnt(0)
	v_dot4_i32_i8 v31, v29, v155, 0
	v_dot4_i32_i8 v33, v30, v159, v31
	v_add_u32_e32 v31, 0x2088, v146
	ds_read2_b32 v[31:32], v31 offset1:1
	s_waitcnt lgkmcnt(0)
	v_dot4_i32_i8 v33, v31, v156, v33
	v_dot4_i32_i8 v35, v32, v160, v33
	v_add_u32_e32 v33, 0x2090, v146
	ds_read2_b32 v[33:34], v33 offset1:1
	;; [unrolled: 5-line block ×3, first 2 shown]
	s_waitcnt lgkmcnt(0)
	v_dot4_i32_i8 v37, v35, v158, v37
	v_dot4_i32_i8 v37, v36, v162, v37
	v_cvt_f32_i32_e32 v37, v37
	v_fma_mix_f32 v37, v38, v37, v38 op_sel:[0,0,1] op_sel_hi:[1,0,1]
	v_add_f32_e32 v109, v109, v37
	v_add_u32_e32 v37, 0x4100, v146
	ds_read_b32 v153, v149
	ds_read2_b32 v[37:38], v37 offset1:1
	v_add_u32_e32 v149, 4, v149
	s_waitcnt lgkmcnt(1)
	v_pk_mul_f16 v46, v163, v153
	s_waitcnt lgkmcnt(0)
	v_dot4_i32_i8 v39, v37, v155, 0
	v_dot4_i32_i8 v41, v38, v159, v39
	v_add_u32_e32 v39, 0x4108, v146
	ds_read2_b32 v[39:40], v39 offset1:1
	s_waitcnt lgkmcnt(0)
	v_dot4_i32_i8 v41, v39, v156, v41
	v_dot4_i32_i8 v43, v40, v160, v41
	v_add_u32_e32 v41, 0x4110, v146
	ds_read2_b32 v[41:42], v41 offset1:1
	;; [unrolled: 5-line block ×3, first 2 shown]
	s_waitcnt lgkmcnt(0)
	v_dot4_i32_i8 v45, v43, v158, v45
	v_dot4_i32_i8 v45, v44, v162, v45
	v_cvt_f32_i32_e32 v45, v45
	v_fma_mix_f32 v45, v46, v45, v46 op_sel:[0,0,1] op_sel_hi:[1,0,1]
	v_add_f32_e32 v106, v106, v45
	v_add_u32_e32 v45, 0x6180, v146
	ds_read_b32 v154, v150
	ds_read2_b32 v[45:46], v45 offset1:1
	v_add_u32_e32 v150, 4, v150
	s_waitcnt lgkmcnt(0)
	v_dot4_i32_i8 v47, v45, v155, 0
	v_dot4_i32_i8 v49, v46, v159, v47
	v_add_u32_e32 v47, 0x6188, v146
	ds_read2_b32 v[47:48], v47 offset1:1
	s_waitcnt lgkmcnt(0)
	v_dot4_i32_i8 v49, v47, v156, v49
	v_dot4_i32_i8 v51, v48, v160, v49
	v_add_u32_e32 v49, 0x6190, v146
	ds_read2_b32 v[49:50], v49 offset1:1
	v_pk_mul_f16 v156, v163, v154
	s_waitcnt lgkmcnt(0)
	v_dot4_i32_i8 v51, v49, v157, v51
	v_dot4_i32_i8 v155, v50, v161, v51
	v_add_u32_e32 v51, 0x6198, v146
	ds_read2_b32 v[51:52], v51 offset1:1
	v_add_u32_e32 v146, 32, v146
	s_waitcnt lgkmcnt(0)
	v_dot4_i32_i8 v155, v51, v158, v155
	v_dot4_i32_i8 v155, v52, v162, v155
	v_cvt_f32_i32_e32 v155, v155
	v_fma_mix_f32 v155, v156, v155, v156 op_sel:[0,0,1] op_sel_hi:[1,0,1]
	v_add_f32_e32 v100, v100, v155
	ds_read_b128 v[155:158], v145 offset:1024
	ds_read_b128 v[159:162], v145 offset:1040
	s_waitcnt lgkmcnt(1)
	v_dot4_i32_i8 v163, v21, v155, 0
	s_waitcnt lgkmcnt(0)
	v_dot4_i32_i8 v163, v22, v159, v163
	v_dot4_i32_i8 v163, v23, v156, v163
	;; [unrolled: 1-line block ×7, first 2 shown]
	v_cvt_f32_i32_e32 v163, v163
	v_fma_mix_f32 v163, v163, v165, v165 op_sel:[0,0,1] op_sel_hi:[0,1,1]
	v_add_f32_e32 v92, v92, v163
	v_dot4_i32_i8 v163, v29, v155, 0
	v_dot4_i32_i8 v163, v30, v159, v163
	;; [unrolled: 1-line block ×8, first 2 shown]
	v_cvt_f32_i32_e32 v163, v163
	v_pk_mul_f16 v165, v152, v164
	v_fma_mix_f32 v163, v163, v165, v165 op_sel:[0,0,1] op_sel_hi:[0,1,1]
	v_add_f32_e32 v86, v86, v163
	v_dot4_i32_i8 v163, v37, v155, 0
	v_dot4_i32_i8 v155, v45, v155, 0
	;; [unrolled: 1-line block ×16, first 2 shown]
	v_cvt_f32_i32_e32 v163, v163
	v_cvt_f32_i32_e32 v155, v155
	v_pk_mul_f16 v165, v153, v164
	v_pk_mul_f16 v156, v154, v164
	v_fma_mix_f32 v163, v163, v165, v165 op_sel:[0,0,1] op_sel_hi:[0,1,1]
	v_fma_mix_f32 v155, v155, v156, v156 op_sel:[0,0,1] op_sel_hi:[0,1,1]
	v_add_f32_e32 v80, v80, v163
	v_add_f32_e32 v79, v79, v155
	ds_read_b128 v[155:158], v145 offset:2048
	ds_read_b128 v[159:162], v145 offset:2064
	ds_read2_b32 v[163:164], v144 offset0:64 offset1:96
	s_waitcnt lgkmcnt(2)
	v_dot4_i32_i8 v165, v21, v155, 0
	s_waitcnt lgkmcnt(1)
	v_dot4_i32_i8 v165, v22, v159, v165
	v_dot4_i32_i8 v165, v23, v156, v165
	;; [unrolled: 1-line block ×7, first 2 shown]
	v_cvt_f32_i32_e32 v165, v165
	s_waitcnt lgkmcnt(0)
	v_pk_mul_f16 v166, v151, v163
	v_fma_mix_f32 v165, v165, v166, v166 op_sel:[0,0,1] op_sel_hi:[0,1,1]
	v_add_f32_e32 v78, v78, v165
	v_dot4_i32_i8 v165, v29, v155, 0
	v_dot4_i32_i8 v165, v30, v159, v165
	;; [unrolled: 1-line block ×8, first 2 shown]
	v_cvt_f32_i32_e32 v165, v165
	v_pk_mul_f16 v166, v152, v163
	v_fma_mix_f32 v165, v165, v166, v166 op_sel:[0,0,1] op_sel_hi:[0,1,1]
	v_add_f32_e32 v77, v77, v165
	v_dot4_i32_i8 v165, v37, v155, 0
	v_dot4_i32_i8 v155, v45, v155, 0
	;; [unrolled: 1-line block ×11, first 2 shown]
	v_cvt_f32_i32_e32 v155, v155
	v_dot4_i32_i8 v165, v40, v160, v165
	v_dot4_i32_i8 v165, v41, v157, v165
	;; [unrolled: 1-line block ×3, first 2 shown]
	v_pk_mul_f16 v156, v154, v163
	v_dot4_i32_i8 v165, v43, v158, v165
	v_fma_mix_f32 v155, v155, v156, v156 op_sel:[0,0,1] op_sel_hi:[0,1,1]
	v_dot4_i32_i8 v165, v44, v162, v165
	v_add_f32_e32 v73, v73, v155
	ds_read_b128 v[155:158], v145 offset:3072
	ds_read_b128 v[159:162], v145 offset:3088
	v_pk_mul_f16 v166, v153, v163
	v_cvt_f32_i32_e32 v165, v165
	s_waitcnt lgkmcnt(1)
	v_dot4_i32_i8 v163, v21, v155, 0
	s_waitcnt lgkmcnt(0)
	v_dot4_i32_i8 v163, v22, v159, v163
	v_dot4_i32_i8 v163, v23, v156, v163
	;; [unrolled: 1-line block ×7, first 2 shown]
	v_cvt_f32_i32_e32 v163, v163
	v_fma_mix_f32 v165, v165, v166, v166 op_sel:[0,0,1] op_sel_hi:[0,1,1]
	v_add_f32_e32 v74, v74, v165
	v_pk_mul_f16 v165, v151, v164
	v_fma_mix_f32 v163, v163, v165, v165 op_sel:[0,0,1] op_sel_hi:[0,1,1]
	v_add_f32_e32 v72, v72, v163
	v_dot4_i32_i8 v163, v29, v155, 0
	v_dot4_i32_i8 v163, v30, v159, v163
	;; [unrolled: 1-line block ×8, first 2 shown]
	v_cvt_f32_i32_e32 v163, v163
	v_pk_mul_f16 v165, v152, v164
	v_fma_mix_f32 v163, v163, v165, v165 op_sel:[0,0,1] op_sel_hi:[0,1,1]
	v_add_f32_e32 v71, v71, v163
	v_dot4_i32_i8 v163, v37, v155, 0
	v_dot4_i32_i8 v155, v45, v155, 0
	;; [unrolled: 1-line block ×16, first 2 shown]
	v_cvt_f32_i32_e32 v163, v163
	v_cvt_f32_i32_e32 v155, v155
	v_pk_mul_f16 v165, v153, v164
	v_pk_mul_f16 v156, v154, v164
	v_fma_mix_f32 v163, v163, v165, v165 op_sel:[0,0,1] op_sel_hi:[0,1,1]
	v_fma_mix_f32 v155, v155, v156, v156 op_sel:[0,0,1] op_sel_hi:[0,1,1]
	v_add_f32_e32 v70, v70, v163
	v_add_f32_e32 v69, v69, v155
	ds_read_b128 v[155:158], v145 offset:4096
	ds_read_b128 v[159:162], v145 offset:4112
	ds_read2_b32 v[163:164], v144 offset0:128 offset1:160
	s_waitcnt lgkmcnt(2)
	v_dot4_i32_i8 v165, v21, v155, 0
	s_waitcnt lgkmcnt(1)
	v_dot4_i32_i8 v165, v22, v159, v165
	v_dot4_i32_i8 v165, v23, v156, v165
	;; [unrolled: 1-line block ×7, first 2 shown]
	v_cvt_f32_i32_e32 v165, v165
	s_waitcnt lgkmcnt(0)
	v_pk_mul_f16 v166, v151, v163
	v_fma_mix_f32 v165, v165, v166, v166 op_sel:[0,0,1] op_sel_hi:[0,1,1]
	v_add_f32_e32 v68, v68, v165
	v_dot4_i32_i8 v165, v29, v155, 0
	v_dot4_i32_i8 v165, v30, v159, v165
	;; [unrolled: 1-line block ×8, first 2 shown]
	v_cvt_f32_i32_e32 v165, v165
	v_pk_mul_f16 v166, v152, v163
	v_fma_mix_f32 v165, v165, v166, v166 op_sel:[0,0,1] op_sel_hi:[0,1,1]
	v_add_f32_e32 v67, v67, v165
	v_dot4_i32_i8 v165, v37, v155, 0
	v_dot4_i32_i8 v155, v45, v155, 0
	;; [unrolled: 1-line block ×11, first 2 shown]
	v_cvt_f32_i32_e32 v155, v155
	v_dot4_i32_i8 v165, v40, v160, v165
	v_dot4_i32_i8 v165, v41, v157, v165
	;; [unrolled: 1-line block ×3, first 2 shown]
	v_pk_mul_f16 v156, v154, v163
	v_dot4_i32_i8 v165, v43, v158, v165
	v_fma_mix_f32 v155, v155, v156, v156 op_sel:[0,0,1] op_sel_hi:[0,1,1]
	v_dot4_i32_i8 v165, v44, v162, v165
	v_add_f32_e32 v65, v65, v155
	ds_read_b128 v[155:158], v145 offset:5120
	ds_read_b128 v[159:162], v145 offset:5136
	v_pk_mul_f16 v166, v153, v163
	v_cvt_f32_i32_e32 v165, v165
	s_waitcnt lgkmcnt(1)
	v_dot4_i32_i8 v163, v21, v155, 0
	s_waitcnt lgkmcnt(0)
	v_dot4_i32_i8 v163, v22, v159, v163
	v_dot4_i32_i8 v163, v23, v156, v163
	;; [unrolled: 1-line block ×7, first 2 shown]
	v_cvt_f32_i32_e32 v163, v163
	v_fma_mix_f32 v165, v165, v166, v166 op_sel:[0,0,1] op_sel_hi:[0,1,1]
	v_add_f32_e32 v66, v66, v165
	v_pk_mul_f16 v165, v151, v164
	v_fma_mix_f32 v163, v163, v165, v165 op_sel:[0,0,1] op_sel_hi:[0,1,1]
	v_add_f32_e32 v64, v64, v163
	v_dot4_i32_i8 v163, v29, v155, 0
	v_dot4_i32_i8 v163, v30, v159, v163
	;; [unrolled: 1-line block ×8, first 2 shown]
	v_cvt_f32_i32_e32 v163, v163
	v_pk_mul_f16 v165, v152, v164
	v_fma_mix_f32 v163, v163, v165, v165 op_sel:[0,0,1] op_sel_hi:[0,1,1]
	v_add_f32_e32 v63, v63, v163
	v_dot4_i32_i8 v163, v37, v155, 0
	v_dot4_i32_i8 v155, v45, v155, 0
	;; [unrolled: 1-line block ×16, first 2 shown]
	v_cvt_f32_i32_e32 v163, v163
	v_cvt_f32_i32_e32 v155, v155
	v_pk_mul_f16 v165, v153, v164
	v_pk_mul_f16 v156, v154, v164
	v_fma_mix_f32 v163, v163, v165, v165 op_sel:[0,0,1] op_sel_hi:[0,1,1]
	v_fma_mix_f32 v155, v155, v156, v156 op_sel:[0,0,1] op_sel_hi:[0,1,1]
	v_add_f32_e32 v62, v62, v163
	v_add_f32_e32 v61, v61, v155
	ds_read_b128 v[155:158], v145 offset:6144
	ds_read_b128 v[159:162], v145 offset:6160
	ds_read2_b32 v[163:164], v144 offset0:192 offset1:224
	v_add_u32_e32 v144, 4, v144
	s_waitcnt lgkmcnt(2)
	v_dot4_i32_i8 v165, v21, v155, 0
	s_waitcnt lgkmcnt(1)
	v_dot4_i32_i8 v165, v22, v159, v165
	v_dot4_i32_i8 v165, v23, v156, v165
	;; [unrolled: 1-line block ×7, first 2 shown]
	v_cvt_f32_i32_e32 v165, v165
	s_waitcnt lgkmcnt(0)
	v_pk_mul_f16 v166, v151, v163
	v_fma_mix_f32 v165, v165, v166, v166 op_sel:[0,0,1] op_sel_hi:[0,1,1]
	v_add_f32_e32 v60, v60, v165
	v_dot4_i32_i8 v165, v29, v155, 0
	v_dot4_i32_i8 v165, v30, v159, v165
	v_dot4_i32_i8 v165, v31, v156, v165
	v_dot4_i32_i8 v165, v32, v160, v165
	v_dot4_i32_i8 v165, v33, v157, v165
	v_dot4_i32_i8 v165, v34, v161, v165
	v_dot4_i32_i8 v165, v35, v158, v165
	v_dot4_i32_i8 v165, v36, v162, v165
	v_cvt_f32_i32_e32 v165, v165
	v_pk_mul_f16 v166, v152, v163
	v_fma_mix_f32 v165, v165, v166, v166 op_sel:[0,0,1] op_sel_hi:[0,1,1]
	v_add_f32_e32 v59, v59, v165
	v_dot4_i32_i8 v165, v37, v155, 0
	v_dot4_i32_i8 v155, v45, v155, 0
	;; [unrolled: 1-line block ×11, first 2 shown]
	v_cvt_f32_i32_e32 v155, v155
	v_dot4_i32_i8 v165, v40, v160, v165
	v_dot4_i32_i8 v165, v41, v157, v165
	;; [unrolled: 1-line block ×3, first 2 shown]
	v_pk_mul_f16 v156, v154, v163
	v_dot4_i32_i8 v165, v43, v158, v165
	v_fma_mix_f32 v155, v155, v156, v156 op_sel:[0,0,1] op_sel_hi:[0,1,1]
	v_dot4_i32_i8 v165, v44, v162, v165
	v_add_f32_e32 v57, v57, v155
	ds_read_b128 v[155:158], v145 offset:7168
	ds_read_b128 v[159:162], v145 offset:7184
	v_cvt_f32_i32_e32 v165, v165
	v_pk_mul_f16 v166, v153, v163
	v_add_u32_e32 v145, 32, v145
	s_waitcnt lgkmcnt(1)
	v_dot4_i32_i8 v21, v21, v155, 0
	s_waitcnt lgkmcnt(0)
	v_dot4_i32_i8 v21, v22, v159, v21
	v_dot4_i32_i8 v21, v23, v156, v21
	;; [unrolled: 1-line block ×7, first 2 shown]
	v_cvt_f32_i32_e32 v21, v21
	v_pk_mul_f16 v22, v151, v164
	v_fma_mix_f32 v165, v165, v166, v166 op_sel:[0,0,1] op_sel_hi:[0,1,1]
	v_add_f32_e32 v58, v58, v165
	v_fma_mix_f32 v21, v21, v22, v22 op_sel:[0,0,1] op_sel_hi:[0,1,1]
	v_add_f32_e32 v56, v56, v21
	v_dot4_i32_i8 v21, v29, v155, 0
	v_dot4_i32_i8 v21, v30, v159, v21
	v_dot4_i32_i8 v21, v31, v156, v21
	v_dot4_i32_i8 v21, v32, v160, v21
	v_dot4_i32_i8 v21, v33, v157, v21
	v_dot4_i32_i8 v21, v34, v161, v21
	v_dot4_i32_i8 v21, v35, v158, v21
	v_dot4_i32_i8 v21, v36, v162, v21
	v_cvt_f32_i32_e32 v21, v21
	v_pk_mul_f16 v22, v152, v164
	v_fma_mix_f32 v21, v21, v22, v22 op_sel:[0,0,1] op_sel_hi:[0,1,1]
	v_add_f32_e32 v55, v55, v21
	v_dot4_i32_i8 v21, v37, v155, 0
	v_dot4_i32_i8 v21, v38, v159, v21
	v_dot4_i32_i8 v21, v39, v156, v21
	v_dot4_i32_i8 v21, v40, v160, v21
	v_dot4_i32_i8 v21, v41, v157, v21
	v_dot4_i32_i8 v21, v42, v161, v21
	v_dot4_i32_i8 v21, v43, v158, v21
	v_dot4_i32_i8 v21, v44, v162, v21
	v_cvt_f32_i32_e32 v21, v21
	v_pk_mul_f16 v22, v153, v164
	;; [unrolled: 12-line block ×3, first 2 shown]
	v_fma_mix_f32 v21, v21, v22, v22 op_sel:[0,0,1] op_sel_hi:[0,1,1]
	v_add_f32_e32 v53, v53, v21
	s_cbranch_scc1 .LBB164_11
; %bb.12:                               ;   in Loop: Header=BB164_6 Depth=1
	s_barrier
	s_branch .LBB164_5
.LBB164_13:
	v_mov_b32_e32 v2, v75
.LBB164_14:
	v_cmp_gt_u32_e32 vcc, s10, v2
	s_and_saveexec_b64 s[0:1], vcc
	s_cbranch_execz .LBB164_65
; %bb.15:
	v_mul_lo_u32 v5, v2, s14
	v_add_u32_e32 v0, s6, v0
	v_cmp_gt_u32_e64 s[0:1], s14, v0
	s_and_saveexec_b64 s[2:3], s[0:1]
	s_cbranch_execz .LBB164_17
; %bb.16:
	v_bfe_u32 v2, v76, 16, 1
	s_movk_i32 s4, 0x7fff
	v_add3_u32 v2, v76, v2, s4
	v_cmp_o_f32_e32 vcc, v76, v76
	v_mov_b32_e32 v3, 0x7fc0
	v_cndmask_b32_sdwa v4, v3, v2, vcc dst_sel:DWORD dst_unused:UNUSED_PAD src0_sel:DWORD src1_sel:WORD_1
	v_add_u32_e32 v2, v0, v5
	v_mov_b32_e32 v3, 0
	v_lshlrev_b64 v[2:3], 1, v[2:3]
	s_waitcnt lgkmcnt(0)
	v_mov_b32_e32 v6, s13
	v_add_co_u32_e32 v2, vcc, s12, v2
	v_addc_co_u32_e32 v3, vcc, v6, v3, vcc
	global_store_short v[2:3], v4, off
.LBB164_17:
	s_or_b64 exec, exec, s[2:3]
	v_add_u32_e32 v2, 32, v0
	v_cmp_gt_u32_e64 s[2:3], s14, v2
	s_and_saveexec_b64 s[4:5], s[2:3]
	s_cbranch_execz .LBB164_19
; %bb.18:
	v_bfe_u32 v3, v109, 16, 1
	s_movk_i32 s6, 0x7fff
	v_add3_u32 v3, v109, v3, s6
	v_cmp_o_f32_e32 vcc, v109, v109
	v_mov_b32_e32 v4, 0x7fc0
	v_cndmask_b32_sdwa v6, v4, v3, vcc dst_sel:DWORD dst_unused:UNUSED_PAD src0_sel:DWORD src1_sel:WORD_1
	v_add_u32_e32 v3, v2, v5
	v_mov_b32_e32 v4, 0
	v_lshlrev_b64 v[3:4], 1, v[3:4]
	s_waitcnt lgkmcnt(0)
	v_mov_b32_e32 v7, s13
	v_add_co_u32_e32 v3, vcc, s12, v3
	v_addc_co_u32_e32 v4, vcc, v7, v4, vcc
	global_store_short v[3:4], v6, off
.LBB164_19:
	s_or_b64 exec, exec, s[4:5]
	;; [unrolled: 21-line block ×4, first 2 shown]
	v_add3_u32 v5, v1, s15, 8
	v_cmp_gt_u32_e32 vcc, s10, v5
	s_and_b64 exec, exec, vcc
	s_cbranch_execz .LBB164_65
; %bb.24:
	v_mul_lo_u32 v5, v5, s14
	s_and_saveexec_b64 s[8:9], s[0:1]
	s_cbranch_execnz .LBB164_66
; %bb.25:
	s_or_b64 exec, exec, s[8:9]
	s_and_saveexec_b64 s[8:9], s[2:3]
	s_cbranch_execnz .LBB164_67
.LBB164_26:
	s_or_b64 exec, exec, s[8:9]
	s_and_saveexec_b64 s[8:9], s[4:5]
	s_cbranch_execnz .LBB164_68
.LBB164_27:
	s_or_b64 exec, exec, s[8:9]
	s_and_saveexec_b64 s[8:9], s[6:7]
	s_cbranch_execz .LBB164_29
.LBB164_28:
	v_bfe_u32 v6, v79, 16, 1
	s_movk_i32 s11, 0x7fff
	v_add3_u32 v6, v79, v6, s11
	v_cmp_o_f32_e32 vcc, v79, v79
	v_mov_b32_e32 v7, 0x7fc0
	v_cndmask_b32_sdwa v7, v7, v6, vcc dst_sel:DWORD dst_unused:UNUSED_PAD src0_sel:DWORD src1_sel:WORD_1
	v_add_u32_e32 v5, v5, v4
	v_mov_b32_e32 v6, 0
	v_lshlrev_b64 v[5:6], 1, v[5:6]
	s_waitcnt lgkmcnt(0)
	v_mov_b32_e32 v8, s13
	v_add_co_u32_e32 v5, vcc, s12, v5
	v_addc_co_u32_e32 v6, vcc, v8, v6, vcc
	global_store_short v[5:6], v7, off
.LBB164_29:
	s_or_b64 exec, exec, s[8:9]
	v_add3_u32 v5, v1, s15, 16
	v_cmp_gt_u32_e32 vcc, s10, v5
	s_and_b64 exec, exec, vcc
	s_cbranch_execz .LBB164_65
; %bb.30:
	v_mul_lo_u32 v5, v5, s14
	s_and_saveexec_b64 s[8:9], s[0:1]
	s_cbranch_execnz .LBB164_69
; %bb.31:
	s_or_b64 exec, exec, s[8:9]
	s_and_saveexec_b64 s[8:9], s[2:3]
	s_cbranch_execnz .LBB164_70
.LBB164_32:
	s_or_b64 exec, exec, s[8:9]
	s_and_saveexec_b64 s[8:9], s[4:5]
	s_cbranch_execnz .LBB164_71
.LBB164_33:
	s_or_b64 exec, exec, s[8:9]
	s_and_saveexec_b64 s[8:9], s[6:7]
	s_cbranch_execz .LBB164_35
.LBB164_34:
	v_bfe_u32 v6, v73, 16, 1
	s_movk_i32 s11, 0x7fff
	v_add3_u32 v6, v73, v6, s11
	v_cmp_o_f32_e32 vcc, v73, v73
	v_mov_b32_e32 v7, 0x7fc0
	v_cndmask_b32_sdwa v7, v7, v6, vcc dst_sel:DWORD dst_unused:UNUSED_PAD src0_sel:DWORD src1_sel:WORD_1
	v_add_u32_e32 v5, v5, v4
	v_mov_b32_e32 v6, 0
	v_lshlrev_b64 v[5:6], 1, v[5:6]
	s_waitcnt lgkmcnt(0)
	v_mov_b32_e32 v8, s13
	v_add_co_u32_e32 v5, vcc, s12, v5
	v_addc_co_u32_e32 v6, vcc, v8, v6, vcc
	global_store_short v[5:6], v7, off
.LBB164_35:
	s_or_b64 exec, exec, s[8:9]
	v_add3_u32 v5, v1, s15, 24
	v_cmp_gt_u32_e32 vcc, s10, v5
	s_and_b64 exec, exec, vcc
	s_cbranch_execz .LBB164_65
; %bb.36:
	v_mul_lo_u32 v5, v5, s14
	s_and_saveexec_b64 s[8:9], s[0:1]
	s_cbranch_execnz .LBB164_72
; %bb.37:
	s_or_b64 exec, exec, s[8:9]
	s_and_saveexec_b64 s[8:9], s[2:3]
	s_cbranch_execnz .LBB164_73
.LBB164_38:
	s_or_b64 exec, exec, s[8:9]
	s_and_saveexec_b64 s[8:9], s[4:5]
	s_cbranch_execnz .LBB164_74
.LBB164_39:
	s_or_b64 exec, exec, s[8:9]
	s_and_saveexec_b64 s[8:9], s[6:7]
	s_cbranch_execz .LBB164_41
.LBB164_40:
	v_bfe_u32 v6, v69, 16, 1
	s_movk_i32 s11, 0x7fff
	v_add3_u32 v6, v69, v6, s11
	v_cmp_o_f32_e32 vcc, v69, v69
	v_mov_b32_e32 v7, 0x7fc0
	v_cndmask_b32_sdwa v7, v7, v6, vcc dst_sel:DWORD dst_unused:UNUSED_PAD src0_sel:DWORD src1_sel:WORD_1
	v_add_u32_e32 v5, v5, v4
	v_mov_b32_e32 v6, 0
	v_lshlrev_b64 v[5:6], 1, v[5:6]
	s_waitcnt lgkmcnt(0)
	v_mov_b32_e32 v8, s13
	v_add_co_u32_e32 v5, vcc, s12, v5
	v_addc_co_u32_e32 v6, vcc, v8, v6, vcc
	global_store_short v[5:6], v7, off
.LBB164_41:
	s_or_b64 exec, exec, s[8:9]
	v_add3_u32 v5, v1, s15, 32
	v_cmp_gt_u32_e32 vcc, s10, v5
	s_and_b64 exec, exec, vcc
	s_cbranch_execz .LBB164_65
; %bb.42:
	v_mul_lo_u32 v5, v5, s14
	s_and_saveexec_b64 s[8:9], s[0:1]
	s_cbranch_execnz .LBB164_75
; %bb.43:
	s_or_b64 exec, exec, s[8:9]
	s_and_saveexec_b64 s[8:9], s[2:3]
	s_cbranch_execnz .LBB164_76
.LBB164_44:
	s_or_b64 exec, exec, s[8:9]
	s_and_saveexec_b64 s[8:9], s[4:5]
	s_cbranch_execnz .LBB164_77
.LBB164_45:
	s_or_b64 exec, exec, s[8:9]
	s_and_saveexec_b64 s[8:9], s[6:7]
	s_cbranch_execz .LBB164_47
.LBB164_46:
	v_bfe_u32 v6, v65, 16, 1
	s_movk_i32 s11, 0x7fff
	v_add3_u32 v6, v65, v6, s11
	v_cmp_o_f32_e32 vcc, v65, v65
	v_mov_b32_e32 v7, 0x7fc0
	v_cndmask_b32_sdwa v7, v7, v6, vcc dst_sel:DWORD dst_unused:UNUSED_PAD src0_sel:DWORD src1_sel:WORD_1
	v_add_u32_e32 v5, v5, v4
	v_mov_b32_e32 v6, 0
	v_lshlrev_b64 v[5:6], 1, v[5:6]
	s_waitcnt lgkmcnt(0)
	v_mov_b32_e32 v8, s13
	v_add_co_u32_e32 v5, vcc, s12, v5
	v_addc_co_u32_e32 v6, vcc, v8, v6, vcc
	global_store_short v[5:6], v7, off
.LBB164_47:
	s_or_b64 exec, exec, s[8:9]
	v_add3_u32 v5, v1, s15, 40
	v_cmp_gt_u32_e32 vcc, s10, v5
	s_and_b64 exec, exec, vcc
	s_cbranch_execz .LBB164_65
; %bb.48:
	v_mul_lo_u32 v5, v5, s14
	s_and_saveexec_b64 s[8:9], s[0:1]
	s_cbranch_execnz .LBB164_78
; %bb.49:
	s_or_b64 exec, exec, s[8:9]
	s_and_saveexec_b64 s[8:9], s[2:3]
	s_cbranch_execnz .LBB164_79
.LBB164_50:
	s_or_b64 exec, exec, s[8:9]
	s_and_saveexec_b64 s[8:9], s[4:5]
	s_cbranch_execnz .LBB164_80
.LBB164_51:
	s_or_b64 exec, exec, s[8:9]
	s_and_saveexec_b64 s[8:9], s[6:7]
	s_cbranch_execz .LBB164_53
.LBB164_52:
	v_bfe_u32 v6, v61, 16, 1
	s_movk_i32 s11, 0x7fff
	v_add3_u32 v6, v61, v6, s11
	v_cmp_o_f32_e32 vcc, v61, v61
	v_mov_b32_e32 v7, 0x7fc0
	v_cndmask_b32_sdwa v7, v7, v6, vcc dst_sel:DWORD dst_unused:UNUSED_PAD src0_sel:DWORD src1_sel:WORD_1
	v_add_u32_e32 v5, v5, v4
	v_mov_b32_e32 v6, 0
	v_lshlrev_b64 v[5:6], 1, v[5:6]
	s_waitcnt lgkmcnt(0)
	v_mov_b32_e32 v8, s13
	v_add_co_u32_e32 v5, vcc, s12, v5
	v_addc_co_u32_e32 v6, vcc, v8, v6, vcc
	global_store_short v[5:6], v7, off
.LBB164_53:
	s_or_b64 exec, exec, s[8:9]
	v_add3_u32 v5, v1, s15, 48
	v_cmp_gt_u32_e32 vcc, s10, v5
	s_and_b64 exec, exec, vcc
	s_cbranch_execz .LBB164_65
; %bb.54:
	v_mul_lo_u32 v5, v5, s14
	s_and_saveexec_b64 s[8:9], s[0:1]
	s_cbranch_execnz .LBB164_81
; %bb.55:
	s_or_b64 exec, exec, s[8:9]
	s_and_saveexec_b64 s[8:9], s[2:3]
	s_cbranch_execnz .LBB164_82
.LBB164_56:
	s_or_b64 exec, exec, s[8:9]
	s_and_saveexec_b64 s[8:9], s[4:5]
	s_cbranch_execnz .LBB164_83
.LBB164_57:
	s_or_b64 exec, exec, s[8:9]
	s_and_saveexec_b64 s[8:9], s[6:7]
	s_cbranch_execz .LBB164_59
.LBB164_58:
	v_bfe_u32 v6, v57, 16, 1
	s_movk_i32 s11, 0x7fff
	v_add3_u32 v6, v57, v6, s11
	v_cmp_o_f32_e32 vcc, v57, v57
	v_mov_b32_e32 v7, 0x7fc0
	v_cndmask_b32_sdwa v7, v7, v6, vcc dst_sel:DWORD dst_unused:UNUSED_PAD src0_sel:DWORD src1_sel:WORD_1
	v_add_u32_e32 v5, v5, v4
	v_mov_b32_e32 v6, 0
	v_lshlrev_b64 v[5:6], 1, v[5:6]
	s_waitcnt lgkmcnt(0)
	v_mov_b32_e32 v8, s13
	v_add_co_u32_e32 v5, vcc, s12, v5
	v_addc_co_u32_e32 v6, vcc, v8, v6, vcc
	global_store_short v[5:6], v7, off
.LBB164_59:
	s_or_b64 exec, exec, s[8:9]
	v_add3_u32 v1, v1, s15, 56
	v_cmp_gt_u32_e32 vcc, s10, v1
	s_and_b64 exec, exec, vcc
	s_cbranch_execz .LBB164_65
; %bb.60:
	v_mul_lo_u32 v1, v1, s14
	s_and_saveexec_b64 s[8:9], s[0:1]
	s_cbranch_execnz .LBB164_84
; %bb.61:
	s_or_b64 exec, exec, s[8:9]
	s_and_saveexec_b64 s[0:1], s[2:3]
	s_cbranch_execnz .LBB164_85
.LBB164_62:
	s_or_b64 exec, exec, s[0:1]
	s_and_saveexec_b64 s[0:1], s[4:5]
	s_cbranch_execnz .LBB164_86
.LBB164_63:
	s_or_b64 exec, exec, s[0:1]
	s_and_b64 exec, exec, s[6:7]
	s_cbranch_execz .LBB164_65
.LBB164_64:
	v_bfe_u32 v0, v53, 16, 1
	s_movk_i32 s0, 0x7fff
	v_add3_u32 v0, v53, v0, s0
	v_cmp_o_f32_e32 vcc, v53, v53
	v_mov_b32_e32 v2, 0x7fc0
	v_cndmask_b32_sdwa v2, v2, v0, vcc dst_sel:DWORD dst_unused:UNUSED_PAD src0_sel:DWORD src1_sel:WORD_1
	v_add_u32_e32 v0, v1, v4
	v_mov_b32_e32 v1, 0
	v_lshlrev_b64 v[0:1], 1, v[0:1]
	s_waitcnt lgkmcnt(0)
	v_mov_b32_e32 v3, s13
	v_add_co_u32_e32 v0, vcc, s12, v0
	v_addc_co_u32_e32 v1, vcc, v3, v1, vcc
	global_store_short v[0:1], v2, off
.LBB164_65:
	s_endpgm
.LBB164_66:
	v_bfe_u32 v6, v92, 16, 1
	s_movk_i32 s11, 0x7fff
	v_add3_u32 v6, v92, v6, s11
	v_cmp_o_f32_e32 vcc, v92, v92
	v_mov_b32_e32 v7, 0x7fc0
	v_cndmask_b32_sdwa v8, v7, v6, vcc dst_sel:DWORD dst_unused:UNUSED_PAD src0_sel:DWORD src1_sel:WORD_1
	v_add_u32_e32 v6, v5, v0
	v_mov_b32_e32 v7, 0
	v_lshlrev_b64 v[6:7], 1, v[6:7]
	s_waitcnt lgkmcnt(0)
	v_mov_b32_e32 v9, s13
	v_add_co_u32_e32 v6, vcc, s12, v6
	v_addc_co_u32_e32 v7, vcc, v9, v7, vcc
	global_store_short v[6:7], v8, off
	s_or_b64 exec, exec, s[8:9]
	s_and_saveexec_b64 s[8:9], s[2:3]
	s_cbranch_execz .LBB164_26
.LBB164_67:
	v_bfe_u32 v6, v86, 16, 1
	s_movk_i32 s11, 0x7fff
	v_add3_u32 v6, v86, v6, s11
	v_cmp_o_f32_e32 vcc, v86, v86
	v_mov_b32_e32 v7, 0x7fc0
	v_cndmask_b32_sdwa v8, v7, v6, vcc dst_sel:DWORD dst_unused:UNUSED_PAD src0_sel:DWORD src1_sel:WORD_1
	v_add_u32_e32 v6, v5, v2
	v_mov_b32_e32 v7, 0
	v_lshlrev_b64 v[6:7], 1, v[6:7]
	s_waitcnt lgkmcnt(0)
	v_mov_b32_e32 v9, s13
	v_add_co_u32_e32 v6, vcc, s12, v6
	v_addc_co_u32_e32 v7, vcc, v9, v7, vcc
	global_store_short v[6:7], v8, off
	s_or_b64 exec, exec, s[8:9]
	s_and_saveexec_b64 s[8:9], s[4:5]
	s_cbranch_execz .LBB164_27
.LBB164_68:
	v_bfe_u32 v6, v80, 16, 1
	s_movk_i32 s11, 0x7fff
	v_add3_u32 v6, v80, v6, s11
	v_cmp_o_f32_e32 vcc, v80, v80
	v_mov_b32_e32 v7, 0x7fc0
	v_cndmask_b32_sdwa v8, v7, v6, vcc dst_sel:DWORD dst_unused:UNUSED_PAD src0_sel:DWORD src1_sel:WORD_1
	v_add_u32_e32 v6, v5, v3
	v_mov_b32_e32 v7, 0
	v_lshlrev_b64 v[6:7], 1, v[6:7]
	s_waitcnt lgkmcnt(0)
	v_mov_b32_e32 v9, s13
	v_add_co_u32_e32 v6, vcc, s12, v6
	v_addc_co_u32_e32 v7, vcc, v9, v7, vcc
	global_store_short v[6:7], v8, off
	s_or_b64 exec, exec, s[8:9]
	s_and_saveexec_b64 s[8:9], s[6:7]
	s_cbranch_execnz .LBB164_28
	s_branch .LBB164_29
.LBB164_69:
	v_bfe_u32 v6, v78, 16, 1
	s_movk_i32 s11, 0x7fff
	v_add3_u32 v6, v78, v6, s11
	v_cmp_o_f32_e32 vcc, v78, v78
	v_mov_b32_e32 v7, 0x7fc0
	v_cndmask_b32_sdwa v8, v7, v6, vcc dst_sel:DWORD dst_unused:UNUSED_PAD src0_sel:DWORD src1_sel:WORD_1
	v_add_u32_e32 v6, v5, v0
	v_mov_b32_e32 v7, 0
	v_lshlrev_b64 v[6:7], 1, v[6:7]
	s_waitcnt lgkmcnt(0)
	v_mov_b32_e32 v9, s13
	v_add_co_u32_e32 v6, vcc, s12, v6
	v_addc_co_u32_e32 v7, vcc, v9, v7, vcc
	global_store_short v[6:7], v8, off
	s_or_b64 exec, exec, s[8:9]
	s_and_saveexec_b64 s[8:9], s[2:3]
	s_cbranch_execz .LBB164_32
.LBB164_70:
	v_bfe_u32 v6, v77, 16, 1
	s_movk_i32 s11, 0x7fff
	v_add3_u32 v6, v77, v6, s11
	v_cmp_o_f32_e32 vcc, v77, v77
	v_mov_b32_e32 v7, 0x7fc0
	v_cndmask_b32_sdwa v8, v7, v6, vcc dst_sel:DWORD dst_unused:UNUSED_PAD src0_sel:DWORD src1_sel:WORD_1
	v_add_u32_e32 v6, v5, v2
	v_mov_b32_e32 v7, 0
	v_lshlrev_b64 v[6:7], 1, v[6:7]
	s_waitcnt lgkmcnt(0)
	v_mov_b32_e32 v9, s13
	v_add_co_u32_e32 v6, vcc, s12, v6
	v_addc_co_u32_e32 v7, vcc, v9, v7, vcc
	global_store_short v[6:7], v8, off
	s_or_b64 exec, exec, s[8:9]
	s_and_saveexec_b64 s[8:9], s[4:5]
	s_cbranch_execz .LBB164_33
.LBB164_71:
	v_bfe_u32 v6, v74, 16, 1
	s_movk_i32 s11, 0x7fff
	v_add3_u32 v6, v74, v6, s11
	v_cmp_o_f32_e32 vcc, v74, v74
	v_mov_b32_e32 v7, 0x7fc0
	v_cndmask_b32_sdwa v8, v7, v6, vcc dst_sel:DWORD dst_unused:UNUSED_PAD src0_sel:DWORD src1_sel:WORD_1
	v_add_u32_e32 v6, v5, v3
	v_mov_b32_e32 v7, 0
	v_lshlrev_b64 v[6:7], 1, v[6:7]
	s_waitcnt lgkmcnt(0)
	v_mov_b32_e32 v9, s13
	v_add_co_u32_e32 v6, vcc, s12, v6
	v_addc_co_u32_e32 v7, vcc, v9, v7, vcc
	global_store_short v[6:7], v8, off
	s_or_b64 exec, exec, s[8:9]
	s_and_saveexec_b64 s[8:9], s[6:7]
	s_cbranch_execnz .LBB164_34
	s_branch .LBB164_35
.LBB164_72:
	v_bfe_u32 v6, v72, 16, 1
	s_movk_i32 s11, 0x7fff
	v_add3_u32 v6, v72, v6, s11
	v_cmp_o_f32_e32 vcc, v72, v72
	v_mov_b32_e32 v7, 0x7fc0
	v_cndmask_b32_sdwa v8, v7, v6, vcc dst_sel:DWORD dst_unused:UNUSED_PAD src0_sel:DWORD src1_sel:WORD_1
	v_add_u32_e32 v6, v5, v0
	v_mov_b32_e32 v7, 0
	v_lshlrev_b64 v[6:7], 1, v[6:7]
	s_waitcnt lgkmcnt(0)
	v_mov_b32_e32 v9, s13
	v_add_co_u32_e32 v6, vcc, s12, v6
	v_addc_co_u32_e32 v7, vcc, v9, v7, vcc
	global_store_short v[6:7], v8, off
	s_or_b64 exec, exec, s[8:9]
	s_and_saveexec_b64 s[8:9], s[2:3]
	s_cbranch_execz .LBB164_38
.LBB164_73:
	v_bfe_u32 v6, v71, 16, 1
	s_movk_i32 s11, 0x7fff
	v_add3_u32 v6, v71, v6, s11
	v_cmp_o_f32_e32 vcc, v71, v71
	v_mov_b32_e32 v7, 0x7fc0
	v_cndmask_b32_sdwa v8, v7, v6, vcc dst_sel:DWORD dst_unused:UNUSED_PAD src0_sel:DWORD src1_sel:WORD_1
	v_add_u32_e32 v6, v5, v2
	v_mov_b32_e32 v7, 0
	v_lshlrev_b64 v[6:7], 1, v[6:7]
	s_waitcnt lgkmcnt(0)
	v_mov_b32_e32 v9, s13
	v_add_co_u32_e32 v6, vcc, s12, v6
	v_addc_co_u32_e32 v7, vcc, v9, v7, vcc
	global_store_short v[6:7], v8, off
	s_or_b64 exec, exec, s[8:9]
	s_and_saveexec_b64 s[8:9], s[4:5]
	s_cbranch_execz .LBB164_39
.LBB164_74:
	v_bfe_u32 v6, v70, 16, 1
	s_movk_i32 s11, 0x7fff
	v_add3_u32 v6, v70, v6, s11
	v_cmp_o_f32_e32 vcc, v70, v70
	v_mov_b32_e32 v7, 0x7fc0
	v_cndmask_b32_sdwa v8, v7, v6, vcc dst_sel:DWORD dst_unused:UNUSED_PAD src0_sel:DWORD src1_sel:WORD_1
	v_add_u32_e32 v6, v5, v3
	v_mov_b32_e32 v7, 0
	v_lshlrev_b64 v[6:7], 1, v[6:7]
	s_waitcnt lgkmcnt(0)
	v_mov_b32_e32 v9, s13
	v_add_co_u32_e32 v6, vcc, s12, v6
	v_addc_co_u32_e32 v7, vcc, v9, v7, vcc
	global_store_short v[6:7], v8, off
	s_or_b64 exec, exec, s[8:9]
	s_and_saveexec_b64 s[8:9], s[6:7]
	s_cbranch_execnz .LBB164_40
	s_branch .LBB164_41
.LBB164_75:
	v_bfe_u32 v6, v68, 16, 1
	s_movk_i32 s11, 0x7fff
	v_add3_u32 v6, v68, v6, s11
	v_cmp_o_f32_e32 vcc, v68, v68
	v_mov_b32_e32 v7, 0x7fc0
	v_cndmask_b32_sdwa v8, v7, v6, vcc dst_sel:DWORD dst_unused:UNUSED_PAD src0_sel:DWORD src1_sel:WORD_1
	v_add_u32_e32 v6, v5, v0
	v_mov_b32_e32 v7, 0
	v_lshlrev_b64 v[6:7], 1, v[6:7]
	s_waitcnt lgkmcnt(0)
	v_mov_b32_e32 v9, s13
	v_add_co_u32_e32 v6, vcc, s12, v6
	v_addc_co_u32_e32 v7, vcc, v9, v7, vcc
	global_store_short v[6:7], v8, off
	s_or_b64 exec, exec, s[8:9]
	s_and_saveexec_b64 s[8:9], s[2:3]
	s_cbranch_execz .LBB164_44
.LBB164_76:
	v_bfe_u32 v6, v67, 16, 1
	s_movk_i32 s11, 0x7fff
	v_add3_u32 v6, v67, v6, s11
	v_cmp_o_f32_e32 vcc, v67, v67
	v_mov_b32_e32 v7, 0x7fc0
	v_cndmask_b32_sdwa v8, v7, v6, vcc dst_sel:DWORD dst_unused:UNUSED_PAD src0_sel:DWORD src1_sel:WORD_1
	v_add_u32_e32 v6, v5, v2
	v_mov_b32_e32 v7, 0
	v_lshlrev_b64 v[6:7], 1, v[6:7]
	s_waitcnt lgkmcnt(0)
	v_mov_b32_e32 v9, s13
	v_add_co_u32_e32 v6, vcc, s12, v6
	v_addc_co_u32_e32 v7, vcc, v9, v7, vcc
	global_store_short v[6:7], v8, off
	s_or_b64 exec, exec, s[8:9]
	s_and_saveexec_b64 s[8:9], s[4:5]
	s_cbranch_execz .LBB164_45
.LBB164_77:
	v_bfe_u32 v6, v66, 16, 1
	s_movk_i32 s11, 0x7fff
	v_add3_u32 v6, v66, v6, s11
	v_cmp_o_f32_e32 vcc, v66, v66
	v_mov_b32_e32 v7, 0x7fc0
	v_cndmask_b32_sdwa v8, v7, v6, vcc dst_sel:DWORD dst_unused:UNUSED_PAD src0_sel:DWORD src1_sel:WORD_1
	v_add_u32_e32 v6, v5, v3
	v_mov_b32_e32 v7, 0
	v_lshlrev_b64 v[6:7], 1, v[6:7]
	s_waitcnt lgkmcnt(0)
	v_mov_b32_e32 v9, s13
	v_add_co_u32_e32 v6, vcc, s12, v6
	v_addc_co_u32_e32 v7, vcc, v9, v7, vcc
	global_store_short v[6:7], v8, off
	s_or_b64 exec, exec, s[8:9]
	s_and_saveexec_b64 s[8:9], s[6:7]
	s_cbranch_execnz .LBB164_46
	s_branch .LBB164_47
.LBB164_78:
	v_bfe_u32 v6, v64, 16, 1
	s_movk_i32 s11, 0x7fff
	v_add3_u32 v6, v64, v6, s11
	v_cmp_o_f32_e32 vcc, v64, v64
	v_mov_b32_e32 v7, 0x7fc0
	v_cndmask_b32_sdwa v8, v7, v6, vcc dst_sel:DWORD dst_unused:UNUSED_PAD src0_sel:DWORD src1_sel:WORD_1
	v_add_u32_e32 v6, v5, v0
	v_mov_b32_e32 v7, 0
	v_lshlrev_b64 v[6:7], 1, v[6:7]
	s_waitcnt lgkmcnt(0)
	v_mov_b32_e32 v9, s13
	v_add_co_u32_e32 v6, vcc, s12, v6
	v_addc_co_u32_e32 v7, vcc, v9, v7, vcc
	global_store_short v[6:7], v8, off
	s_or_b64 exec, exec, s[8:9]
	s_and_saveexec_b64 s[8:9], s[2:3]
	s_cbranch_execz .LBB164_50
.LBB164_79:
	v_bfe_u32 v6, v63, 16, 1
	s_movk_i32 s11, 0x7fff
	v_add3_u32 v6, v63, v6, s11
	v_cmp_o_f32_e32 vcc, v63, v63
	v_mov_b32_e32 v7, 0x7fc0
	v_cndmask_b32_sdwa v8, v7, v6, vcc dst_sel:DWORD dst_unused:UNUSED_PAD src0_sel:DWORD src1_sel:WORD_1
	v_add_u32_e32 v6, v5, v2
	v_mov_b32_e32 v7, 0
	v_lshlrev_b64 v[6:7], 1, v[6:7]
	s_waitcnt lgkmcnt(0)
	v_mov_b32_e32 v9, s13
	v_add_co_u32_e32 v6, vcc, s12, v6
	v_addc_co_u32_e32 v7, vcc, v9, v7, vcc
	global_store_short v[6:7], v8, off
	s_or_b64 exec, exec, s[8:9]
	s_and_saveexec_b64 s[8:9], s[4:5]
	s_cbranch_execz .LBB164_51
.LBB164_80:
	v_bfe_u32 v6, v62, 16, 1
	s_movk_i32 s11, 0x7fff
	v_add3_u32 v6, v62, v6, s11
	v_cmp_o_f32_e32 vcc, v62, v62
	v_mov_b32_e32 v7, 0x7fc0
	v_cndmask_b32_sdwa v8, v7, v6, vcc dst_sel:DWORD dst_unused:UNUSED_PAD src0_sel:DWORD src1_sel:WORD_1
	v_add_u32_e32 v6, v5, v3
	v_mov_b32_e32 v7, 0
	v_lshlrev_b64 v[6:7], 1, v[6:7]
	s_waitcnt lgkmcnt(0)
	v_mov_b32_e32 v9, s13
	v_add_co_u32_e32 v6, vcc, s12, v6
	v_addc_co_u32_e32 v7, vcc, v9, v7, vcc
	global_store_short v[6:7], v8, off
	s_or_b64 exec, exec, s[8:9]
	s_and_saveexec_b64 s[8:9], s[6:7]
	s_cbranch_execnz .LBB164_52
	s_branch .LBB164_53
.LBB164_81:
	v_bfe_u32 v6, v60, 16, 1
	s_movk_i32 s11, 0x7fff
	v_add3_u32 v6, v60, v6, s11
	v_cmp_o_f32_e32 vcc, v60, v60
	v_mov_b32_e32 v7, 0x7fc0
	v_cndmask_b32_sdwa v8, v7, v6, vcc dst_sel:DWORD dst_unused:UNUSED_PAD src0_sel:DWORD src1_sel:WORD_1
	v_add_u32_e32 v6, v5, v0
	v_mov_b32_e32 v7, 0
	v_lshlrev_b64 v[6:7], 1, v[6:7]
	s_waitcnt lgkmcnt(0)
	v_mov_b32_e32 v9, s13
	v_add_co_u32_e32 v6, vcc, s12, v6
	v_addc_co_u32_e32 v7, vcc, v9, v7, vcc
	global_store_short v[6:7], v8, off
	s_or_b64 exec, exec, s[8:9]
	s_and_saveexec_b64 s[8:9], s[2:3]
	s_cbranch_execz .LBB164_56
.LBB164_82:
	v_bfe_u32 v6, v59, 16, 1
	s_movk_i32 s11, 0x7fff
	v_add3_u32 v6, v59, v6, s11
	v_cmp_o_f32_e32 vcc, v59, v59
	v_mov_b32_e32 v7, 0x7fc0
	v_cndmask_b32_sdwa v8, v7, v6, vcc dst_sel:DWORD dst_unused:UNUSED_PAD src0_sel:DWORD src1_sel:WORD_1
	v_add_u32_e32 v6, v5, v2
	v_mov_b32_e32 v7, 0
	v_lshlrev_b64 v[6:7], 1, v[6:7]
	s_waitcnt lgkmcnt(0)
	v_mov_b32_e32 v9, s13
	v_add_co_u32_e32 v6, vcc, s12, v6
	v_addc_co_u32_e32 v7, vcc, v9, v7, vcc
	global_store_short v[6:7], v8, off
	s_or_b64 exec, exec, s[8:9]
	s_and_saveexec_b64 s[8:9], s[4:5]
	s_cbranch_execz .LBB164_57
.LBB164_83:
	v_bfe_u32 v6, v58, 16, 1
	s_movk_i32 s11, 0x7fff
	v_add3_u32 v6, v58, v6, s11
	v_cmp_o_f32_e32 vcc, v58, v58
	v_mov_b32_e32 v7, 0x7fc0
	v_cndmask_b32_sdwa v8, v7, v6, vcc dst_sel:DWORD dst_unused:UNUSED_PAD src0_sel:DWORD src1_sel:WORD_1
	v_add_u32_e32 v6, v5, v3
	v_mov_b32_e32 v7, 0
	v_lshlrev_b64 v[6:7], 1, v[6:7]
	s_waitcnt lgkmcnt(0)
	v_mov_b32_e32 v9, s13
	v_add_co_u32_e32 v6, vcc, s12, v6
	v_addc_co_u32_e32 v7, vcc, v9, v7, vcc
	global_store_short v[6:7], v8, off
	s_or_b64 exec, exec, s[8:9]
	s_and_saveexec_b64 s[8:9], s[6:7]
	s_cbranch_execnz .LBB164_58
	s_branch .LBB164_59
.LBB164_84:
	v_bfe_u32 v5, v56, 16, 1
	s_movk_i32 s0, 0x7fff
	v_add3_u32 v5, v56, v5, s0
	v_cmp_o_f32_e32 vcc, v56, v56
	v_mov_b32_e32 v6, 0x7fc0
	v_cndmask_b32_sdwa v7, v6, v5, vcc dst_sel:DWORD dst_unused:UNUSED_PAD src0_sel:DWORD src1_sel:WORD_1
	v_add_u32_e32 v5, v1, v0
	v_mov_b32_e32 v6, 0
	v_lshlrev_b64 v[5:6], 1, v[5:6]
	s_waitcnt lgkmcnt(0)
	v_mov_b32_e32 v0, s13
	v_add_co_u32_e32 v5, vcc, s12, v5
	v_addc_co_u32_e32 v6, vcc, v0, v6, vcc
	global_store_short v[5:6], v7, off
	s_or_b64 exec, exec, s[8:9]
	s_and_saveexec_b64 s[0:1], s[2:3]
	s_cbranch_execz .LBB164_62
.LBB164_85:
	v_bfe_u32 v0, v55, 16, 1
	s_movk_i32 s2, 0x7fff
	v_add3_u32 v0, v55, v0, s2
	v_cmp_o_f32_e32 vcc, v55, v55
	v_mov_b32_e32 v5, 0x7fc0
	v_cndmask_b32_sdwa v0, v5, v0, vcc dst_sel:DWORD dst_unused:UNUSED_PAD src0_sel:DWORD src1_sel:WORD_1
	v_add_u32_e32 v5, v1, v2
	v_mov_b32_e32 v6, 0
	v_lshlrev_b64 v[5:6], 1, v[5:6]
	s_waitcnt lgkmcnt(0)
	v_mov_b32_e32 v2, s13
	v_add_co_u32_e32 v5, vcc, s12, v5
	v_addc_co_u32_e32 v6, vcc, v2, v6, vcc
	global_store_short v[5:6], v0, off
	s_or_b64 exec, exec, s[0:1]
	s_and_saveexec_b64 s[0:1], s[4:5]
	s_cbranch_execz .LBB164_63
.LBB164_86:
	v_bfe_u32 v0, v54, 16, 1
	s_movk_i32 s2, 0x7fff
	v_add3_u32 v0, v54, v0, s2
	v_cmp_o_f32_e32 vcc, v54, v54
	v_mov_b32_e32 v2, 0x7fc0
	v_cndmask_b32_sdwa v0, v2, v0, vcc dst_sel:DWORD dst_unused:UNUSED_PAD src0_sel:DWORD src1_sel:WORD_1
	v_add_u32_e32 v2, v1, v3
	v_mov_b32_e32 v3, 0
	v_lshlrev_b64 v[2:3], 1, v[2:3]
	s_waitcnt lgkmcnt(0)
	v_mov_b32_e32 v5, s13
	v_add_co_u32_e32 v2, vcc, s12, v2
	v_addc_co_u32_e32 v3, vcc, v5, v3, vcc
	global_store_short v[2:3], v0, off
	s_or_b64 exec, exec, s[0:1]
	s_and_b64 exec, exec, s[6:7]
	s_cbranch_execnz .LBB164_64
	s_branch .LBB164_65
	.section	.rodata,"a",@progbits
	.p2align	6, 0x0
	.amdhsa_kernel _ZL12mul_mat_q5_1IN3c108BFloat16ELb1EEvPKvS3_PT_iiiii
		.amdhsa_group_segment_fixed_size 46720
		.amdhsa_private_segment_fixed_size 0
		.amdhsa_kernarg_size 44
		.amdhsa_user_sgpr_count 6
		.amdhsa_user_sgpr_private_segment_buffer 1
		.amdhsa_user_sgpr_dispatch_ptr 0
		.amdhsa_user_sgpr_queue_ptr 0
		.amdhsa_user_sgpr_kernarg_segment_ptr 1
		.amdhsa_user_sgpr_dispatch_id 0
		.amdhsa_user_sgpr_flat_scratch_init 0
		.amdhsa_user_sgpr_private_segment_size 0
		.amdhsa_uses_dynamic_stack 0
		.amdhsa_system_sgpr_private_segment_wavefront_offset 0
		.amdhsa_system_sgpr_workgroup_id_x 1
		.amdhsa_system_sgpr_workgroup_id_y 1
		.amdhsa_system_sgpr_workgroup_id_z 0
		.amdhsa_system_sgpr_workgroup_info 0
		.amdhsa_system_vgpr_workitem_id 1
		.amdhsa_next_free_vgpr 168
		.amdhsa_next_free_sgpr 98
		.amdhsa_reserve_vcc 1
		.amdhsa_reserve_flat_scratch 0
		.amdhsa_float_round_mode_32 0
		.amdhsa_float_round_mode_16_64 0
		.amdhsa_float_denorm_mode_32 3
		.amdhsa_float_denorm_mode_16_64 3
		.amdhsa_dx10_clamp 1
		.amdhsa_ieee_mode 1
		.amdhsa_fp16_overflow 0
		.amdhsa_exception_fp_ieee_invalid_op 0
		.amdhsa_exception_fp_denorm_src 0
		.amdhsa_exception_fp_ieee_div_zero 0
		.amdhsa_exception_fp_ieee_overflow 0
		.amdhsa_exception_fp_ieee_underflow 0
		.amdhsa_exception_fp_ieee_inexact 0
		.amdhsa_exception_int_div_zero 0
	.end_amdhsa_kernel
	.section	.text._ZL12mul_mat_q5_1IN3c108BFloat16ELb1EEvPKvS3_PT_iiiii,"axG",@progbits,_ZL12mul_mat_q5_1IN3c108BFloat16ELb1EEvPKvS3_PT_iiiii,comdat
.Lfunc_end164:
	.size	_ZL12mul_mat_q5_1IN3c108BFloat16ELb1EEvPKvS3_PT_iiiii, .Lfunc_end164-_ZL12mul_mat_q5_1IN3c108BFloat16ELb1EEvPKvS3_PT_iiiii
                                        ; -- End function
	.set _ZL12mul_mat_q5_1IN3c108BFloat16ELb1EEvPKvS3_PT_iiiii.num_vgpr, 168
	.set _ZL12mul_mat_q5_1IN3c108BFloat16ELb1EEvPKvS3_PT_iiiii.num_agpr, 0
	.set _ZL12mul_mat_q5_1IN3c108BFloat16ELb1EEvPKvS3_PT_iiiii.numbered_sgpr, 18
	.set _ZL12mul_mat_q5_1IN3c108BFloat16ELb1EEvPKvS3_PT_iiiii.num_named_barrier, 0
	.set _ZL12mul_mat_q5_1IN3c108BFloat16ELb1EEvPKvS3_PT_iiiii.private_seg_size, 0
	.set _ZL12mul_mat_q5_1IN3c108BFloat16ELb1EEvPKvS3_PT_iiiii.uses_vcc, 1
	.set _ZL12mul_mat_q5_1IN3c108BFloat16ELb1EEvPKvS3_PT_iiiii.uses_flat_scratch, 0
	.set _ZL12mul_mat_q5_1IN3c108BFloat16ELb1EEvPKvS3_PT_iiiii.has_dyn_sized_stack, 0
	.set _ZL12mul_mat_q5_1IN3c108BFloat16ELb1EEvPKvS3_PT_iiiii.has_recursion, 0
	.set _ZL12mul_mat_q5_1IN3c108BFloat16ELb1EEvPKvS3_PT_iiiii.has_indirect_call, 0
	.section	.AMDGPU.csdata,"",@progbits
; Kernel info:
; codeLenInByte = 15868
; TotalNumSgprs: 22
; NumVgprs: 168
; ScratchSize: 0
; MemoryBound: 0
; FloatMode: 240
; IeeeMode: 1
; LDSByteSize: 46720 bytes/workgroup (compile time only)
; SGPRBlocks: 12
; VGPRBlocks: 41
; NumSGPRsForWavesPerEU: 102
; NumVGPRsForWavesPerEU: 168
; Occupancy: 1
; WaveLimiterHint : 0
; COMPUTE_PGM_RSRC2:SCRATCH_EN: 0
; COMPUTE_PGM_RSRC2:USER_SGPR: 6
; COMPUTE_PGM_RSRC2:TRAP_HANDLER: 0
; COMPUTE_PGM_RSRC2:TGID_X_EN: 1
; COMPUTE_PGM_RSRC2:TGID_Y_EN: 1
; COMPUTE_PGM_RSRC2:TGID_Z_EN: 0
; COMPUTE_PGM_RSRC2:TIDIG_COMP_CNT: 1
	.section	.text._ZL12mul_mat_q8_0IN3c108BFloat16ELb0EEvPKvS3_PT_iiiii,"axG",@progbits,_ZL12mul_mat_q8_0IN3c108BFloat16ELb0EEvPKvS3_PT_iiiii,comdat
	.globl	_ZL12mul_mat_q8_0IN3c108BFloat16ELb0EEvPKvS3_PT_iiiii ; -- Begin function _ZL12mul_mat_q8_0IN3c108BFloat16ELb0EEvPKvS3_PT_iiiii
	.p2align	8
	.type	_ZL12mul_mat_q8_0IN3c108BFloat16ELb0EEvPKvS3_PT_iiiii,@function
_ZL12mul_mat_q8_0IN3c108BFloat16ELb0EEvPKvS3_PT_iiiii: ; @_ZL12mul_mat_q8_0IN3c108BFloat16ELb0EEvPKvS3_PT_iiiii
; %bb.0:
	s_mov_b64 s[18:19], s[2:3]
	s_mov_b64 s[16:17], s[0:1]
	s_add_u32 s16, s16, s8
	s_load_dword s14, s[4:5], 0x18
	s_load_dwordx4 s[8:11], s[4:5], 0x20
	s_addc_u32 s17, s17, 0
	v_mov_b32_e32 v20, v1
	s_waitcnt lgkmcnt(0)
	s_lshl_b32 s11, s7, 6
	s_cmp_gt_i32 s14, 31
	v_add_u32_e32 v12, s11, v20
	s_cbranch_scc1 .LBB165_2
; %bb.1:
	v_add_u32_e32 v1, s11, v20
	s_mov_b64 s[0:1], 0
	s_branch .LBB165_3
.LBB165_2:
	s_mov_b64 s[0:1], -1
                                        ; implicit-def: $vgpr1
.LBB165_3:
	s_load_dwordx2 s[12:13], s[4:5], 0x10
	s_lshl_b32 s6, s6, 7
	v_mov_b32_e32 v48, 0
	s_andn2_b64 vcc, exec, s[0:1]
	v_mov_b32_e32 v52, 0
	v_mov_b32_e32 v56, 0
	v_mov_b32_e32 v60, 0
	v_mov_b32_e32 v64, 0
	v_mov_b32_e32 v68, 0
	v_mov_b32_e32 v73, 0
	v_mov_b32_e32 v84, 0
	v_mov_b32_e32 v49, 0
	v_mov_b32_e32 v53, 0
	v_mov_b32_e32 v57, 0
	v_mov_b32_e32 v61, 0
	v_mov_b32_e32 v65, 0
	v_mov_b32_e32 v69, 0
	v_mov_b32_e32 v75, 0
	v_mov_b32_e32 v95, 0
	v_mov_b32_e32 v50, 0
	v_mov_b32_e32 v54, 0
	v_mov_b32_e32 v58, 0
	v_mov_b32_e32 v62, 0
	v_mov_b32_e32 v66, 0
	v_mov_b32_e32 v70, 0
	v_mov_b32_e32 v76, 0
	v_mov_b32_e32 v100, 0
	v_mov_b32_e32 v51, 0
	v_mov_b32_e32 v55, 0
	v_mov_b32_e32 v59, 0
	v_mov_b32_e32 v63, 0
	v_mov_b32_e32 v67, 0
	v_mov_b32_e32 v71, 0
	v_mov_b32_e32 v77, 0
	v_mov_b32_e32 v74, 0
	s_cbranch_vccnz .LBB165_9
; %bb.4:
	s_load_dwordx4 s[0:3], s[4:5], 0x0
	s_ashr_i32 s4, s14, 31
	s_lshr_b32 s4, s4, 27
	s_ashr_i32 s5, s9, 31
	s_add_i32 s14, s14, s4
	s_lshr_b32 s5, s5, 27
	s_ashr_i32 s4, s14, 5
	s_add_i32 s5, s9, s5
	s_ashr_i32 s9, s5, 5
	s_mul_i32 s5, s4, s6
	v_mul_lo_u32 v2, s4, v20
	s_mul_hi_i32 s7, s5, 34
	s_mul_i32 s5, s5, 34
	s_waitcnt lgkmcnt(0)
	s_add_u32 s5, s0, s5
	v_lshlrev_b32_e32 v1, 2, v0
	s_movk_i32 s0, 0x84
	s_addc_u32 s7, s1, s7
	v_mad_u32_u24 v81, v20, s0, v1
	s_lshl_b32 s0, s4, 3
	v_and_b32_e32 v79, 28, v1
	v_add_u32_e32 v1, s0, v2
	buffer_store_dword v1, off, s[16:19], 0 offset:4 ; 4-byte Folded Spill
	v_add_u32_e32 v1, s0, v1
	v_add_u32_e32 v106, s0, v1
	;; [unrolled: 1-line block ×13, first 2 shown]
	buffer_store_dword v1, off, s[16:19], 0 offset:8 ; 4-byte Folded Spill
	v_add_u32_e32 v1, s0, v97
	buffer_store_dword v2, off, s[16:19], 0 ; 4-byte Folded Spill
	buffer_store_dword v1, off, s[16:19], 0 offset:12 ; 4-byte Folded Spill
	v_lshlrev_b32_e32 v1, 3, v20
	v_lshrrev_b32_e32 v2, 2, v0
	v_add_u32_e32 v5, v2, v1
	v_add_u16_e32 v1, v2, v1
	v_and_b32_e32 v13, 3, v0
	v_lshrrev_b16_e32 v1, 1, v1
	v_and_b32_e32 v1, 0x7fc, v1
	v_lshlrev_b32_e32 v9, 2, v13
	s_movk_i32 s14, 0x6200
	v_add3_u32 v14, v1, v9, s14
	v_add_u32_e32 v1, 64, v5
	v_lshrrev_b32_e32 v2, 1, v1
	v_and_b32_e32 v2, 0xffc, v2
	s_add_i32 s0, s8, -1
	v_add3_u32 v16, v2, v9, s14
	v_lshlrev_b32_e32 v17, 4, v1
	v_cvt_f64_i32_e32 v[1:2], s0
	v_cvt_f64_u32_e32 v[3:4], v12
	v_and_b32_e32 v6, 31, v0
	v_mov_b32_e32 v7, 0x4200
	v_lshl_or_b32 v101, v6, 2, v7
	v_min_f64 v[3:4], v[3:4], v[1:2]
	v_add_u32_e32 v7, 16, v12
	v_mul_lo_u32 v99, s4, v5
	v_lshlrev_b32_e32 v15, 4, v5
	v_and_b32_e32 v10, 63, v5
	v_add_u32_e32 v5, 8, v12
	v_cvt_f64_u32_e32 v[7:8], v7
	v_cvt_f64_u32_e32 v[5:6], v5
	v_cvt_i32_f64_e32 v3, v[3:4]
	v_or_b32_e32 v11, s11, v10
	v_min_f64 v[7:8], v[7:8], v[1:2]
	v_min_f64 v[5:6], v[5:6], v[1:2]
	v_min_i32_e32 v11, s0, v11
	v_mad_u64_u32 v[18:19], s[0:1], v11, s9, v[13:14]
	v_mul_lo_u32 v3, s9, v3
	v_lshl_or_b32 v4, v10, 4, v9
	buffer_store_dword v18, off, s[16:19], 0 offset:16 ; 4-byte Folded Spill
	s_nop 0
	buffer_store_dword v19, off, s[16:19], 0 offset:20 ; 4-byte Folded Spill
	v_add_u32_e32 v4, 0x6a40, v4
	buffer_store_dword v3, off, s[16:19], 0 offset:28 ; 4-byte Folded Spill
	v_cvt_i32_f64_e32 v3, v[7:8]
	buffer_store_dword v4, off, s[16:19], 0 offset:24 ; 4-byte Folded Spill
	v_cvt_i32_f64_e32 v4, v[5:6]
	v_add_u32_e32 v7, 40, v12
	v_mul_lo_u32 v3, s9, v3
	v_cvt_f64_u32_e32 v[7:8], v7
	v_mul_lo_u32 v4, s9, v4
	v_add_u32_e32 v5, 32, v12
	buffer_store_dword v3, off, s[16:19], 0 offset:36 ; 4-byte Folded Spill
	v_add_u32_e32 v3, 24, v12
	buffer_store_dword v4, off, s[16:19], 0 offset:32 ; 4-byte Folded Spill
	v_cvt_f64_u32_e32 v[3:4], v3
	v_add_u32_e32 v9, 48, v12
	v_add_u32_e32 v11, 56, v12
	v_cvt_f64_u32_e32 v[5:6], v5
	v_min_f64 v[3:4], v[3:4], v[1:2]
	v_cvt_f64_u32_e32 v[9:10], v9
	buffer_store_dword v12, off, s[16:19], 0 offset:44 ; 4-byte Folded Spill
	v_cvt_f64_u32_e32 v[11:12], v11
	v_min_f64 v[7:8], v[7:8], v[1:2]
	v_min_f64 v[5:6], v[5:6], v[1:2]
	s_movk_i32 s0, 0x6800
	v_lshrrev_b32_e32 v21, 3, v0
	v_cvt_i32_f64_e32 v13, v[3:4]
	v_min_f64 v[3:4], v[9:10], v[1:2]
	v_min_f64 v[1:2], v[11:12], v[1:2]
	v_mov_b32_e32 v9, s3
	v_cvt_i32_f64_e32 v7, v[7:8]
	v_cvt_i32_f64_e32 v5, v[5:6]
	v_add_u32_e32 v8, 0x60, v0
	v_add_co_u32_e32 v12, vcc, s2, v79
	v_cvt_i32_f64_e32 v3, v[3:4]
	v_cvt_i32_f64_e32 v1, v[1:2]
	v_mul_lo_u32 v109, s9, v7
	v_add_u32_e32 v7, 64, v0
	v_lshrrev_b32_e32 v8, 1, v8
	v_mul_lo_u32 v107, s9, v13
	v_addc_co_u32_e32 v13, vcc, 0, v9, vcc
	v_lshlrev_b32_e32 v9, 4, v0
	v_and_b32_e32 v8, 0xfc, v8
	v_lshrrev_b32_e32 v7, 1, v7
	v_mul_lo_u32 v108, s9, v5
	v_mul_lo_u32 v110, s9, v3
	;; [unrolled: 1-line block ×3, first 2 shown]
	v_add_u32_e32 v1, 32, v0
	v_add3_u32 v78, v9, v8, s0
	v_and_b32_e32 v7, 0xfc, v7
	s_movk_i32 s0, 0x6600
	v_lshlrev_b32_e32 v104, 7, v20
	v_add3_u32 v10, v9, v7, s0
	v_lshrrev_b32_e32 v1, 1, v1
	v_lshlrev_b32_e32 v7, 2, v21
	v_add_u32_e32 v18, 0x400, v104
	v_add_u32_e32 v19, 0x800, v104
	;; [unrolled: 1-line block ×7, first 2 shown]
	v_and_b32_e32 v1, 0xfc, v1
	s_movk_i32 s0, 0x6400
	v_add3_u32 v72, v9, v7, s14
	v_mov_b32_e32 v7, 0x6a40
	v_mov_b32_e32 v74, 0
	v_add3_u32 v1, v9, v1, s0
	v_lshl_add_u32 v116, v20, 4, v7
	s_mov_b32 s9, 0
	v_add_u32_e32 v117, v14, v15
	v_add_u32_e32 v118, v16, v17
	v_add_u32_e32 v119, v101, v18
	v_add_u32_e32 v120, v101, v19
	v_add_u32_e32 v121, v101, v6
	v_add_u32_e32 v122, v101, v5
	v_add_u32_e32 v123, v101, v2
	v_add_u32_e32 v124, v101, v3
	v_add_u32_e32 v125, v101, v4
	v_mov_b32_e32 v77, 0
	v_mov_b32_e32 v71, 0
	;; [unrolled: 1-line block ×31, first 2 shown]
	buffer_store_dword v20, off, s[16:19], 0 offset:40 ; 4-byte Folded Spill
.LBB165_5:                              ; =>This Loop Header: Depth=1
                                        ;     Child Loop BB165_6 Depth 2
	buffer_load_dword v4, off, s[16:19], 0  ; 4-byte Folded Reload
	buffer_load_dword v6, off, s[16:19], 0 offset:4 ; 4-byte Folded Reload
	buffer_load_dword v8, off, s[16:19], 0 offset:8 ; 4-byte Folded Reload
	s_mul_i32 s0, s9, 34
	s_mul_hi_u32 s1, s9, 34
	s_add_u32 s0, s5, s0
	s_addc_u32 s1, s7, s1
	v_lshrrev_b32_e32 v41, 3, v0
	v_mad_u64_u32 v[2:3], s[14:15], v41, 34, s[0:1]
	v_lshl_add_u32 v33, s4, 6, v99
	v_add_u32_e32 v126, 0x4200, v104
	v_mad_u64_u32 v[14:15], s[14:15], v106, 34, v[2:3]
	v_mad_u64_u32 v[18:19], s[14:15], v82, 34, v[2:3]
	;; [unrolled: 1-line block ×4, first 2 shown]
	v_mov_b32_e32 v127, v116
	v_mov_b32_e32 v115, v72
	;; [unrolled: 1-line block ×5, first 2 shown]
	v_mul_u32_u24_e32 v98, 0x84, v0
	s_waitcnt vmcnt(2)
	v_mad_u64_u32 v[4:5], s[14:15], v4, 34, v[2:3]
	s_waitcnt vmcnt(1)
	v_mad_u64_u32 v[6:7], s[14:15], v6, 34, v[2:3]
	v_add_co_u32_e32 v4, vcc, v4, v79
	s_waitcnt vmcnt(0)
	v_mad_u64_u32 v[8:9], s[14:15], v8, 34, v[2:3]
	v_addc_co_u32_e32 v5, vcc, 0, v5, vcc
	v_add_co_u32_e32 v6, vcc, v6, v79
	v_addc_co_u32_e32 v7, vcc, 0, v7, vcc
	v_add_co_u32_e32 v8, vcc, v8, v79
	;; [unrolled: 2-line block ×3, first 2 shown]
	v_addc_co_u32_e32 v17, vcc, 0, v15, vcc
	v_mad_u64_u32 v[14:15], s[14:15], v80, 34, v[2:3]
	v_add_co_u32_e32 v20, vcc, v14, v79
	v_addc_co_u32_e32 v21, vcc, 0, v15, vcc
	v_mad_u64_u32 v[14:15], s[14:15], v83, 34, v[2:3]
	v_add_co_u32_e32 v18, vcc, v18, v79
	v_addc_co_u32_e32 v19, vcc, 0, v19, vcc
	v_add_co_u32_e32 v24, vcc, v14, v79
	v_addc_co_u32_e32 v25, vcc, 0, v15, vcc
	;; [unrolled: 2-line block ×3, first 2 shown]
	global_load_dword v14, v[4:5], off offset:2
	global_load_dword v11, v[6:7], off offset:2
	s_nop 0
	global_load_dword v9, v[8:9], off offset:2
	s_nop 0
	global_load_dword v8, v[16:17], off offset:2
	global_load_dword v7, v[20:21], off offset:2
	;; [unrolled: 1-line block ×5, first 2 shown]
	buffer_load_dword v29, off, s[16:19], 0 offset:12 ; 4-byte Folded Reload
	v_mad_u64_u32 v[17:18], s[14:15], v91, 34, v[2:3]
	v_add_co_u32_e32 v15, vcc, v26, v79
	v_mad_u64_u32 v[19:20], s[14:15], v92, 34, v[2:3]
	v_addc_co_u32_e32 v16, vcc, 0, v27, vcc
	v_add_co_u32_e32 v17, vcc, v17, v79
	v_mad_u64_u32 v[21:22], s[14:15], v93, 34, v[2:3]
	v_addc_co_u32_e32 v18, vcc, 0, v18, vcc
	;; [unrolled: 3-line block ×5, first 2 shown]
	v_add_co_u32_e32 v25, vcc, v25, v79
	v_addc_co_u32_e32 v26, vcc, 0, v26, vcc
	v_add_co_u32_e32 v27, vcc, v27, v79
	v_addc_co_u32_e32 v28, vcc, 0, v28, vcc
	s_waitcnt vmcnt(0)
	v_mad_u64_u32 v[2:3], s[14:15], v29, 34, v[2:3]
	v_and_b32_e32 v29, 3, v0
	v_mad_u64_u32 v[29:30], s[0:1], v29, 34, s[0:1]
	v_add_co_u32_e32 v2, vcc, v2, v79
	v_addc_co_u32_e32 v3, vcc, 0, v3, vcc
	v_mad_u64_u32 v[31:32], s[0:1], v99, 34, v[29:30]
	v_mad_u64_u32 v[29:30], s[0:1], v33, 34, v[29:30]
	global_load_dword v33, v[15:16], off offset:2
	global_load_dword v34, v[17:18], off offset:2
	;; [unrolled: 1-line block ×8, first 2 shown]
	s_nop 0
	global_load_ushort v31, v[31:32], off
	s_nop 0
	global_load_ushort v32, v[29:30], off
	buffer_load_dword v2, off, s[16:19], 0 offset:16 ; 4-byte Folded Reload
	buffer_load_dword v3, off, s[16:19], 0 offset:20 ; 4-byte Folded Reload
	;; [unrolled: 1-line block ×5, first 2 shown]
	v_add_u32_e32 v29, s9, v41
	v_add_u32_e32 v21, v29, v107
	v_mad_i64_i32 v[21:22], s[0:1], v21, 36, v[12:13]
	v_add_u32_e32 v23, v29, v108
	v_add_u32_e32 v25, v29, v109
	;; [unrolled: 1-line block ×3, first 2 shown]
	v_mad_i64_i32 v[23:24], s[0:1], v23, 36, v[12:13]
	v_mad_i64_i32 v[25:26], s[0:1], v25, 36, v[12:13]
	;; [unrolled: 1-line block ×3, first 2 shown]
	s_waitcnt vmcnt(4)
	v_add_u32_e32 v2, s9, v2
	s_waitcnt vmcnt(3)
	v_mad_u64_u32 v[2:3], s[0:1], v2, 36, s[2:3]
	s_waitcnt vmcnt(2)
	v_add_u32_e32 v15, v29, v15
	v_mad_i64_i32 v[15:16], s[0:1], v15, 36, v[12:13]
	s_waitcnt vmcnt(1)
	v_add_u32_e32 v17, v29, v17
	v_mad_i64_i32 v[17:18], s[0:1], v17, 36, v[12:13]
	;; [unrolled: 3-line block ×3, first 2 shown]
	v_add_u32_e32 v29, v29, v111
	v_mad_i64_i32 v[29:30], s[0:1], v29, 36, v[12:13]
	global_load_dword v15, v[15:16], off offset:4
	s_nop 0
	global_load_dword v16, v[17:18], off offset:4
	s_nop 0
	global_load_dword v17, v[19:20], off offset:4
	global_load_dword v18, v[21:22], off offset:4
	s_nop 0
	global_load_dword v19, v[23:24], off offset:4
	s_nop 0
	global_load_dword v2, v[2:3], off
	s_nop 0
	global_load_dword v3, v[25:26], off offset:4
	global_load_dword v20, v[27:28], off offset:4
	;; [unrolled: 1-line block ×3, first 2 shown]
	ds_write_b32 v81, v14
	v_add_u32_e32 v14, 0x420, v81
	ds_write_b32 v14, v11
	v_add_u32_e32 v11, 0x840, v81
	;; [unrolled: 2-line block ×14, first 2 shown]
	ds_write_b32 v4, v39
	v_cvt_f32_f16_e32 v4, v31
	v_cvt_f32_f16_e32 v5, v32
	v_add_u32_e32 v6, 0x3de0, v81
	ds_write_b32 v6, v40
	ds_write_b32 v117, v4
	;; [unrolled: 1-line block ×3, first 2 shown]
	v_add_u32_e32 v4, v101, v104
	s_mov_b32 s0, -8
	s_waitcnt vmcnt(8)
	ds_write_b32 v4, v15
	s_waitcnt vmcnt(7)
	ds_write_b32 v119, v16
	;; [unrolled: 2-line block ×8, first 2 shown]
	buffer_load_dword v3, off, s[16:19], 0 offset:24 ; 4-byte Folded Reload
	v_cvt_f32_f16_e32 v2, v2
	s_waitcnt vmcnt(0)
	ds_write_b32 v3, v2
	s_waitcnt lgkmcnt(0)
	s_barrier
.LBB165_6:                              ;   Parent Loop BB165_5 Depth=1
                                        ; =>  This Inner Loop Header: Depth=2
	ds_read2_b32 v[46:47], v127 offset1:32
	ds_read_b128 v[6:9], v126
	ds_read_b128 v[2:5], v126 offset:16
	ds_read_b32 v102, v115
	ds_read2_b32 v[14:15], v98 offset1:1
	ds_read2_b32 v[16:17], v98 offset0:2 offset1:3
	ds_read2_b32 v[20:21], v98 offset0:4 offset1:5
	;; [unrolled: 1-line block ×3, first 2 shown]
	s_waitcnt lgkmcnt(4)
	v_mul_f32_e32 v18, v46, v102
	s_waitcnt lgkmcnt(3)
	v_dot4_i32_i8 v11, v14, v6, 0
	v_dot4_i32_i8 v11, v15, v7, v11
	s_waitcnt lgkmcnt(2)
	v_dot4_i32_i8 v11, v16, v8, v11
	v_dot4_i32_i8 v11, v17, v9, v11
	;; [unrolled: 3-line block ×4, first 2 shown]
	v_cvt_f32_i32_e32 v11, v11
	v_add_u32_e32 v24, 0x1088, v98
	v_add_u32_e32 v26, 0x1090, v98
	;; [unrolled: 1-line block ×3, first 2 shown]
	v_fmac_f32_e32 v74, v18, v11
	v_add_u32_e32 v11, 0x1080, v98
	ds_read_b32 v103, v114
	ds_read2_b32 v[18:19], v11 offset1:1
	ds_read2_b32 v[24:25], v24 offset1:1
	;; [unrolled: 1-line block ×4, first 2 shown]
	s_waitcnt lgkmcnt(4)
	v_mul_f32_e32 v28, v46, v103
	s_waitcnt lgkmcnt(3)
	v_dot4_i32_i8 v11, v18, v6, 0
	v_dot4_i32_i8 v11, v19, v7, v11
	s_waitcnt lgkmcnt(2)
	v_dot4_i32_i8 v11, v24, v8, v11
	v_dot4_i32_i8 v11, v25, v9, v11
	;; [unrolled: 3-line block ×4, first 2 shown]
	v_cvt_f32_i32_e32 v11, v11
	v_add_u32_e32 v30, 0x2108, v98
	v_mul_f32_e32 v85, v102, v47
	s_add_i32 s0, s0, 8
	v_fmac_f32_e32 v100, v28, v11
	v_add_u32_e32 v11, 0x2100, v98
	ds_read_b32 v105, v113
	ds_read2_b32 v[28:29], v11 offset1:1
	ds_read2_b32 v[36:37], v30 offset1:1
	v_add_u32_e32 v30, 0x2110, v98
	ds_read2_b32 v[40:41], v30 offset1:1
	v_add_u32_e32 v30, 0x2118, v98
	s_waitcnt lgkmcnt(2)
	v_dot4_i32_i8 v11, v28, v6, 0
	v_dot4_i32_i8 v11, v29, v7, v11
	ds_read2_b32 v[44:45], v30 offset1:1
	s_waitcnt lgkmcnt(2)
	v_dot4_i32_i8 v11, v36, v8, v11
	v_dot4_i32_i8 v11, v37, v9, v11
	s_waitcnt lgkmcnt(1)
	v_dot4_i32_i8 v11, v40, v2, v11
	v_dot4_i32_i8 v11, v41, v3, v11
	;; [unrolled: 3-line block ×3, first 2 shown]
	v_cvt_f32_i32_e32 v11, v11
	v_mul_f32_e32 v30, v46, v105
	v_add_u32_e32 v113, 4, v113
	v_add_u32_e32 v114, 4, v114
	v_fmac_f32_e32 v95, v30, v11
	v_add_u32_e32 v30, 0x3180, v98
	ds_read_b32 v11, v112
	ds_read2_b32 v[42:43], v30 offset1:1
	v_add_u32_e32 v112, 4, v112
	v_add_u32_e32 v115, 4, v115
	s_cmp_lt_u32 s0, 24
	s_waitcnt lgkmcnt(0)
	v_dot4_i32_i8 v6, v42, v6, 0
	v_dot4_i32_i8 v6, v43, v7, v6
	v_add_u32_e32 v7, 0x3188, v98
	ds_read2_b32 v[30:31], v7 offset1:1
	v_add_u32_e32 v7, 0x3190, v98
	ds_read2_b32 v[34:35], v7 offset1:1
	s_waitcnt lgkmcnt(1)
	v_dot4_i32_i8 v6, v30, v8, v6
	v_dot4_i32_i8 v6, v31, v9, v6
	s_waitcnt lgkmcnt(0)
	v_dot4_i32_i8 v2, v34, v2, v6
	v_dot4_i32_i8 v2, v35, v3, v2
	v_add_u32_e32 v3, 0x3198, v98
	ds_read2_b32 v[38:39], v3 offset1:1
	v_mul_f32_e32 v3, v46, v11
	v_add_u32_e32 v98, 32, v98
	s_waitcnt lgkmcnt(0)
	v_dot4_i32_i8 v2, v38, v4, v2
	v_dot4_i32_i8 v2, v39, v5, v2
	v_cvt_f32_i32_e32 v2, v2
	v_fmac_f32_e32 v84, v3, v2
	ds_read_b128 v[2:5], v126 offset:1024
	ds_read_b128 v[6:9], v126 offset:1040
	s_waitcnt lgkmcnt(1)
	v_dot4_i32_i8 v46, v14, v2, 0
	v_dot4_i32_i8 v46, v15, v3, v46
	;; [unrolled: 1-line block ×4, first 2 shown]
	s_waitcnt lgkmcnt(0)
	v_dot4_i32_i8 v46, v20, v6, v46
	v_dot4_i32_i8 v46, v21, v7, v46
	;; [unrolled: 1-line block ×4, first 2 shown]
	v_cvt_f32_i32_e32 v46, v46
	v_fmac_f32_e32 v77, v85, v46
	v_dot4_i32_i8 v46, v18, v2, 0
	v_dot4_i32_i8 v46, v19, v3, v46
	;; [unrolled: 1-line block ×8, first 2 shown]
	v_cvt_f32_i32_e32 v46, v46
	v_mul_f32_e32 v85, v103, v47
	v_fmac_f32_e32 v76, v85, v46
	v_dot4_i32_i8 v46, v28, v2, 0
	v_dot4_i32_i8 v2, v42, v2, 0
	;; [unrolled: 1-line block ×16, first 2 shown]
	v_cvt_f32_i32_e32 v46, v46
	v_cvt_f32_i32_e32 v2, v2
	v_mul_f32_e32 v85, v105, v47
	v_mul_f32_e32 v3, v11, v47
	v_fmac_f32_e32 v75, v85, v46
	v_fmac_f32_e32 v73, v3, v2
	ds_read2_b32 v[2:3], v127 offset0:64 offset1:96
	ds_read_b128 v[4:7], v126 offset:2048
	ds_read_b128 v[85:88], v126 offset:2064
	s_waitcnt lgkmcnt(2)
	v_mul_f32_e32 v9, v102, v2
	s_waitcnt lgkmcnt(1)
	v_dot4_i32_i8 v8, v14, v4, 0
	v_dot4_i32_i8 v8, v15, v5, v8
	;; [unrolled: 1-line block ×4, first 2 shown]
	s_waitcnt lgkmcnt(0)
	v_dot4_i32_i8 v8, v20, v85, v8
	v_dot4_i32_i8 v8, v21, v86, v8
	;; [unrolled: 1-line block ×4, first 2 shown]
	v_cvt_f32_i32_e32 v8, v8
	v_fmac_f32_e32 v71, v9, v8
	v_dot4_i32_i8 v8, v18, v4, 0
	v_dot4_i32_i8 v8, v19, v5, v8
	;; [unrolled: 1-line block ×8, first 2 shown]
	v_cvt_f32_i32_e32 v8, v8
	v_mul_f32_e32 v9, v103, v2
	v_fmac_f32_e32 v70, v9, v8
	v_dot4_i32_i8 v8, v28, v4, 0
	v_dot4_i32_i8 v4, v42, v4, 0
	;; [unrolled: 1-line block ×12, first 2 shown]
	v_cvt_f32_i32_e32 v4, v4
	v_dot4_i32_i8 v8, v40, v85, v8
	v_dot4_i32_i8 v8, v41, v86, v8
	;; [unrolled: 1-line block ×3, first 2 shown]
	v_mul_f32_e32 v9, v105, v2
	v_mul_f32_e32 v2, v11, v2
	v_dot4_i32_i8 v8, v45, v88, v8
	v_fmac_f32_e32 v68, v2, v4
	ds_read_b128 v[4:7], v126 offset:3072
	ds_read_b128 v[85:88], v126 offset:3088
	v_cvt_f32_i32_e32 v8, v8
	s_waitcnt lgkmcnt(1)
	v_dot4_i32_i8 v2, v14, v4, 0
	v_dot4_i32_i8 v2, v15, v5, v2
	;; [unrolled: 1-line block ×4, first 2 shown]
	s_waitcnt lgkmcnt(0)
	v_dot4_i32_i8 v2, v20, v85, v2
	v_dot4_i32_i8 v2, v21, v86, v2
	;; [unrolled: 1-line block ×4, first 2 shown]
	v_cvt_f32_i32_e32 v2, v2
	v_fmac_f32_e32 v69, v9, v8
	v_mul_f32_e32 v8, v102, v3
	v_fmac_f32_e32 v67, v8, v2
	v_dot4_i32_i8 v2, v18, v4, 0
	v_dot4_i32_i8 v2, v19, v5, v2
	;; [unrolled: 1-line block ×8, first 2 shown]
	v_cvt_f32_i32_e32 v2, v2
	v_mul_f32_e32 v8, v103, v3
	v_fmac_f32_e32 v66, v8, v2
	v_dot4_i32_i8 v2, v28, v4, 0
	v_dot4_i32_i8 v2, v29, v5, v2
	v_dot4_i32_i8 v2, v36, v6, v2
	v_dot4_i32_i8 v2, v37, v7, v2
	v_dot4_i32_i8 v2, v40, v85, v2
	v_dot4_i32_i8 v2, v41, v86, v2
	v_dot4_i32_i8 v2, v44, v87, v2
	v_dot4_i32_i8 v2, v45, v88, v2
	v_cvt_f32_i32_e32 v2, v2
	v_mul_f32_e32 v8, v105, v3
	v_mul_f32_e32 v3, v11, v3
	v_fmac_f32_e32 v65, v8, v2
	v_dot4_i32_i8 v2, v42, v4, 0
	v_dot4_i32_i8 v2, v43, v5, v2
	;; [unrolled: 1-line block ×8, first 2 shown]
	v_cvt_f32_i32_e32 v2, v2
	v_fmac_f32_e32 v64, v3, v2
	ds_read2_b32 v[46:47], v127 offset0:128 offset1:160
	ds_read_b128 v[2:5], v126 offset:4096
	ds_read_b128 v[6:9], v126 offset:4112
	s_waitcnt lgkmcnt(2)
	v_mul_f32_e32 v86, v102, v46
	s_waitcnt lgkmcnt(1)
	v_dot4_i32_i8 v85, v14, v2, 0
	v_dot4_i32_i8 v85, v15, v3, v85
	;; [unrolled: 1-line block ×4, first 2 shown]
	s_waitcnt lgkmcnt(0)
	v_dot4_i32_i8 v85, v20, v6, v85
	v_dot4_i32_i8 v85, v21, v7, v85
	;; [unrolled: 1-line block ×4, first 2 shown]
	v_cvt_f32_i32_e32 v85, v85
	v_fmac_f32_e32 v63, v86, v85
	v_dot4_i32_i8 v85, v18, v2, 0
	v_dot4_i32_i8 v85, v19, v3, v85
	;; [unrolled: 1-line block ×8, first 2 shown]
	v_cvt_f32_i32_e32 v85, v85
	v_mul_f32_e32 v86, v103, v46
	v_fmac_f32_e32 v62, v86, v85
	v_dot4_i32_i8 v85, v28, v2, 0
	v_dot4_i32_i8 v2, v42, v2, 0
	;; [unrolled: 1-line block ×12, first 2 shown]
	v_cvt_f32_i32_e32 v2, v2
	v_dot4_i32_i8 v85, v40, v6, v85
	v_dot4_i32_i8 v85, v41, v7, v85
	;; [unrolled: 1-line block ×3, first 2 shown]
	v_mul_f32_e32 v3, v11, v46
	v_dot4_i32_i8 v85, v45, v9, v85
	v_fmac_f32_e32 v60, v3, v2
	ds_read_b128 v[6:9], v126 offset:5120
	ds_read_b128 v[2:5], v126 offset:5136
	v_mul_f32_e32 v86, v105, v46
	v_cvt_f32_i32_e32 v85, v85
	s_waitcnt lgkmcnt(1)
	v_dot4_i32_i8 v46, v14, v6, 0
	v_dot4_i32_i8 v46, v15, v7, v46
	;; [unrolled: 1-line block ×4, first 2 shown]
	s_waitcnt lgkmcnt(0)
	v_dot4_i32_i8 v46, v20, v2, v46
	v_dot4_i32_i8 v46, v21, v3, v46
	;; [unrolled: 1-line block ×4, first 2 shown]
	v_cvt_f32_i32_e32 v46, v46
	v_fmac_f32_e32 v61, v86, v85
	v_mul_f32_e32 v85, v102, v47
	v_fmac_f32_e32 v59, v85, v46
	v_dot4_i32_i8 v46, v18, v6, 0
	v_dot4_i32_i8 v46, v19, v7, v46
	;; [unrolled: 1-line block ×8, first 2 shown]
	v_cvt_f32_i32_e32 v46, v46
	v_mul_f32_e32 v85, v103, v47
	v_fmac_f32_e32 v58, v85, v46
	v_dot4_i32_i8 v46, v28, v6, 0
	v_dot4_i32_i8 v6, v42, v6, 0
	;; [unrolled: 1-line block ×16, first 2 shown]
	v_cvt_f32_i32_e32 v46, v46
	v_cvt_f32_i32_e32 v2, v2
	v_mul_f32_e32 v85, v105, v47
	v_mul_f32_e32 v3, v11, v47
	v_fmac_f32_e32 v57, v85, v46
	v_fmac_f32_e32 v56, v3, v2
	ds_read2_b32 v[46:47], v127 offset0:192 offset1:224
	ds_read_b128 v[2:5], v126 offset:6144
	ds_read_b128 v[6:9], v126 offset:6160
	v_add_u32_e32 v127, 4, v127
	s_waitcnt lgkmcnt(2)
	v_mul_f32_e32 v86, v102, v46
	s_waitcnt lgkmcnt(1)
	v_dot4_i32_i8 v85, v14, v2, 0
	v_dot4_i32_i8 v85, v15, v3, v85
	;; [unrolled: 1-line block ×4, first 2 shown]
	s_waitcnt lgkmcnt(0)
	v_dot4_i32_i8 v85, v20, v6, v85
	v_dot4_i32_i8 v85, v21, v7, v85
	;; [unrolled: 1-line block ×4, first 2 shown]
	v_cvt_f32_i32_e32 v85, v85
	v_fmac_f32_e32 v55, v86, v85
	v_dot4_i32_i8 v85, v18, v2, 0
	v_dot4_i32_i8 v85, v19, v3, v85
	;; [unrolled: 1-line block ×8, first 2 shown]
	v_cvt_f32_i32_e32 v85, v85
	v_mul_f32_e32 v86, v103, v46
	v_fmac_f32_e32 v54, v86, v85
	v_dot4_i32_i8 v85, v28, v2, 0
	v_dot4_i32_i8 v2, v42, v2, 0
	;; [unrolled: 1-line block ×12, first 2 shown]
	v_cvt_f32_i32_e32 v2, v2
	v_dot4_i32_i8 v85, v40, v6, v85
	v_dot4_i32_i8 v85, v41, v7, v85
	;; [unrolled: 1-line block ×3, first 2 shown]
	v_mul_f32_e32 v3, v11, v46
	v_dot4_i32_i8 v85, v45, v9, v85
	v_fmac_f32_e32 v52, v3, v2
	ds_read_b128 v[6:9], v126 offset:7168
	ds_read_b128 v[2:5], v126 offset:7184
	v_cvt_f32_i32_e32 v85, v85
	v_mul_f32_e32 v86, v105, v46
	v_add_u32_e32 v126, 32, v126
	s_waitcnt lgkmcnt(1)
	v_dot4_i32_i8 v14, v14, v6, 0
	v_dot4_i32_i8 v14, v15, v7, v14
	;; [unrolled: 1-line block ×4, first 2 shown]
	s_waitcnt lgkmcnt(0)
	v_dot4_i32_i8 v14, v20, v2, v14
	v_dot4_i32_i8 v14, v21, v3, v14
	;; [unrolled: 1-line block ×4, first 2 shown]
	v_cvt_f32_i32_e32 v14, v14
	v_mul_f32_e32 v15, v102, v47
	v_fmac_f32_e32 v53, v86, v85
	v_fmac_f32_e32 v51, v15, v14
	v_dot4_i32_i8 v14, v18, v6, 0
	v_dot4_i32_i8 v14, v19, v7, v14
	;; [unrolled: 1-line block ×8, first 2 shown]
	v_cvt_f32_i32_e32 v14, v14
	v_mul_f32_e32 v15, v103, v47
	v_fmac_f32_e32 v50, v15, v14
	v_dot4_i32_i8 v14, v28, v6, 0
	v_dot4_i32_i8 v6, v42, v6, 0
	;; [unrolled: 1-line block ×16, first 2 shown]
	v_cvt_f32_i32_e32 v14, v14
	v_cvt_f32_i32_e32 v2, v2
	v_mul_f32_e32 v15, v105, v47
	v_mul_f32_e32 v3, v11, v47
	v_fmac_f32_e32 v49, v15, v14
	v_fmac_f32_e32 v48, v3, v2
	s_cbranch_scc1 .LBB165_6
; %bb.7:                                ;   in Loop: Header=BB165_5 Depth=1
	s_add_i32 s9, s9, 4
	s_cmp_ge_i32 s9, s4
	s_barrier
	s_cbranch_scc0 .LBB165_5
; %bb.8:
	buffer_load_dword v1, off, s[16:19], 0 offset:44 ; 4-byte Folded Reload
	buffer_load_dword v20, off, s[16:19], 0 offset:40 ; 4-byte Folded Reload
.LBB165_9:
	s_waitcnt vmcnt(1)
	v_cmp_gt_u32_e32 vcc, s8, v1
	s_and_saveexec_b64 s[0:1], vcc
	s_cbranch_execz .LBB165_60
; %bb.10:
	v_mul_lo_u32 v4, v1, s10
	v_add_u32_e32 v0, s6, v0
	v_cmp_gt_u32_e64 s[0:1], s10, v0
	s_and_saveexec_b64 s[2:3], s[0:1]
	s_cbranch_execz .LBB165_12
; %bb.11:
	v_bfe_u32 v1, v74, 16, 1
	s_movk_i32 s4, 0x7fff
	v_add3_u32 v1, v74, v1, s4
	v_cmp_o_f32_e32 vcc, v74, v74
	v_mov_b32_e32 v2, 0x7fc0
	v_cndmask_b32_sdwa v3, v2, v1, vcc dst_sel:DWORD dst_unused:UNUSED_PAD src0_sel:DWORD src1_sel:WORD_1
	v_add_u32_e32 v1, v0, v4
	v_mov_b32_e32 v2, 0
	v_lshlrev_b64 v[1:2], 1, v[1:2]
	s_waitcnt lgkmcnt(0)
	v_mov_b32_e32 v5, s13
	v_add_co_u32_e32 v1, vcc, s12, v1
	v_addc_co_u32_e32 v2, vcc, v5, v2, vcc
	global_store_short v[1:2], v3, off
.LBB165_12:
	s_or_b64 exec, exec, s[2:3]
	v_add_u32_e32 v1, 32, v0
	v_cmp_gt_u32_e64 s[2:3], s10, v1
	s_and_saveexec_b64 s[4:5], s[2:3]
	s_cbranch_execz .LBB165_14
; %bb.13:
	v_bfe_u32 v2, v100, 16, 1
	s_movk_i32 s6, 0x7fff
	v_add3_u32 v2, v100, v2, s6
	v_cmp_o_f32_e32 vcc, v100, v100
	v_mov_b32_e32 v3, 0x7fc0
	v_cndmask_b32_sdwa v5, v3, v2, vcc dst_sel:DWORD dst_unused:UNUSED_PAD src0_sel:DWORD src1_sel:WORD_1
	v_add_u32_e32 v2, v1, v4
	v_mov_b32_e32 v3, 0
	v_lshlrev_b64 v[2:3], 1, v[2:3]
	s_waitcnt lgkmcnt(0)
	v_mov_b32_e32 v6, s13
	v_add_co_u32_e32 v2, vcc, s12, v2
	v_addc_co_u32_e32 v3, vcc, v6, v3, vcc
	global_store_short v[2:3], v5, off
.LBB165_14:
	s_or_b64 exec, exec, s[4:5]
	;; [unrolled: 21-line block ×4, first 2 shown]
	s_waitcnt vmcnt(0)
	v_add3_u32 v4, v20, s11, 8
	v_cmp_gt_u32_e32 vcc, s8, v4
	s_and_b64 exec, exec, vcc
	s_cbranch_execz .LBB165_60
; %bb.19:
	v_mul_lo_u32 v4, v4, s10
	s_and_saveexec_b64 s[14:15], s[0:1]
	s_cbranch_execnz .LBB165_61
; %bb.20:
	s_or_b64 exec, exec, s[14:15]
	s_and_saveexec_b64 s[14:15], s[2:3]
	s_cbranch_execnz .LBB165_62
.LBB165_21:
	s_or_b64 exec, exec, s[14:15]
	s_and_saveexec_b64 s[14:15], s[4:5]
	s_cbranch_execnz .LBB165_63
.LBB165_22:
	s_or_b64 exec, exec, s[14:15]
	s_and_saveexec_b64 s[14:15], s[6:7]
	s_cbranch_execz .LBB165_24
.LBB165_23:
	v_bfe_u32 v5, v73, 16, 1
	s_movk_i32 s9, 0x7fff
	v_add3_u32 v5, v73, v5, s9
	v_cmp_o_f32_e32 vcc, v73, v73
	v_mov_b32_e32 v6, 0x7fc0
	v_cndmask_b32_sdwa v6, v6, v5, vcc dst_sel:DWORD dst_unused:UNUSED_PAD src0_sel:DWORD src1_sel:WORD_1
	v_add_u32_e32 v4, v4, v3
	v_mov_b32_e32 v5, 0
	v_lshlrev_b64 v[4:5], 1, v[4:5]
	s_waitcnt lgkmcnt(0)
	v_mov_b32_e32 v7, s13
	v_add_co_u32_e32 v4, vcc, s12, v4
	v_addc_co_u32_e32 v5, vcc, v7, v5, vcc
	global_store_short v[4:5], v6, off
.LBB165_24:
	s_or_b64 exec, exec, s[14:15]
	v_add3_u32 v4, v20, s11, 16
	v_cmp_gt_u32_e32 vcc, s8, v4
	s_and_b64 exec, exec, vcc
	s_cbranch_execz .LBB165_60
; %bb.25:
	v_mul_lo_u32 v4, v4, s10
	s_and_saveexec_b64 s[14:15], s[0:1]
	s_cbranch_execnz .LBB165_64
; %bb.26:
	s_or_b64 exec, exec, s[14:15]
	s_and_saveexec_b64 s[14:15], s[2:3]
	s_cbranch_execnz .LBB165_65
.LBB165_27:
	s_or_b64 exec, exec, s[14:15]
	s_and_saveexec_b64 s[14:15], s[4:5]
	s_cbranch_execnz .LBB165_66
.LBB165_28:
	s_or_b64 exec, exec, s[14:15]
	s_and_saveexec_b64 s[14:15], s[6:7]
	s_cbranch_execz .LBB165_30
.LBB165_29:
	v_bfe_u32 v5, v68, 16, 1
	s_movk_i32 s9, 0x7fff
	v_add3_u32 v5, v68, v5, s9
	v_cmp_o_f32_e32 vcc, v68, v68
	v_mov_b32_e32 v6, 0x7fc0
	v_cndmask_b32_sdwa v6, v6, v5, vcc dst_sel:DWORD dst_unused:UNUSED_PAD src0_sel:DWORD src1_sel:WORD_1
	v_add_u32_e32 v4, v4, v3
	v_mov_b32_e32 v5, 0
	v_lshlrev_b64 v[4:5], 1, v[4:5]
	s_waitcnt lgkmcnt(0)
	v_mov_b32_e32 v7, s13
	v_add_co_u32_e32 v4, vcc, s12, v4
	v_addc_co_u32_e32 v5, vcc, v7, v5, vcc
	global_store_short v[4:5], v6, off
.LBB165_30:
	s_or_b64 exec, exec, s[14:15]
	v_add3_u32 v4, v20, s11, 24
	v_cmp_gt_u32_e32 vcc, s8, v4
	s_and_b64 exec, exec, vcc
	s_cbranch_execz .LBB165_60
; %bb.31:
	v_mul_lo_u32 v4, v4, s10
	s_and_saveexec_b64 s[14:15], s[0:1]
	s_cbranch_execnz .LBB165_67
; %bb.32:
	s_or_b64 exec, exec, s[14:15]
	s_and_saveexec_b64 s[14:15], s[2:3]
	s_cbranch_execnz .LBB165_68
.LBB165_33:
	s_or_b64 exec, exec, s[14:15]
	s_and_saveexec_b64 s[14:15], s[4:5]
	s_cbranch_execnz .LBB165_69
.LBB165_34:
	s_or_b64 exec, exec, s[14:15]
	s_and_saveexec_b64 s[14:15], s[6:7]
	s_cbranch_execz .LBB165_36
.LBB165_35:
	v_bfe_u32 v5, v64, 16, 1
	s_movk_i32 s9, 0x7fff
	v_add3_u32 v5, v64, v5, s9
	v_cmp_o_f32_e32 vcc, v64, v64
	v_mov_b32_e32 v6, 0x7fc0
	v_cndmask_b32_sdwa v6, v6, v5, vcc dst_sel:DWORD dst_unused:UNUSED_PAD src0_sel:DWORD src1_sel:WORD_1
	v_add_u32_e32 v4, v4, v3
	v_mov_b32_e32 v5, 0
	v_lshlrev_b64 v[4:5], 1, v[4:5]
	s_waitcnt lgkmcnt(0)
	v_mov_b32_e32 v7, s13
	v_add_co_u32_e32 v4, vcc, s12, v4
	v_addc_co_u32_e32 v5, vcc, v7, v5, vcc
	global_store_short v[4:5], v6, off
.LBB165_36:
	s_or_b64 exec, exec, s[14:15]
	v_add3_u32 v4, v20, s11, 32
	v_cmp_gt_u32_e32 vcc, s8, v4
	s_and_b64 exec, exec, vcc
	s_cbranch_execz .LBB165_60
; %bb.37:
	v_mul_lo_u32 v4, v4, s10
	s_and_saveexec_b64 s[14:15], s[0:1]
	s_cbranch_execnz .LBB165_70
; %bb.38:
	s_or_b64 exec, exec, s[14:15]
	s_and_saveexec_b64 s[14:15], s[2:3]
	s_cbranch_execnz .LBB165_71
.LBB165_39:
	s_or_b64 exec, exec, s[14:15]
	s_and_saveexec_b64 s[14:15], s[4:5]
	s_cbranch_execnz .LBB165_72
.LBB165_40:
	s_or_b64 exec, exec, s[14:15]
	s_and_saveexec_b64 s[14:15], s[6:7]
	s_cbranch_execz .LBB165_42
.LBB165_41:
	v_bfe_u32 v5, v60, 16, 1
	s_movk_i32 s9, 0x7fff
	v_add3_u32 v5, v60, v5, s9
	v_cmp_o_f32_e32 vcc, v60, v60
	v_mov_b32_e32 v6, 0x7fc0
	v_cndmask_b32_sdwa v6, v6, v5, vcc dst_sel:DWORD dst_unused:UNUSED_PAD src0_sel:DWORD src1_sel:WORD_1
	v_add_u32_e32 v4, v4, v3
	v_mov_b32_e32 v5, 0
	v_lshlrev_b64 v[4:5], 1, v[4:5]
	s_waitcnt lgkmcnt(0)
	v_mov_b32_e32 v7, s13
	v_add_co_u32_e32 v4, vcc, s12, v4
	v_addc_co_u32_e32 v5, vcc, v7, v5, vcc
	global_store_short v[4:5], v6, off
.LBB165_42:
	s_or_b64 exec, exec, s[14:15]
	v_add3_u32 v4, v20, s11, 40
	v_cmp_gt_u32_e32 vcc, s8, v4
	s_and_b64 exec, exec, vcc
	s_cbranch_execz .LBB165_60
; %bb.43:
	v_mul_lo_u32 v4, v4, s10
	s_and_saveexec_b64 s[14:15], s[0:1]
	s_cbranch_execnz .LBB165_73
; %bb.44:
	s_or_b64 exec, exec, s[14:15]
	s_and_saveexec_b64 s[14:15], s[2:3]
	s_cbranch_execnz .LBB165_74
.LBB165_45:
	s_or_b64 exec, exec, s[14:15]
	s_and_saveexec_b64 s[14:15], s[4:5]
	s_cbranch_execnz .LBB165_75
.LBB165_46:
	s_or_b64 exec, exec, s[14:15]
	s_and_saveexec_b64 s[14:15], s[6:7]
	s_cbranch_execz .LBB165_48
.LBB165_47:
	v_bfe_u32 v5, v56, 16, 1
	s_movk_i32 s9, 0x7fff
	v_add3_u32 v5, v56, v5, s9
	v_cmp_o_f32_e32 vcc, v56, v56
	v_mov_b32_e32 v6, 0x7fc0
	v_cndmask_b32_sdwa v6, v6, v5, vcc dst_sel:DWORD dst_unused:UNUSED_PAD src0_sel:DWORD src1_sel:WORD_1
	v_add_u32_e32 v4, v4, v3
	v_mov_b32_e32 v5, 0
	v_lshlrev_b64 v[4:5], 1, v[4:5]
	s_waitcnt lgkmcnt(0)
	v_mov_b32_e32 v7, s13
	v_add_co_u32_e32 v4, vcc, s12, v4
	v_addc_co_u32_e32 v5, vcc, v7, v5, vcc
	global_store_short v[4:5], v6, off
.LBB165_48:
	s_or_b64 exec, exec, s[14:15]
	v_add3_u32 v4, v20, s11, 48
	v_cmp_gt_u32_e32 vcc, s8, v4
	s_and_b64 exec, exec, vcc
	s_cbranch_execz .LBB165_60
; %bb.49:
	v_mul_lo_u32 v4, v4, s10
	s_and_saveexec_b64 s[14:15], s[0:1]
	s_cbranch_execnz .LBB165_76
; %bb.50:
	s_or_b64 exec, exec, s[14:15]
	s_and_saveexec_b64 s[14:15], s[2:3]
	s_cbranch_execnz .LBB165_77
.LBB165_51:
	s_or_b64 exec, exec, s[14:15]
	s_and_saveexec_b64 s[14:15], s[4:5]
	s_cbranch_execnz .LBB165_78
.LBB165_52:
	s_or_b64 exec, exec, s[14:15]
	s_and_saveexec_b64 s[14:15], s[6:7]
	s_cbranch_execz .LBB165_54
.LBB165_53:
	v_bfe_u32 v5, v52, 16, 1
	s_movk_i32 s9, 0x7fff
	v_add3_u32 v5, v52, v5, s9
	v_cmp_o_f32_e32 vcc, v52, v52
	v_mov_b32_e32 v6, 0x7fc0
	v_cndmask_b32_sdwa v6, v6, v5, vcc dst_sel:DWORD dst_unused:UNUSED_PAD src0_sel:DWORD src1_sel:WORD_1
	v_add_u32_e32 v4, v4, v3
	v_mov_b32_e32 v5, 0
	v_lshlrev_b64 v[4:5], 1, v[4:5]
	s_waitcnt lgkmcnt(0)
	v_mov_b32_e32 v7, s13
	v_add_co_u32_e32 v4, vcc, s12, v4
	v_addc_co_u32_e32 v5, vcc, v7, v5, vcc
	global_store_short v[4:5], v6, off
.LBB165_54:
	s_or_b64 exec, exec, s[14:15]
	v_add3_u32 v4, v20, s11, 56
	v_cmp_gt_u32_e32 vcc, s8, v4
	s_and_b64 exec, exec, vcc
	s_cbranch_execz .LBB165_60
; %bb.55:
	v_mul_lo_u32 v4, v4, s10
	s_and_saveexec_b64 s[8:9], s[0:1]
	s_cbranch_execnz .LBB165_79
; %bb.56:
	s_or_b64 exec, exec, s[8:9]
	s_and_saveexec_b64 s[0:1], s[2:3]
	s_cbranch_execnz .LBB165_80
.LBB165_57:
	s_or_b64 exec, exec, s[0:1]
	s_and_saveexec_b64 s[0:1], s[4:5]
	s_cbranch_execnz .LBB165_81
.LBB165_58:
	s_or_b64 exec, exec, s[0:1]
	s_and_b64 exec, exec, s[6:7]
	s_cbranch_execz .LBB165_60
.LBB165_59:
	v_bfe_u32 v0, v48, 16, 1
	s_movk_i32 s0, 0x7fff
	v_add3_u32 v0, v48, v0, s0
	v_cmp_o_f32_e32 vcc, v48, v48
	v_mov_b32_e32 v1, 0x7fc0
	v_cndmask_b32_sdwa v2, v1, v0, vcc dst_sel:DWORD dst_unused:UNUSED_PAD src0_sel:DWORD src1_sel:WORD_1
	v_add_u32_e32 v0, v4, v3
	v_mov_b32_e32 v1, 0
	v_lshlrev_b64 v[0:1], 1, v[0:1]
	s_waitcnt lgkmcnt(0)
	v_mov_b32_e32 v3, s13
	v_add_co_u32_e32 v0, vcc, s12, v0
	v_addc_co_u32_e32 v1, vcc, v3, v1, vcc
	global_store_short v[0:1], v2, off
.LBB165_60:
	s_endpgm
.LBB165_61:
	v_bfe_u32 v5, v77, 16, 1
	s_movk_i32 s9, 0x7fff
	v_add3_u32 v5, v77, v5, s9
	v_cmp_o_f32_e32 vcc, v77, v77
	v_mov_b32_e32 v6, 0x7fc0
	v_cndmask_b32_sdwa v7, v6, v5, vcc dst_sel:DWORD dst_unused:UNUSED_PAD src0_sel:DWORD src1_sel:WORD_1
	v_add_u32_e32 v5, v4, v0
	v_mov_b32_e32 v6, 0
	v_lshlrev_b64 v[5:6], 1, v[5:6]
	s_waitcnt lgkmcnt(0)
	v_mov_b32_e32 v8, s13
	v_add_co_u32_e32 v5, vcc, s12, v5
	v_addc_co_u32_e32 v6, vcc, v8, v6, vcc
	global_store_short v[5:6], v7, off
	s_or_b64 exec, exec, s[14:15]
	s_and_saveexec_b64 s[14:15], s[2:3]
	s_cbranch_execz .LBB165_21
.LBB165_62:
	v_bfe_u32 v5, v76, 16, 1
	s_movk_i32 s9, 0x7fff
	v_add3_u32 v5, v76, v5, s9
	v_cmp_o_f32_e32 vcc, v76, v76
	v_mov_b32_e32 v6, 0x7fc0
	v_cndmask_b32_sdwa v7, v6, v5, vcc dst_sel:DWORD dst_unused:UNUSED_PAD src0_sel:DWORD src1_sel:WORD_1
	v_add_u32_e32 v5, v4, v1
	v_mov_b32_e32 v6, 0
	v_lshlrev_b64 v[5:6], 1, v[5:6]
	s_waitcnt lgkmcnt(0)
	v_mov_b32_e32 v8, s13
	v_add_co_u32_e32 v5, vcc, s12, v5
	v_addc_co_u32_e32 v6, vcc, v8, v6, vcc
	global_store_short v[5:6], v7, off
	s_or_b64 exec, exec, s[14:15]
	s_and_saveexec_b64 s[14:15], s[4:5]
	s_cbranch_execz .LBB165_22
.LBB165_63:
	v_bfe_u32 v5, v75, 16, 1
	s_movk_i32 s9, 0x7fff
	v_add3_u32 v5, v75, v5, s9
	v_cmp_o_f32_e32 vcc, v75, v75
	v_mov_b32_e32 v6, 0x7fc0
	v_cndmask_b32_sdwa v7, v6, v5, vcc dst_sel:DWORD dst_unused:UNUSED_PAD src0_sel:DWORD src1_sel:WORD_1
	v_add_u32_e32 v5, v4, v2
	v_mov_b32_e32 v6, 0
	v_lshlrev_b64 v[5:6], 1, v[5:6]
	s_waitcnt lgkmcnt(0)
	v_mov_b32_e32 v8, s13
	v_add_co_u32_e32 v5, vcc, s12, v5
	v_addc_co_u32_e32 v6, vcc, v8, v6, vcc
	global_store_short v[5:6], v7, off
	s_or_b64 exec, exec, s[14:15]
	s_and_saveexec_b64 s[14:15], s[6:7]
	s_cbranch_execnz .LBB165_23
	s_branch .LBB165_24
.LBB165_64:
	v_bfe_u32 v5, v71, 16, 1
	s_movk_i32 s9, 0x7fff
	v_add3_u32 v5, v71, v5, s9
	v_cmp_o_f32_e32 vcc, v71, v71
	v_mov_b32_e32 v6, 0x7fc0
	v_cndmask_b32_sdwa v7, v6, v5, vcc dst_sel:DWORD dst_unused:UNUSED_PAD src0_sel:DWORD src1_sel:WORD_1
	v_add_u32_e32 v5, v4, v0
	v_mov_b32_e32 v6, 0
	v_lshlrev_b64 v[5:6], 1, v[5:6]
	s_waitcnt lgkmcnt(0)
	v_mov_b32_e32 v8, s13
	v_add_co_u32_e32 v5, vcc, s12, v5
	v_addc_co_u32_e32 v6, vcc, v8, v6, vcc
	global_store_short v[5:6], v7, off
	s_or_b64 exec, exec, s[14:15]
	s_and_saveexec_b64 s[14:15], s[2:3]
	s_cbranch_execz .LBB165_27
.LBB165_65:
	v_bfe_u32 v5, v70, 16, 1
	s_movk_i32 s9, 0x7fff
	v_add3_u32 v5, v70, v5, s9
	v_cmp_o_f32_e32 vcc, v70, v70
	v_mov_b32_e32 v6, 0x7fc0
	v_cndmask_b32_sdwa v7, v6, v5, vcc dst_sel:DWORD dst_unused:UNUSED_PAD src0_sel:DWORD src1_sel:WORD_1
	v_add_u32_e32 v5, v4, v1
	v_mov_b32_e32 v6, 0
	v_lshlrev_b64 v[5:6], 1, v[5:6]
	s_waitcnt lgkmcnt(0)
	v_mov_b32_e32 v8, s13
	v_add_co_u32_e32 v5, vcc, s12, v5
	v_addc_co_u32_e32 v6, vcc, v8, v6, vcc
	global_store_short v[5:6], v7, off
	s_or_b64 exec, exec, s[14:15]
	s_and_saveexec_b64 s[14:15], s[4:5]
	s_cbranch_execz .LBB165_28
.LBB165_66:
	v_bfe_u32 v5, v69, 16, 1
	s_movk_i32 s9, 0x7fff
	v_add3_u32 v5, v69, v5, s9
	v_cmp_o_f32_e32 vcc, v69, v69
	v_mov_b32_e32 v6, 0x7fc0
	v_cndmask_b32_sdwa v7, v6, v5, vcc dst_sel:DWORD dst_unused:UNUSED_PAD src0_sel:DWORD src1_sel:WORD_1
	v_add_u32_e32 v5, v4, v2
	v_mov_b32_e32 v6, 0
	v_lshlrev_b64 v[5:6], 1, v[5:6]
	s_waitcnt lgkmcnt(0)
	v_mov_b32_e32 v8, s13
	v_add_co_u32_e32 v5, vcc, s12, v5
	v_addc_co_u32_e32 v6, vcc, v8, v6, vcc
	global_store_short v[5:6], v7, off
	s_or_b64 exec, exec, s[14:15]
	s_and_saveexec_b64 s[14:15], s[6:7]
	s_cbranch_execnz .LBB165_29
	s_branch .LBB165_30
.LBB165_67:
	v_bfe_u32 v5, v67, 16, 1
	s_movk_i32 s9, 0x7fff
	v_add3_u32 v5, v67, v5, s9
	v_cmp_o_f32_e32 vcc, v67, v67
	v_mov_b32_e32 v6, 0x7fc0
	v_cndmask_b32_sdwa v7, v6, v5, vcc dst_sel:DWORD dst_unused:UNUSED_PAD src0_sel:DWORD src1_sel:WORD_1
	v_add_u32_e32 v5, v4, v0
	v_mov_b32_e32 v6, 0
	v_lshlrev_b64 v[5:6], 1, v[5:6]
	s_waitcnt lgkmcnt(0)
	v_mov_b32_e32 v8, s13
	v_add_co_u32_e32 v5, vcc, s12, v5
	v_addc_co_u32_e32 v6, vcc, v8, v6, vcc
	global_store_short v[5:6], v7, off
	s_or_b64 exec, exec, s[14:15]
	s_and_saveexec_b64 s[14:15], s[2:3]
	s_cbranch_execz .LBB165_33
.LBB165_68:
	v_bfe_u32 v5, v66, 16, 1
	s_movk_i32 s9, 0x7fff
	v_add3_u32 v5, v66, v5, s9
	v_cmp_o_f32_e32 vcc, v66, v66
	v_mov_b32_e32 v6, 0x7fc0
	v_cndmask_b32_sdwa v7, v6, v5, vcc dst_sel:DWORD dst_unused:UNUSED_PAD src0_sel:DWORD src1_sel:WORD_1
	v_add_u32_e32 v5, v4, v1
	v_mov_b32_e32 v6, 0
	v_lshlrev_b64 v[5:6], 1, v[5:6]
	s_waitcnt lgkmcnt(0)
	v_mov_b32_e32 v8, s13
	v_add_co_u32_e32 v5, vcc, s12, v5
	v_addc_co_u32_e32 v6, vcc, v8, v6, vcc
	global_store_short v[5:6], v7, off
	s_or_b64 exec, exec, s[14:15]
	s_and_saveexec_b64 s[14:15], s[4:5]
	s_cbranch_execz .LBB165_34
.LBB165_69:
	v_bfe_u32 v5, v65, 16, 1
	s_movk_i32 s9, 0x7fff
	v_add3_u32 v5, v65, v5, s9
	v_cmp_o_f32_e32 vcc, v65, v65
	v_mov_b32_e32 v6, 0x7fc0
	v_cndmask_b32_sdwa v7, v6, v5, vcc dst_sel:DWORD dst_unused:UNUSED_PAD src0_sel:DWORD src1_sel:WORD_1
	v_add_u32_e32 v5, v4, v2
	v_mov_b32_e32 v6, 0
	v_lshlrev_b64 v[5:6], 1, v[5:6]
	s_waitcnt lgkmcnt(0)
	v_mov_b32_e32 v8, s13
	v_add_co_u32_e32 v5, vcc, s12, v5
	v_addc_co_u32_e32 v6, vcc, v8, v6, vcc
	global_store_short v[5:6], v7, off
	s_or_b64 exec, exec, s[14:15]
	s_and_saveexec_b64 s[14:15], s[6:7]
	s_cbranch_execnz .LBB165_35
	s_branch .LBB165_36
.LBB165_70:
	v_bfe_u32 v5, v63, 16, 1
	s_movk_i32 s9, 0x7fff
	v_add3_u32 v5, v63, v5, s9
	v_cmp_o_f32_e32 vcc, v63, v63
	v_mov_b32_e32 v6, 0x7fc0
	v_cndmask_b32_sdwa v7, v6, v5, vcc dst_sel:DWORD dst_unused:UNUSED_PAD src0_sel:DWORD src1_sel:WORD_1
	v_add_u32_e32 v5, v4, v0
	v_mov_b32_e32 v6, 0
	v_lshlrev_b64 v[5:6], 1, v[5:6]
	s_waitcnt lgkmcnt(0)
	v_mov_b32_e32 v8, s13
	v_add_co_u32_e32 v5, vcc, s12, v5
	v_addc_co_u32_e32 v6, vcc, v8, v6, vcc
	global_store_short v[5:6], v7, off
	s_or_b64 exec, exec, s[14:15]
	s_and_saveexec_b64 s[14:15], s[2:3]
	s_cbranch_execz .LBB165_39
.LBB165_71:
	v_bfe_u32 v5, v62, 16, 1
	s_movk_i32 s9, 0x7fff
	v_add3_u32 v5, v62, v5, s9
	v_cmp_o_f32_e32 vcc, v62, v62
	v_mov_b32_e32 v6, 0x7fc0
	v_cndmask_b32_sdwa v7, v6, v5, vcc dst_sel:DWORD dst_unused:UNUSED_PAD src0_sel:DWORD src1_sel:WORD_1
	v_add_u32_e32 v5, v4, v1
	v_mov_b32_e32 v6, 0
	v_lshlrev_b64 v[5:6], 1, v[5:6]
	s_waitcnt lgkmcnt(0)
	v_mov_b32_e32 v8, s13
	v_add_co_u32_e32 v5, vcc, s12, v5
	v_addc_co_u32_e32 v6, vcc, v8, v6, vcc
	global_store_short v[5:6], v7, off
	s_or_b64 exec, exec, s[14:15]
	s_and_saveexec_b64 s[14:15], s[4:5]
	s_cbranch_execz .LBB165_40
.LBB165_72:
	v_bfe_u32 v5, v61, 16, 1
	s_movk_i32 s9, 0x7fff
	v_add3_u32 v5, v61, v5, s9
	v_cmp_o_f32_e32 vcc, v61, v61
	v_mov_b32_e32 v6, 0x7fc0
	v_cndmask_b32_sdwa v7, v6, v5, vcc dst_sel:DWORD dst_unused:UNUSED_PAD src0_sel:DWORD src1_sel:WORD_1
	v_add_u32_e32 v5, v4, v2
	v_mov_b32_e32 v6, 0
	v_lshlrev_b64 v[5:6], 1, v[5:6]
	s_waitcnt lgkmcnt(0)
	v_mov_b32_e32 v8, s13
	v_add_co_u32_e32 v5, vcc, s12, v5
	v_addc_co_u32_e32 v6, vcc, v8, v6, vcc
	global_store_short v[5:6], v7, off
	s_or_b64 exec, exec, s[14:15]
	s_and_saveexec_b64 s[14:15], s[6:7]
	s_cbranch_execnz .LBB165_41
	s_branch .LBB165_42
.LBB165_73:
	v_bfe_u32 v5, v59, 16, 1
	s_movk_i32 s9, 0x7fff
	v_add3_u32 v5, v59, v5, s9
	v_cmp_o_f32_e32 vcc, v59, v59
	v_mov_b32_e32 v6, 0x7fc0
	v_cndmask_b32_sdwa v7, v6, v5, vcc dst_sel:DWORD dst_unused:UNUSED_PAD src0_sel:DWORD src1_sel:WORD_1
	v_add_u32_e32 v5, v4, v0
	v_mov_b32_e32 v6, 0
	v_lshlrev_b64 v[5:6], 1, v[5:6]
	s_waitcnt lgkmcnt(0)
	v_mov_b32_e32 v8, s13
	v_add_co_u32_e32 v5, vcc, s12, v5
	v_addc_co_u32_e32 v6, vcc, v8, v6, vcc
	global_store_short v[5:6], v7, off
	s_or_b64 exec, exec, s[14:15]
	s_and_saveexec_b64 s[14:15], s[2:3]
	s_cbranch_execz .LBB165_45
.LBB165_74:
	v_bfe_u32 v5, v58, 16, 1
	s_movk_i32 s9, 0x7fff
	v_add3_u32 v5, v58, v5, s9
	v_cmp_o_f32_e32 vcc, v58, v58
	v_mov_b32_e32 v6, 0x7fc0
	v_cndmask_b32_sdwa v7, v6, v5, vcc dst_sel:DWORD dst_unused:UNUSED_PAD src0_sel:DWORD src1_sel:WORD_1
	v_add_u32_e32 v5, v4, v1
	v_mov_b32_e32 v6, 0
	v_lshlrev_b64 v[5:6], 1, v[5:6]
	s_waitcnt lgkmcnt(0)
	v_mov_b32_e32 v8, s13
	v_add_co_u32_e32 v5, vcc, s12, v5
	v_addc_co_u32_e32 v6, vcc, v8, v6, vcc
	global_store_short v[5:6], v7, off
	s_or_b64 exec, exec, s[14:15]
	s_and_saveexec_b64 s[14:15], s[4:5]
	s_cbranch_execz .LBB165_46
.LBB165_75:
	v_bfe_u32 v5, v57, 16, 1
	s_movk_i32 s9, 0x7fff
	v_add3_u32 v5, v57, v5, s9
	v_cmp_o_f32_e32 vcc, v57, v57
	v_mov_b32_e32 v6, 0x7fc0
	v_cndmask_b32_sdwa v7, v6, v5, vcc dst_sel:DWORD dst_unused:UNUSED_PAD src0_sel:DWORD src1_sel:WORD_1
	v_add_u32_e32 v5, v4, v2
	v_mov_b32_e32 v6, 0
	v_lshlrev_b64 v[5:6], 1, v[5:6]
	s_waitcnt lgkmcnt(0)
	v_mov_b32_e32 v8, s13
	v_add_co_u32_e32 v5, vcc, s12, v5
	v_addc_co_u32_e32 v6, vcc, v8, v6, vcc
	global_store_short v[5:6], v7, off
	s_or_b64 exec, exec, s[14:15]
	s_and_saveexec_b64 s[14:15], s[6:7]
	s_cbranch_execnz .LBB165_47
	s_branch .LBB165_48
.LBB165_76:
	v_bfe_u32 v5, v55, 16, 1
	s_movk_i32 s9, 0x7fff
	v_add3_u32 v5, v55, v5, s9
	v_cmp_o_f32_e32 vcc, v55, v55
	v_mov_b32_e32 v6, 0x7fc0
	v_cndmask_b32_sdwa v7, v6, v5, vcc dst_sel:DWORD dst_unused:UNUSED_PAD src0_sel:DWORD src1_sel:WORD_1
	v_add_u32_e32 v5, v4, v0
	v_mov_b32_e32 v6, 0
	v_lshlrev_b64 v[5:6], 1, v[5:6]
	s_waitcnt lgkmcnt(0)
	v_mov_b32_e32 v8, s13
	v_add_co_u32_e32 v5, vcc, s12, v5
	v_addc_co_u32_e32 v6, vcc, v8, v6, vcc
	global_store_short v[5:6], v7, off
	s_or_b64 exec, exec, s[14:15]
	s_and_saveexec_b64 s[14:15], s[2:3]
	s_cbranch_execz .LBB165_51
.LBB165_77:
	v_bfe_u32 v5, v54, 16, 1
	s_movk_i32 s9, 0x7fff
	v_add3_u32 v5, v54, v5, s9
	v_cmp_o_f32_e32 vcc, v54, v54
	v_mov_b32_e32 v6, 0x7fc0
	v_cndmask_b32_sdwa v7, v6, v5, vcc dst_sel:DWORD dst_unused:UNUSED_PAD src0_sel:DWORD src1_sel:WORD_1
	v_add_u32_e32 v5, v4, v1
	v_mov_b32_e32 v6, 0
	v_lshlrev_b64 v[5:6], 1, v[5:6]
	s_waitcnt lgkmcnt(0)
	v_mov_b32_e32 v8, s13
	v_add_co_u32_e32 v5, vcc, s12, v5
	v_addc_co_u32_e32 v6, vcc, v8, v6, vcc
	global_store_short v[5:6], v7, off
	s_or_b64 exec, exec, s[14:15]
	s_and_saveexec_b64 s[14:15], s[4:5]
	s_cbranch_execz .LBB165_52
.LBB165_78:
	v_bfe_u32 v5, v53, 16, 1
	s_movk_i32 s9, 0x7fff
	v_add3_u32 v5, v53, v5, s9
	v_cmp_o_f32_e32 vcc, v53, v53
	v_mov_b32_e32 v6, 0x7fc0
	v_cndmask_b32_sdwa v7, v6, v5, vcc dst_sel:DWORD dst_unused:UNUSED_PAD src0_sel:DWORD src1_sel:WORD_1
	v_add_u32_e32 v5, v4, v2
	v_mov_b32_e32 v6, 0
	v_lshlrev_b64 v[5:6], 1, v[5:6]
	s_waitcnt lgkmcnt(0)
	v_mov_b32_e32 v8, s13
	v_add_co_u32_e32 v5, vcc, s12, v5
	v_addc_co_u32_e32 v6, vcc, v8, v6, vcc
	global_store_short v[5:6], v7, off
	s_or_b64 exec, exec, s[14:15]
	s_and_saveexec_b64 s[14:15], s[6:7]
	s_cbranch_execnz .LBB165_53
	s_branch .LBB165_54
.LBB165_79:
	v_bfe_u32 v5, v51, 16, 1
	s_movk_i32 s0, 0x7fff
	v_add3_u32 v5, v51, v5, s0
	v_cmp_o_f32_e32 vcc, v51, v51
	v_mov_b32_e32 v6, 0x7fc0
	v_cndmask_b32_sdwa v7, v6, v5, vcc dst_sel:DWORD dst_unused:UNUSED_PAD src0_sel:DWORD src1_sel:WORD_1
	v_add_u32_e32 v5, v4, v0
	v_mov_b32_e32 v6, 0
	v_lshlrev_b64 v[5:6], 1, v[5:6]
	s_waitcnt lgkmcnt(0)
	v_mov_b32_e32 v0, s13
	v_add_co_u32_e32 v5, vcc, s12, v5
	v_addc_co_u32_e32 v6, vcc, v0, v6, vcc
	global_store_short v[5:6], v7, off
	s_or_b64 exec, exec, s[8:9]
	s_and_saveexec_b64 s[0:1], s[2:3]
	s_cbranch_execz .LBB165_57
.LBB165_80:
	v_bfe_u32 v0, v50, 16, 1
	s_movk_i32 s2, 0x7fff
	v_add3_u32 v0, v50, v0, s2
	v_cmp_o_f32_e32 vcc, v50, v50
	v_mov_b32_e32 v5, 0x7fc0
	v_cndmask_b32_sdwa v5, v5, v0, vcc dst_sel:DWORD dst_unused:UNUSED_PAD src0_sel:DWORD src1_sel:WORD_1
	v_add_u32_e32 v0, v4, v1
	v_mov_b32_e32 v1, 0
	v_lshlrev_b64 v[0:1], 1, v[0:1]
	s_waitcnt lgkmcnt(0)
	v_mov_b32_e32 v6, s13
	v_add_co_u32_e32 v0, vcc, s12, v0
	v_addc_co_u32_e32 v1, vcc, v6, v1, vcc
	global_store_short v[0:1], v5, off
	s_or_b64 exec, exec, s[0:1]
	s_and_saveexec_b64 s[0:1], s[4:5]
	s_cbranch_execz .LBB165_58
.LBB165_81:
	v_bfe_u32 v0, v49, 16, 1
	s_movk_i32 s2, 0x7fff
	v_add3_u32 v0, v49, v0, s2
	v_cmp_o_f32_e32 vcc, v49, v49
	v_mov_b32_e32 v1, 0x7fc0
	v_cndmask_b32_sdwa v5, v1, v0, vcc dst_sel:DWORD dst_unused:UNUSED_PAD src0_sel:DWORD src1_sel:WORD_1
	v_add_u32_e32 v0, v4, v2
	v_mov_b32_e32 v1, 0
	v_lshlrev_b64 v[0:1], 1, v[0:1]
	s_waitcnt lgkmcnt(0)
	v_mov_b32_e32 v2, s13
	v_add_co_u32_e32 v0, vcc, s12, v0
	v_addc_co_u32_e32 v1, vcc, v2, v1, vcc
	global_store_short v[0:1], v5, off
	s_or_b64 exec, exec, s[0:1]
	s_and_b64 exec, exec, s[6:7]
	s_cbranch_execnz .LBB165_59
	s_branch .LBB165_60
	.section	.rodata,"a",@progbits
	.p2align	6, 0x0
	.amdhsa_kernel _ZL12mul_mat_q8_0IN3c108BFloat16ELb0EEvPKvS3_PT_iiiii
		.amdhsa_group_segment_fixed_size 28224
		.amdhsa_private_segment_fixed_size 52
		.amdhsa_kernarg_size 44
		.amdhsa_user_sgpr_count 6
		.amdhsa_user_sgpr_private_segment_buffer 1
		.amdhsa_user_sgpr_dispatch_ptr 0
		.amdhsa_user_sgpr_queue_ptr 0
		.amdhsa_user_sgpr_kernarg_segment_ptr 1
		.amdhsa_user_sgpr_dispatch_id 0
		.amdhsa_user_sgpr_flat_scratch_init 0
		.amdhsa_user_sgpr_private_segment_size 0
		.amdhsa_uses_dynamic_stack 0
		.amdhsa_system_sgpr_private_segment_wavefront_offset 1
		.amdhsa_system_sgpr_workgroup_id_x 1
		.amdhsa_system_sgpr_workgroup_id_y 1
		.amdhsa_system_sgpr_workgroup_id_z 0
		.amdhsa_system_sgpr_workgroup_info 0
		.amdhsa_system_vgpr_workitem_id 1
		.amdhsa_next_free_vgpr 128
		.amdhsa_next_free_sgpr 98
		.amdhsa_reserve_vcc 1
		.amdhsa_reserve_flat_scratch 0
		.amdhsa_float_round_mode_32 0
		.amdhsa_float_round_mode_16_64 0
		.amdhsa_float_denorm_mode_32 3
		.amdhsa_float_denorm_mode_16_64 3
		.amdhsa_dx10_clamp 1
		.amdhsa_ieee_mode 1
		.amdhsa_fp16_overflow 0
		.amdhsa_exception_fp_ieee_invalid_op 0
		.amdhsa_exception_fp_denorm_src 0
		.amdhsa_exception_fp_ieee_div_zero 0
		.amdhsa_exception_fp_ieee_overflow 0
		.amdhsa_exception_fp_ieee_underflow 0
		.amdhsa_exception_fp_ieee_inexact 0
		.amdhsa_exception_int_div_zero 0
	.end_amdhsa_kernel
	.section	.text._ZL12mul_mat_q8_0IN3c108BFloat16ELb0EEvPKvS3_PT_iiiii,"axG",@progbits,_ZL12mul_mat_q8_0IN3c108BFloat16ELb0EEvPKvS3_PT_iiiii,comdat
.Lfunc_end165:
	.size	_ZL12mul_mat_q8_0IN3c108BFloat16ELb0EEvPKvS3_PT_iiiii, .Lfunc_end165-_ZL12mul_mat_q8_0IN3c108BFloat16ELb0EEvPKvS3_PT_iiiii
                                        ; -- End function
	.set _ZL12mul_mat_q8_0IN3c108BFloat16ELb0EEvPKvS3_PT_iiiii.num_vgpr, 128
	.set _ZL12mul_mat_q8_0IN3c108BFloat16ELb0EEvPKvS3_PT_iiiii.num_agpr, 0
	.set _ZL12mul_mat_q8_0IN3c108BFloat16ELb0EEvPKvS3_PT_iiiii.numbered_sgpr, 20
	.set _ZL12mul_mat_q8_0IN3c108BFloat16ELb0EEvPKvS3_PT_iiiii.num_named_barrier, 0
	.set _ZL12mul_mat_q8_0IN3c108BFloat16ELb0EEvPKvS3_PT_iiiii.private_seg_size, 52
	.set _ZL12mul_mat_q8_0IN3c108BFloat16ELb0EEvPKvS3_PT_iiiii.uses_vcc, 1
	.set _ZL12mul_mat_q8_0IN3c108BFloat16ELb0EEvPKvS3_PT_iiiii.uses_flat_scratch, 0
	.set _ZL12mul_mat_q8_0IN3c108BFloat16ELb0EEvPKvS3_PT_iiiii.has_dyn_sized_stack, 0
	.set _ZL12mul_mat_q8_0IN3c108BFloat16ELb0EEvPKvS3_PT_iiiii.has_recursion, 0
	.set _ZL12mul_mat_q8_0IN3c108BFloat16ELb0EEvPKvS3_PT_iiiii.has_indirect_call, 0
	.section	.AMDGPU.csdata,"",@progbits
; Kernel info:
; codeLenInByte = 9008
; TotalNumSgprs: 24
; NumVgprs: 128
; ScratchSize: 52
; MemoryBound: 0
; FloatMode: 240
; IeeeMode: 1
; LDSByteSize: 28224 bytes/workgroup (compile time only)
; SGPRBlocks: 12
; VGPRBlocks: 31
; NumSGPRsForWavesPerEU: 102
; NumVGPRsForWavesPerEU: 128
; Occupancy: 2
; WaveLimiterHint : 0
; COMPUTE_PGM_RSRC2:SCRATCH_EN: 1
; COMPUTE_PGM_RSRC2:USER_SGPR: 6
; COMPUTE_PGM_RSRC2:TRAP_HANDLER: 0
; COMPUTE_PGM_RSRC2:TGID_X_EN: 1
; COMPUTE_PGM_RSRC2:TGID_Y_EN: 1
; COMPUTE_PGM_RSRC2:TGID_Z_EN: 0
; COMPUTE_PGM_RSRC2:TIDIG_COMP_CNT: 1
	.section	.text._ZL12mul_mat_q8_0IN3c108BFloat16ELb1EEvPKvS3_PT_iiiii,"axG",@progbits,_ZL12mul_mat_q8_0IN3c108BFloat16ELb1EEvPKvS3_PT_iiiii,comdat
	.globl	_ZL12mul_mat_q8_0IN3c108BFloat16ELb1EEvPKvS3_PT_iiiii ; -- Begin function _ZL12mul_mat_q8_0IN3c108BFloat16ELb1EEvPKvS3_PT_iiiii
	.p2align	8
	.type	_ZL12mul_mat_q8_0IN3c108BFloat16ELb1EEvPKvS3_PT_iiiii,@function
_ZL12mul_mat_q8_0IN3c108BFloat16ELb1EEvPKvS3_PT_iiiii: ; @_ZL12mul_mat_q8_0IN3c108BFloat16ELb1EEvPKvS3_PT_iiiii
; %bb.0:
	s_mov_b64 s[22:23], s[2:3]
	s_mov_b64 s[20:21], s[0:1]
	s_add_u32 s20, s20, s8
	s_load_dwordx4 s[8:11], s[4:5], 0x18
	s_load_dword s14, s[4:5], 0x28
	s_addc_u32 s21, s21, 0
	v_mov_b32_e32 v30, v1
	s_lshl_b32 s15, s7, 6
	s_waitcnt lgkmcnt(0)
	s_cmp_gt_i32 s8, 31
	v_add_u32_e32 v29, s15, v30
	s_cbranch_scc1 .LBB166_2
; %bb.1:
	v_add_u32_e32 v1, s15, v30
	s_mov_b64 s[0:1], 0
	s_branch .LBB166_3
.LBB166_2:
	s_mov_b64 s[0:1], -1
                                        ; implicit-def: $vgpr1
.LBB166_3:
	s_load_dwordx2 s[12:13], s[4:5], 0x10
	s_lshl_b32 s6, s6, 7
	v_mov_b32_e32 v64, 0
	s_andn2_b64 vcc, exec, s[0:1]
	v_mov_b32_e32 v68, 0
	v_mov_b32_e32 v72, 0
	;; [unrolled: 1-line block ×31, first 2 shown]
	s_cbranch_vccnz .LBB166_9
; %bb.4:
	s_load_dwordx4 s[0:3], s[4:5], 0x0
	s_ashr_i32 s4, s8, 31
	s_lshr_b32 s4, s4, 27
	s_ashr_i32 s5, s11, 31
	s_add_i32 s4, s8, s4
	s_lshr_b32 s5, s5, 27
	s_ashr_i32 s4, s4, 5
	s_add_i32 s5, s11, s5
	s_ashr_i32 s8, s5, 5
	s_mul_i32 s5, s4, s6
	s_mul_hi_i32 s7, s5, 34
	s_mul_i32 s5, s5, 34
	s_waitcnt lgkmcnt(0)
	s_add_u32 s5, s0, s5
	s_addc_u32 s7, s1, s7
	s_not_b32 s0, s6
	s_add_i32 s9, s9, s0
	v_min_i32_e32 v2, s9, v30
	v_mul_lo_u32 v3, v2, s4
	v_lshlrev_b32_e32 v1, 2, v0
	s_movk_i32 s11, 0x84
	v_add_u32_e32 v9, 8, v30
	buffer_store_dword v3, off, s[20:23], 0 ; 4-byte Folded Spill
	v_mad_u64_u32 v[2:3], s[0:1], v2, s11, v[1:2]
	buffer_store_dword v2, off, s[20:23], 0 offset:4 ; 4-byte Folded Spill
	s_nop 0
	buffer_store_dword v3, off, s[20:23], 0 offset:8 ; 4-byte Folded Spill
	v_min_i32_e32 v2, s9, v9
	v_mul_lo_u32 v3, v2, s4
	v_add_u32_e32 v10, 16, v30
	v_add_u32_e32 v13, 24, v30
	;; [unrolled: 1-line block ×3, first 2 shown]
	buffer_store_dword v3, off, s[20:23], 0 offset:12 ; 4-byte Folded Spill
	v_mad_u64_u32 v[2:3], s[0:1], v2, s11, v[1:2]
	buffer_store_dword v2, off, s[20:23], 0 offset:16 ; 4-byte Folded Spill
	s_nop 0
	buffer_store_dword v3, off, s[20:23], 0 offset:20 ; 4-byte Folded Spill
	v_min_i32_e32 v2, s9, v10
	v_mul_lo_u32 v3, v2, s4
	v_add_u32_e32 v15, 40, v30
	v_add_u32_e32 v16, 48, v30
	;; [unrolled: 1-line block ×3, first 2 shown]
	buffer_store_dword v3, off, s[20:23], 0 offset:24 ; 4-byte Folded Spill
	v_mad_u64_u32 v[2:3], s[0:1], v2, s11, v[1:2]
	buffer_store_dword v2, off, s[20:23], 0 offset:28 ; 4-byte Folded Spill
	s_nop 0
	buffer_store_dword v3, off, s[20:23], 0 offset:32 ; 4-byte Folded Spill
	v_min_i32_e32 v2, s9, v13
	v_mul_lo_u32 v3, v2, s4
	v_and_b32_e32 v94, 28, v1
	v_and_b32_e32 v23, 3, v0
	v_lshlrev_b32_e32 v11, 2, v23
	buffer_store_dword v3, off, s[20:23], 0 offset:36 ; 4-byte Folded Spill
	v_mad_u64_u32 v[2:3], s[0:1], v2, s11, v[1:2]
	buffer_store_dword v2, off, s[20:23], 0 offset:40 ; 4-byte Folded Spill
	s_nop 0
	buffer_store_dword v3, off, s[20:23], 0 offset:44 ; 4-byte Folded Spill
	v_min_i32_e32 v2, s9, v14
	v_mul_lo_u32 v3, v2, s4
	v_and_b32_e32 v6, 31, v0
	v_mov_b32_e32 v7, 0x4200
	v_lshl_or_b32 v117, v6, 2, v7
	buffer_store_dword v3, off, s[20:23], 0 offset:48 ; 4-byte Folded Spill
	v_mad_u64_u32 v[2:3], s[0:1], v2, s11, v[1:2]
	buffer_store_dword v2, off, s[20:23], 0 offset:52 ; 4-byte Folded Spill
	s_nop 0
	buffer_store_dword v3, off, s[20:23], 0 offset:56 ; 4-byte Folded Spill
	v_min_i32_e32 v2, s9, v15
	v_mul_lo_u32 v3, v2, s4
	v_add_u32_e32 v7, 16, v29
	v_cvt_f64_u32_e32 v[7:8], v7
	v_mov_b32_e32 v108, v23
	buffer_store_dword v3, off, s[20:23], 0 offset:60 ; 4-byte Folded Spill
	v_mad_u64_u32 v[2:3], s[0:1], v2, s11, v[1:2]
	buffer_store_dword v2, off, s[20:23], 0 offset:64 ; 4-byte Folded Spill
	s_nop 0
	buffer_store_dword v3, off, s[20:23], 0 offset:68 ; 4-byte Folded Spill
	v_min_i32_e32 v2, s9, v16
	v_mul_lo_u32 v3, v2, s4
	v_lshrrev_b32_e32 v31, 3, v0
	v_mov_b32_e32 v89, 0
	v_lshlrev_b32_e32 v120, 7, v30
	buffer_store_dword v3, off, s[20:23], 0 offset:72 ; 4-byte Folded Spill
	v_mad_u64_u32 v[2:3], s[0:1], v2, s11, v[1:2]
	buffer_store_dword v2, off, s[20:23], 0 offset:76 ; 4-byte Folded Spill
	s_nop 0
	buffer_store_dword v3, off, s[20:23], 0 offset:80 ; 4-byte Folded Spill
	v_min_i32_e32 v2, s9, v17
	v_mul_lo_u32 v3, v2, s4
	v_mov_b32_e32 v97, 0
	v_mov_b32_e32 v88, 0
	v_mov_b32_e32 v83, 0
	buffer_store_dword v3, off, s[20:23], 0 offset:84 ; 4-byte Folded Spill
	v_mad_u64_u32 v[2:3], s[0:1], v2, s11, v[1:2]
	buffer_store_dword v2, off, s[20:23], 0 offset:88 ; 4-byte Folded Spill
	s_nop 0
	buffer_store_dword v3, off, s[20:23], 0 offset:92 ; 4-byte Folded Spill
	v_add_u32_e32 v2, 64, v30
	v_min_i32_e32 v2, s9, v2
	v_mul_lo_u32 v3, v2, s4
	v_mov_b32_e32 v79, 0
	v_mov_b32_e32 v75, 0
	v_mov_b32_e32 v71, 0
	buffer_store_dword v3, off, s[20:23], 0 offset:96 ; 4-byte Folded Spill
	v_mad_u64_u32 v[2:3], s[0:1], v2, s11, v[1:2]
	buffer_store_dword v2, off, s[20:23], 0 offset:100 ; 4-byte Folded Spill
	s_nop 0
	buffer_store_dword v3, off, s[20:23], 0 offset:104 ; 4-byte Folded Spill
	v_add_u32_e32 v2, 0x48, v30
	;; [unrolled: 11-line block ×5, first 2 shown]
	v_min_i32_e32 v2, s9, v2
	v_mul_lo_u32 v3, v2, s4
	v_mad_u64_u32 v[109:110], s[0:1], v2, s11, v[1:2]
	v_add_u32_e32 v2, 0x68, v30
	v_min_i32_e32 v2, s9, v2
	buffer_store_dword v3, off, s[20:23], 0 offset:144 ; 4-byte Folded Spill
	v_mul_lo_u32 v3, v2, s4
	v_mov_b32_e32 v110, v31
	v_mov_b32_e32 v112, 0
	;; [unrolled: 1-line block ×3, first 2 shown]
	buffer_store_dword v3, off, s[20:23], 0 offset:148 ; 4-byte Folded Spill
	v_mad_u64_u32 v[2:3], s[0:1], v2, s11, v[1:2]
	buffer_store_dword v2, off, s[20:23], 0 offset:152 ; 4-byte Folded Spill
	s_nop 0
	buffer_store_dword v3, off, s[20:23], 0 offset:156 ; 4-byte Folded Spill
	v_add_u32_e32 v2, 0x70, v30
	v_min_i32_e32 v2, s9, v2
	v_mul_lo_u32 v111, v2, s4
	v_mad_u64_u32 v[24:25], s[0:1], v2, s11, v[1:2]
	v_add_u32_e32 v2, 0x78, v30
	v_min_i32_e32 v2, s9, v2
	v_mad_u64_u32 v[25:26], s[0:1], v2, s11, v[1:2]
	v_lshrrev_b32_e32 v1, 2, v0
	v_lshl_add_u32 v5, v30, 3, v1
	v_min_i32_e32 v1, s9, v5
	v_mul_lo_u32 v113, v2, s4
	v_ashrrev_i32_e32 v2, 31, v1
	v_lshrrev_b32_e32 v2, 29, v2
	v_add_u32_e32 v2, v1, v2
	v_mul_lo_u32 v114, v1, s4
	v_ashrrev_i32_e32 v2, 3, v2
	v_lshlrev_b32_e32 v19, 4, v1
	v_add_u32_e32 v1, 64, v5
	v_lshlrev_b32_e32 v2, 2, v2
	s_movk_i32 s11, 0x6200
	v_min_i32_e32 v1, s9, v1
	v_add3_u32 v18, v2, v11, s11
	v_ashrrev_i32_e32 v2, 31, v1
	v_lshrrev_b32_e32 v2, 29, v2
	v_add_u32_e32 v2, v1, v2
	v_ashrrev_i32_e32 v2, 3, v2
	v_lshlrev_b32_e32 v2, 2, v2
	s_add_i32 s0, s10, -1
	v_mul_lo_u32 v115, v1, s4
	v_add3_u32 v20, v2, v11, s11
	v_lshlrev_b32_e32 v21, 4, v1
	v_cvt_f64_i32_e32 v[1:2], s0
	v_cvt_f64_u32_e32 v[3:4], v29
	v_and_b32_e32 v12, 63, v5
	v_add_u32_e32 v5, 8, v29
	v_cvt_f64_u32_e32 v[5:6], v5
	v_min_f64 v[3:4], v[3:4], v[1:2]
	v_min_f64 v[7:8], v[7:8], v[1:2]
	v_or_b32_e32 v22, s15, v12
	v_min_f64 v[5:6], v[5:6], v[1:2]
	v_min_i32_e32 v22, s0, v22
	v_mad_u64_u32 v[27:28], s[0:1], v22, s8, v[23:24]
	v_lshlrev_b32_e32 v22, 7, v9
	v_cvt_i32_f64_e32 v3, v[3:4]
	v_lshl_or_b32 v4, v12, 4, v11
	v_add_u32_e32 v118, 0x6a40, v4
	v_cvt_i32_f64_e32 v4, v[5:6]
	v_mul_lo_u32 v119, s8, v3
	v_cvt_i32_f64_e32 v3, v[7:8]
	v_add_u32_e32 v7, 40, v29
	v_mul_lo_u32 v121, s8, v4
	v_cvt_f64_u32_e32 v[7:8], v7
	v_mul_lo_u32 v122, s8, v3
	v_add_u32_e32 v3, 24, v29
	v_cvt_f64_u32_e32 v[3:4], v3
	v_add_u32_e32 v5, 32, v29
	v_add_u32_e32 v9, 48, v29
	;; [unrolled: 1-line block ×3, first 2 shown]
	v_min_f64 v[3:4], v[3:4], v[1:2]
	v_cvt_f64_u32_e32 v[5:6], v5
	v_lshlrev_b32_e32 v23, 7, v10
	v_cvt_f64_u32_e32 v[9:10], v9
	v_cvt_f64_u32_e32 v[11:12], v11
	v_min_f64 v[7:8], v[7:8], v[1:2]
	v_min_f64 v[5:6], v[5:6], v[1:2]
	v_add_co_u32_e32 v28, vcc, s2, v94
	v_cvt_i32_f64_e32 v26, v[3:4]
	v_min_f64 v[3:4], v[9:10], v[1:2]
	v_min_f64 v[1:2], v[11:12], v[1:2]
	v_mov_b32_e32 v9, s3
	v_cvt_i32_f64_e32 v7, v[7:8]
	v_cvt_i32_f64_e32 v5, v[5:6]
	v_add_u32_e32 v8, 0x60, v0
	v_lshrrev_b32_e32 v8, 1, v8
	v_mul_lo_u32 v125, s8, v7
	v_cvt_i32_f64_e32 v3, v[3:4]
	v_cvt_i32_f64_e32 v1, v[1:2]
	v_add_u32_e32 v7, 64, v0
	buffer_store_dword v29, off, s[20:23], 0 offset:160 ; 4-byte Folded Spill
	v_add_u32_e32 v4, 32, v0
	v_addc_co_u32_e32 v29, vcc, 0, v9, vcc
	v_lshlrev_b32_e32 v9, 4, v0
	v_and_b32_e32 v8, 0xfc, v8
	s_movk_i32 s0, 0x6800
	v_lshrrev_b32_e32 v7, 1, v7
	v_mul_lo_u32 v127, s8, v1
	v_lshlrev_b32_e32 v1, 7, v17
	v_add3_u32 v17, v9, v8, s0
	v_and_b32_e32 v7, 0xfc, v7
	s_movk_i32 s0, 0x6600
	v_lshrrev_b32_e32 v4, 1, v4
	v_mul_lo_u32 v123, s8, v26
	v_mul_lo_u32 v124, s8, v5
	;; [unrolled: 1-line block ×3, first 2 shown]
	v_add3_u32 v103, v9, v7, s0
	v_and_b32_e32 v4, 0xfc, v4
	s_movk_i32 s0, 0x6400
	v_lshlrev_b32_e32 v3, 7, v16
	v_add3_u32 v16, v9, v4, s0
	v_lshlrev_b32_e32 v4, 2, v31
	v_lshlrev_b32_e32 v6, 7, v13
	v_lshlrev_b32_e32 v5, 7, v14
	v_lshlrev_b32_e32 v2, 7, v15
	v_add3_u32 v102, v9, v4, s11
	v_mov_b32_e32 v4, 0x6a40
	v_lshl_add_u32 v15, v30, 4, v4
	s_mov_b32 s8, 0
	v_add_u32_e32 v10, v18, v19
	v_add_u32_e32 v96, v20, v21
	;; [unrolled: 1-line block ×9, first 2 shown]
	v_mov_b32_e32 v85, 0
	v_mov_b32_e32 v81, 0
	v_mov_b32_e32 v77, 0
	v_mov_b32_e32 v73, 0
	v_mov_b32_e32 v69, 0
	v_mov_b32_e32 v65, 0
	v_mov_b32_e32 v105, 0
	v_mov_b32_e32 v90, 0
	v_mov_b32_e32 v84, 0
	v_mov_b32_e32 v80, 0
	v_mov_b32_e32 v76, 0
	v_mov_b32_e32 v72, 0
	v_mov_b32_e32 v68, 0
	v_mov_b32_e32 v64, 0
	buffer_store_dword v30, off, s[20:23], 0 offset:164 ; 4-byte Folded Spill
.LBB166_5:                              ; =>This Loop Header: Depth=1
                                        ;     Child Loop BB166_6 Depth 2
	buffer_load_dword v1, off, s[20:23], 0  ; 4-byte Folded Reload
	s_mul_i32 s0, s8, 34
	s_mul_hi_u32 s1, s8, 34
	s_add_u32 s0, s5, s0
	s_addc_u32 s1, s7, s1
	v_mov_b32_e32 v6, v110
	v_mad_u64_u32 v[2:3], s[16:17], v6, 34, s[0:1]
	v_add_u32_e32 v101, 0x4200, v120
	v_mov_b32_e32 v95, v15
	v_mov_b32_e32 v93, v16
	;; [unrolled: 1-line block ×4, first 2 shown]
	v_mul_u32_u24_e32 v104, 0x84, v0
	s_waitcnt vmcnt(0)
	v_mad_i64_i32 v[4:5], s[16:17], v1, 34, v[2:3]
	v_add_co_u32_e32 v4, vcc, v4, v94
	v_addc_co_u32_e32 v5, vcc, 0, v5, vcc
	global_load_dword v1, v[4:5], off offset:2
	s_nop 0
	buffer_load_dword v4, off, s[20:23], 0 offset:4 ; 4-byte Folded Reload
	buffer_load_dword v5, off, s[20:23], 0 offset:8 ; 4-byte Folded Reload
	s_waitcnt vmcnt(1)
	ds_write_b32 v4, v1
	buffer_load_dword v1, off, s[20:23], 0 offset:12 ; 4-byte Folded Reload
	s_waitcnt vmcnt(0)
	v_mad_i64_i32 v[4:5], s[16:17], v1, 34, v[2:3]
	v_add_co_u32_e32 v4, vcc, v4, v94
	v_addc_co_u32_e32 v5, vcc, 0, v5, vcc
	global_load_dword v1, v[4:5], off offset:2
	s_nop 0
	buffer_load_dword v4, off, s[20:23], 0 offset:16 ; 4-byte Folded Reload
	buffer_load_dword v5, off, s[20:23], 0 offset:20 ; 4-byte Folded Reload
	s_waitcnt vmcnt(1)
	ds_write_b32 v4, v1
	buffer_load_dword v1, off, s[20:23], 0 offset:24 ; 4-byte Folded Reload
	;; [unrolled: 11-line block ×12, first 2 shown]
	s_waitcnt vmcnt(0)
	v_mad_i64_i32 v[4:5], s[16:17], v1, 34, v[2:3]
	v_add_co_u32_e32 v4, vcc, v4, v94
	v_addc_co_u32_e32 v5, vcc, 0, v5, vcc
	global_load_dword v1, v[4:5], off offset:2
	s_waitcnt vmcnt(0)
	ds_write_b32 v109, v1
	buffer_load_dword v1, off, s[20:23], 0 offset:148 ; 4-byte Folded Reload
	s_waitcnt vmcnt(0)
	v_mad_i64_i32 v[4:5], s[16:17], v1, 34, v[2:3]
	v_add_co_u32_e32 v4, vcc, v4, v94
	v_addc_co_u32_e32 v5, vcc, 0, v5, vcc
	global_load_dword v1, v[4:5], off offset:2
	s_nop 0
	buffer_load_dword v4, off, s[20:23], 0 offset:152 ; 4-byte Folded Reload
	buffer_load_dword v5, off, s[20:23], 0 offset:156 ; 4-byte Folded Reload
	s_waitcnt vmcnt(1)
	ds_write_b32 v4, v1
	s_waitcnt vmcnt(0)
	v_mad_i64_i32 v[4:5], s[16:17], v111, 34, v[2:3]
	v_add_co_u32_e32 v4, vcc, v4, v94
	v_addc_co_u32_e32 v5, vcc, 0, v5, vcc
	global_load_dword v1, v[4:5], off offset:2
	s_waitcnt vmcnt(0)
	ds_write_b32 v24, v1
	v_mad_i64_i32 v[1:2], s[16:17], v113, 34, v[2:3]
	v_add_co_u32_e32 v1, vcc, v1, v94
	v_addc_co_u32_e32 v2, vcc, 0, v2, vcc
	global_load_dword v1, v[1:2], off offset:2
	s_waitcnt vmcnt(0)
	ds_write_b32 v25, v1
	v_mad_u64_u32 v[1:2], s[0:1], v108, 34, s[0:1]
	v_mad_i64_i32 v[3:4], s[0:1], v114, 34, v[1:2]
	v_mad_i64_i32 v[1:2], s[0:1], v115, 34, v[1:2]
	global_load_ushort v3, v[3:4], off
	s_nop 0
	global_load_ushort v1, v[1:2], off
	s_waitcnt vmcnt(1)
	v_cvt_f32_f16_e32 v3, v3
	s_waitcnt vmcnt(0)
	v_cvt_f32_f16_e32 v1, v1
	ds_write_b32 v10, v3
	v_add_u32_e32 v3, s8, v6
	ds_write_b32 v96, v1
	v_add_u32_e32 v1, s8, v27
	v_mad_u64_u32 v[1:2], s[0:1], v1, 36, s[2:3]
	global_load_dword v4, v[1:2], off
	v_add_u32_e32 v1, v3, v119
	v_mad_i64_i32 v[1:2], s[0:1], v1, 36, v[28:29]
	global_load_dword v1, v[1:2], off offset:4
	v_add_u32_e32 v2, v117, v120
	s_waitcnt vmcnt(0)
	ds_write_b32 v2, v1
	v_add_u32_e32 v1, v3, v121
	v_mad_i64_i32 v[1:2], s[0:1], v1, 36, v[28:29]
	global_load_dword v1, v[1:2], off offset:4
	s_waitcnt vmcnt(0)
	ds_write_b32 v11, v1
	v_add_u32_e32 v1, v3, v122
	v_mad_i64_i32 v[1:2], s[0:1], v1, 36, v[28:29]
	global_load_dword v1, v[1:2], off offset:4
	;; [unrolled: 5-line block ×6, first 2 shown]
	s_waitcnt vmcnt(0)
	ds_write_b32 v100, v1
	v_add_u32_e32 v1, v3, v127
	v_mad_i64_i32 v[1:2], s[0:1], v1, 36, v[28:29]
	s_mov_b32 s0, -8
	global_load_dword v1, v[1:2], off offset:4
	s_waitcnt vmcnt(0)
	ds_write_b32 v14, v1
	v_cvt_f32_f16_e32 v1, v4
	ds_write_b32 v118, v1
	v_mov_b32_e32 v1, v102
	s_waitcnt lgkmcnt(0)
	s_barrier
.LBB166_6:                              ;   Parent Loop BB166_5 Depth=1
                                        ; =>  This Inner Loop Header: Depth=2
	ds_read2_b32 v[62:63], v95 offset1:32
	ds_read_b128 v[6:9], v101
	ds_read_b128 v[2:5], v101 offset:16
	ds_read_b32 v106, v1
	ds_read2_b32 v[30:31], v104 offset1:1
	ds_read2_b32 v[32:33], v104 offset0:2 offset1:3
	ds_read2_b32 v[36:37], v104 offset0:4 offset1:5
	;; [unrolled: 1-line block ×3, first 2 shown]
	s_waitcnt lgkmcnt(4)
	v_mul_f32_e32 v19, v62, v106
	s_waitcnt lgkmcnt(3)
	v_dot4_i32_i8 v18, v30, v6, 0
	v_dot4_i32_i8 v18, v31, v7, v18
	s_waitcnt lgkmcnt(2)
	v_dot4_i32_i8 v18, v32, v8, v18
	v_dot4_i32_i8 v18, v33, v9, v18
	;; [unrolled: 3-line block ×4, first 2 shown]
	v_cvt_f32_i32_e32 v18, v18
	v_add_u32_e32 v20, 0x1088, v104
	v_mul_f32_e32 v21, v106, v63
	s_add_i32 s0, s0, 8
	v_fmac_f32_e32 v89, v19, v18
	v_add_u32_e32 v18, 0x1080, v104
	ds_read_b32 v19, v93
	ds_read2_b32 v[34:35], v18 offset1:1
	ds_read2_b32 v[40:41], v20 offset1:1
	v_add_u32_e32 v20, 0x1090, v104
	ds_read2_b32 v[42:43], v20 offset1:1
	v_add_u32_e32 v20, 0x1098, v104
	s_waitcnt lgkmcnt(2)
	v_dot4_i32_i8 v18, v34, v6, 0
	v_dot4_i32_i8 v18, v35, v7, v18
	ds_read2_b32 v[48:49], v20 offset1:1
	s_waitcnt lgkmcnt(2)
	v_dot4_i32_i8 v18, v40, v8, v18
	v_dot4_i32_i8 v18, v41, v9, v18
	s_waitcnt lgkmcnt(1)
	v_dot4_i32_i8 v18, v42, v2, v18
	v_dot4_i32_i8 v18, v43, v3, v18
	;; [unrolled: 3-line block ×3, first 2 shown]
	v_cvt_f32_i32_e32 v18, v18
	v_mul_f32_e32 v20, v62, v19
	v_add_u32_e32 v93, 4, v93
	v_add_u32_e32 v1, 4, v1
	v_fmac_f32_e32 v116, v20, v18
	v_add_u32_e32 v18, 0x2100, v104
	ds_read_b32 v107, v26
	ds_read2_b32 v[44:45], v18 offset1:1
	v_add_u32_e32 v20, 0x2108, v104
	ds_read2_b32 v[52:53], v20 offset1:1
	v_add_u32_e32 v20, 0x2110, v104
	ds_read2_b32 v[56:57], v20 offset1:1
	s_waitcnt lgkmcnt(2)
	v_dot4_i32_i8 v18, v44, v6, 0
	v_add_u32_e32 v20, 0x2118, v104
	v_dot4_i32_i8 v18, v45, v7, v18
	ds_read2_b32 v[60:61], v20 offset1:1
	s_waitcnt lgkmcnt(2)
	v_dot4_i32_i8 v18, v52, v8, v18
	v_dot4_i32_i8 v18, v53, v9, v18
	s_waitcnt lgkmcnt(1)
	v_dot4_i32_i8 v18, v56, v2, v18
	v_dot4_i32_i8 v18, v57, v3, v18
	;; [unrolled: 3-line block ×3, first 2 shown]
	v_cvt_f32_i32_e32 v18, v18
	v_mul_f32_e32 v20, v62, v107
	v_add_u32_e32 v26, 4, v26
	s_cmp_lt_u32 s0, 24
	v_fmac_f32_e32 v112, v20, v18
	v_add_u32_e32 v20, 0x3180, v104
	ds_read_b32 v18, v87
	ds_read2_b32 v[58:59], v20 offset1:1
	v_add_u32_e32 v87, 4, v87
	s_waitcnt lgkmcnt(0)
	v_dot4_i32_i8 v6, v58, v6, 0
	v_dot4_i32_i8 v6, v59, v7, v6
	v_add_u32_e32 v7, 0x3188, v104
	ds_read2_b32 v[46:47], v7 offset1:1
	v_add_u32_e32 v7, 0x3190, v104
	ds_read2_b32 v[50:51], v7 offset1:1
	s_waitcnt lgkmcnt(1)
	v_dot4_i32_i8 v6, v46, v8, v6
	v_dot4_i32_i8 v6, v47, v9, v6
	s_waitcnt lgkmcnt(0)
	v_dot4_i32_i8 v2, v50, v2, v6
	v_dot4_i32_i8 v2, v51, v3, v2
	v_add_u32_e32 v3, 0x3198, v104
	ds_read2_b32 v[54:55], v3 offset1:1
	v_mul_f32_e32 v3, v62, v18
	v_add_u32_e32 v104, 32, v104
	s_waitcnt lgkmcnt(0)
	v_dot4_i32_i8 v2, v54, v4, v2
	v_dot4_i32_i8 v2, v55, v5, v2
	v_cvt_f32_i32_e32 v2, v2
	v_fmac_f32_e32 v105, v3, v2
	ds_read_b128 v[2:5], v101 offset:1024
	ds_read_b128 v[6:9], v101 offset:1040
	s_waitcnt lgkmcnt(1)
	v_dot4_i32_i8 v20, v30, v2, 0
	v_dot4_i32_i8 v20, v31, v3, v20
	;; [unrolled: 1-line block ×4, first 2 shown]
	s_waitcnt lgkmcnt(0)
	v_dot4_i32_i8 v20, v36, v6, v20
	v_dot4_i32_i8 v20, v37, v7, v20
	v_dot4_i32_i8 v20, v38, v8, v20
	v_dot4_i32_i8 v20, v39, v9, v20
	v_cvt_f32_i32_e32 v20, v20
	v_fmac_f32_e32 v97, v21, v20
	v_dot4_i32_i8 v20, v34, v2, 0
	v_dot4_i32_i8 v20, v35, v3, v20
	;; [unrolled: 1-line block ×8, first 2 shown]
	v_cvt_f32_i32_e32 v20, v20
	v_mul_f32_e32 v21, v19, v63
	v_fmac_f32_e32 v92, v21, v20
	v_dot4_i32_i8 v20, v44, v2, 0
	v_dot4_i32_i8 v2, v58, v2, 0
	;; [unrolled: 1-line block ×16, first 2 shown]
	v_cvt_f32_i32_e32 v20, v20
	v_cvt_f32_i32_e32 v2, v2
	v_mul_f32_e32 v21, v107, v63
	v_mul_f32_e32 v3, v18, v63
	v_fmac_f32_e32 v91, v21, v20
	v_fmac_f32_e32 v90, v3, v2
	ds_read2_b32 v[2:3], v95 offset0:64 offset1:96
	ds_read_b128 v[4:7], v101 offset:2048
	ds_read_b128 v[20:23], v101 offset:2064
	s_waitcnt lgkmcnt(2)
	v_mul_f32_e32 v9, v106, v2
	s_waitcnt lgkmcnt(1)
	v_dot4_i32_i8 v8, v30, v4, 0
	v_dot4_i32_i8 v8, v31, v5, v8
	;; [unrolled: 1-line block ×4, first 2 shown]
	s_waitcnt lgkmcnt(0)
	v_dot4_i32_i8 v8, v36, v20, v8
	v_dot4_i32_i8 v8, v37, v21, v8
	;; [unrolled: 1-line block ×4, first 2 shown]
	v_cvt_f32_i32_e32 v8, v8
	v_fmac_f32_e32 v88, v9, v8
	v_dot4_i32_i8 v8, v34, v4, 0
	v_dot4_i32_i8 v8, v35, v5, v8
	;; [unrolled: 1-line block ×8, first 2 shown]
	v_cvt_f32_i32_e32 v8, v8
	v_mul_f32_e32 v9, v19, v2
	v_fmac_f32_e32 v86, v9, v8
	v_dot4_i32_i8 v8, v44, v4, 0
	v_dot4_i32_i8 v4, v58, v4, 0
	;; [unrolled: 1-line block ×12, first 2 shown]
	v_cvt_f32_i32_e32 v4, v4
	v_dot4_i32_i8 v8, v56, v20, v8
	v_dot4_i32_i8 v8, v57, v21, v8
	;; [unrolled: 1-line block ×3, first 2 shown]
	v_mul_f32_e32 v9, v107, v2
	v_mul_f32_e32 v2, v18, v2
	v_dot4_i32_i8 v8, v61, v23, v8
	v_fmac_f32_e32 v84, v2, v4
	ds_read_b128 v[4:7], v101 offset:3072
	ds_read_b128 v[20:23], v101 offset:3088
	v_cvt_f32_i32_e32 v8, v8
	s_waitcnt lgkmcnt(1)
	v_dot4_i32_i8 v2, v30, v4, 0
	v_dot4_i32_i8 v2, v31, v5, v2
	;; [unrolled: 1-line block ×4, first 2 shown]
	s_waitcnt lgkmcnt(0)
	v_dot4_i32_i8 v2, v36, v20, v2
	v_dot4_i32_i8 v2, v37, v21, v2
	;; [unrolled: 1-line block ×4, first 2 shown]
	v_cvt_f32_i32_e32 v2, v2
	v_fmac_f32_e32 v85, v9, v8
	v_mul_f32_e32 v8, v106, v3
	v_fmac_f32_e32 v83, v8, v2
	v_dot4_i32_i8 v2, v34, v4, 0
	v_dot4_i32_i8 v2, v35, v5, v2
	;; [unrolled: 1-line block ×8, first 2 shown]
	v_cvt_f32_i32_e32 v2, v2
	v_mul_f32_e32 v8, v19, v3
	v_fmac_f32_e32 v82, v8, v2
	v_dot4_i32_i8 v2, v44, v4, 0
	v_dot4_i32_i8 v2, v45, v5, v2
	;; [unrolled: 1-line block ×8, first 2 shown]
	v_cvt_f32_i32_e32 v2, v2
	v_mul_f32_e32 v8, v107, v3
	v_mul_f32_e32 v3, v18, v3
	v_fmac_f32_e32 v81, v8, v2
	v_dot4_i32_i8 v2, v58, v4, 0
	v_dot4_i32_i8 v2, v59, v5, v2
	;; [unrolled: 1-line block ×8, first 2 shown]
	v_cvt_f32_i32_e32 v2, v2
	v_fmac_f32_e32 v80, v3, v2
	ds_read2_b32 v[62:63], v95 offset0:128 offset1:160
	ds_read_b128 v[2:5], v101 offset:4096
	ds_read_b128 v[6:9], v101 offset:4112
	s_waitcnt lgkmcnt(2)
	v_mul_f32_e32 v21, v106, v62
	s_waitcnt lgkmcnt(1)
	v_dot4_i32_i8 v20, v30, v2, 0
	v_dot4_i32_i8 v20, v31, v3, v20
	;; [unrolled: 1-line block ×4, first 2 shown]
	s_waitcnt lgkmcnt(0)
	v_dot4_i32_i8 v20, v36, v6, v20
	v_dot4_i32_i8 v20, v37, v7, v20
	;; [unrolled: 1-line block ×4, first 2 shown]
	v_cvt_f32_i32_e32 v20, v20
	v_fmac_f32_e32 v79, v21, v20
	v_dot4_i32_i8 v20, v34, v2, 0
	v_dot4_i32_i8 v20, v35, v3, v20
	;; [unrolled: 1-line block ×8, first 2 shown]
	v_cvt_f32_i32_e32 v20, v20
	v_mul_f32_e32 v21, v19, v62
	v_fmac_f32_e32 v78, v21, v20
	v_dot4_i32_i8 v20, v44, v2, 0
	v_dot4_i32_i8 v2, v58, v2, 0
	;; [unrolled: 1-line block ×13, first 2 shown]
	v_cvt_f32_i32_e32 v2, v2
	v_dot4_i32_i8 v20, v57, v7, v20
	v_dot4_i32_i8 v20, v60, v8, v20
	;; [unrolled: 1-line block ×3, first 2 shown]
	v_mul_f32_e32 v3, v18, v62
	v_cvt_f32_i32_e32 v20, v20
	v_fmac_f32_e32 v76, v3, v2
	ds_read_b128 v[6:9], v101 offset:5120
	ds_read_b128 v[2:5], v101 offset:5136
	v_mul_f32_e32 v21, v107, v62
	v_fmac_f32_e32 v77, v21, v20
	v_mul_f32_e32 v21, v106, v63
	s_waitcnt lgkmcnt(1)
	v_dot4_i32_i8 v20, v30, v6, 0
	v_dot4_i32_i8 v20, v31, v7, v20
	;; [unrolled: 1-line block ×4, first 2 shown]
	s_waitcnt lgkmcnt(0)
	v_dot4_i32_i8 v20, v36, v2, v20
	v_dot4_i32_i8 v20, v37, v3, v20
	;; [unrolled: 1-line block ×4, first 2 shown]
	v_cvt_f32_i32_e32 v20, v20
	v_fmac_f32_e32 v75, v21, v20
	v_dot4_i32_i8 v20, v34, v6, 0
	v_dot4_i32_i8 v20, v35, v7, v20
	;; [unrolled: 1-line block ×8, first 2 shown]
	v_cvt_f32_i32_e32 v20, v20
	v_mul_f32_e32 v21, v19, v63
	v_fmac_f32_e32 v74, v21, v20
	v_dot4_i32_i8 v20, v44, v6, 0
	v_dot4_i32_i8 v6, v58, v6, 0
	;; [unrolled: 1-line block ×13, first 2 shown]
	v_cvt_f32_i32_e32 v2, v2
	v_dot4_i32_i8 v20, v57, v3, v20
	v_dot4_i32_i8 v20, v60, v4, v20
	;; [unrolled: 1-line block ×3, first 2 shown]
	v_mul_f32_e32 v3, v18, v63
	v_mul_f32_e32 v21, v107, v63
	v_cvt_f32_i32_e32 v20, v20
	v_fmac_f32_e32 v72, v3, v2
	ds_read2_b32 v[62:63], v95 offset0:192 offset1:224
	ds_read_b128 v[2:5], v101 offset:6144
	ds_read_b128 v[6:9], v101 offset:6160
	v_add_u32_e32 v95, 4, v95
	v_fmac_f32_e32 v73, v21, v20
	s_waitcnt lgkmcnt(2)
	v_mul_f32_e32 v21, v106, v62
	s_waitcnt lgkmcnt(1)
	v_dot4_i32_i8 v20, v30, v2, 0
	v_dot4_i32_i8 v20, v31, v3, v20
	;; [unrolled: 1-line block ×4, first 2 shown]
	s_waitcnt lgkmcnt(0)
	v_dot4_i32_i8 v20, v36, v6, v20
	v_dot4_i32_i8 v20, v37, v7, v20
	;; [unrolled: 1-line block ×4, first 2 shown]
	v_cvt_f32_i32_e32 v20, v20
	v_fmac_f32_e32 v71, v21, v20
	v_dot4_i32_i8 v20, v34, v2, 0
	v_dot4_i32_i8 v20, v35, v3, v20
	;; [unrolled: 1-line block ×8, first 2 shown]
	v_cvt_f32_i32_e32 v20, v20
	v_mul_f32_e32 v21, v19, v62
	v_mul_f32_e32 v19, v19, v63
	v_fmac_f32_e32 v70, v21, v20
	v_dot4_i32_i8 v20, v44, v2, 0
	v_dot4_i32_i8 v2, v58, v2, 0
	;; [unrolled: 1-line block ×13, first 2 shown]
	v_cvt_f32_i32_e32 v2, v2
	v_dot4_i32_i8 v20, v57, v7, v20
	v_dot4_i32_i8 v20, v60, v8, v20
	;; [unrolled: 1-line block ×3, first 2 shown]
	v_mul_f32_e32 v3, v18, v62
	v_cvt_f32_i32_e32 v20, v20
	v_fmac_f32_e32 v68, v3, v2
	ds_read_b128 v[6:9], v101 offset:7168
	ds_read_b128 v[2:5], v101 offset:7184
	v_mul_f32_e32 v21, v107, v62
	v_fmac_f32_e32 v69, v21, v20
	v_mul_f32_e32 v21, v106, v63
	s_waitcnt lgkmcnt(1)
	v_dot4_i32_i8 v20, v30, v6, 0
	v_dot4_i32_i8 v20, v31, v7, v20
	v_dot4_i32_i8 v20, v32, v8, v20
	v_dot4_i32_i8 v20, v33, v9, v20
	s_waitcnt lgkmcnt(0)
	v_dot4_i32_i8 v20, v36, v2, v20
	v_dot4_i32_i8 v20, v37, v3, v20
	v_dot4_i32_i8 v20, v38, v4, v20
	v_dot4_i32_i8 v20, v39, v5, v20
	v_cvt_f32_i32_e32 v20, v20
	v_add_u32_e32 v101, 32, v101
	v_fmac_f32_e32 v67, v21, v20
	v_dot4_i32_i8 v20, v34, v6, 0
	v_dot4_i32_i8 v20, v35, v7, v20
	v_dot4_i32_i8 v20, v40, v8, v20
	v_dot4_i32_i8 v20, v41, v9, v20
	v_dot4_i32_i8 v20, v42, v2, v20
	v_dot4_i32_i8 v20, v43, v3, v20
	v_dot4_i32_i8 v20, v48, v4, v20
	v_dot4_i32_i8 v20, v49, v5, v20
	v_cvt_f32_i32_e32 v20, v20
	v_fmac_f32_e32 v66, v19, v20
	v_dot4_i32_i8 v19, v44, v6, 0
	v_dot4_i32_i8 v6, v58, v6, 0
	;; [unrolled: 1-line block ×16, first 2 shown]
	v_cvt_f32_i32_e32 v19, v19
	v_cvt_f32_i32_e32 v2, v2
	v_mul_f32_e32 v20, v107, v63
	v_mul_f32_e32 v3, v18, v63
	v_fmac_f32_e32 v65, v20, v19
	v_fmac_f32_e32 v64, v3, v2
	s_cbranch_scc1 .LBB166_6
; %bb.7:                                ;   in Loop: Header=BB166_5 Depth=1
	s_add_i32 s8, s8, 4
	s_cmp_ge_i32 s8, s4
	s_barrier
	s_cbranch_scc0 .LBB166_5
; %bb.8:
	buffer_load_dword v1, off, s[20:23], 0 offset:160 ; 4-byte Folded Reload
	buffer_load_dword v30, off, s[20:23], 0 offset:164 ; 4-byte Folded Reload
.LBB166_9:
	s_waitcnt vmcnt(1)
	v_cmp_gt_u32_e32 vcc, s10, v1
	s_and_saveexec_b64 s[0:1], vcc
	s_cbranch_execz .LBB166_60
; %bb.10:
	v_mul_lo_u32 v4, v1, s14
	v_add_u32_e32 v0, s6, v0
	v_cmp_gt_u32_e64 s[0:1], s14, v0
	s_and_saveexec_b64 s[2:3], s[0:1]
	s_cbranch_execz .LBB166_12
; %bb.11:
	v_bfe_u32 v1, v89, 16, 1
	s_movk_i32 s4, 0x7fff
	v_add3_u32 v1, v89, v1, s4
	v_cmp_o_f32_e32 vcc, v89, v89
	v_mov_b32_e32 v2, 0x7fc0
	v_cndmask_b32_sdwa v3, v2, v1, vcc dst_sel:DWORD dst_unused:UNUSED_PAD src0_sel:DWORD src1_sel:WORD_1
	v_add_u32_e32 v1, v0, v4
	v_mov_b32_e32 v2, 0
	v_lshlrev_b64 v[1:2], 1, v[1:2]
	s_waitcnt lgkmcnt(0)
	v_mov_b32_e32 v5, s13
	v_add_co_u32_e32 v1, vcc, s12, v1
	v_addc_co_u32_e32 v2, vcc, v5, v2, vcc
	global_store_short v[1:2], v3, off
.LBB166_12:
	s_or_b64 exec, exec, s[2:3]
	v_add_u32_e32 v1, 32, v0
	v_cmp_gt_u32_e64 s[2:3], s14, v1
	s_and_saveexec_b64 s[4:5], s[2:3]
	s_cbranch_execz .LBB166_14
; %bb.13:
	v_bfe_u32 v2, v116, 16, 1
	s_movk_i32 s6, 0x7fff
	v_add3_u32 v2, v116, v2, s6
	v_cmp_o_f32_e32 vcc, v116, v116
	v_mov_b32_e32 v3, 0x7fc0
	v_cndmask_b32_sdwa v5, v3, v2, vcc dst_sel:DWORD dst_unused:UNUSED_PAD src0_sel:DWORD src1_sel:WORD_1
	v_add_u32_e32 v2, v1, v4
	v_mov_b32_e32 v3, 0
	v_lshlrev_b64 v[2:3], 1, v[2:3]
	s_waitcnt lgkmcnt(0)
	v_mov_b32_e32 v6, s13
	v_add_co_u32_e32 v2, vcc, s12, v2
	v_addc_co_u32_e32 v3, vcc, v6, v3, vcc
	global_store_short v[2:3], v5, off
.LBB166_14:
	s_or_b64 exec, exec, s[4:5]
	;; [unrolled: 21-line block ×4, first 2 shown]
	s_waitcnt vmcnt(0)
	v_add3_u32 v4, v30, s15, 8
	v_cmp_gt_u32_e32 vcc, s10, v4
	s_and_b64 exec, exec, vcc
	s_cbranch_execz .LBB166_60
; %bb.19:
	v_mul_lo_u32 v4, v4, s14
	s_and_saveexec_b64 s[8:9], s[0:1]
	s_cbranch_execnz .LBB166_61
; %bb.20:
	s_or_b64 exec, exec, s[8:9]
	s_and_saveexec_b64 s[8:9], s[2:3]
	s_cbranch_execnz .LBB166_62
.LBB166_21:
	s_or_b64 exec, exec, s[8:9]
	s_and_saveexec_b64 s[8:9], s[4:5]
	s_cbranch_execnz .LBB166_63
.LBB166_22:
	s_or_b64 exec, exec, s[8:9]
	s_and_saveexec_b64 s[8:9], s[6:7]
	s_cbranch_execz .LBB166_24
.LBB166_23:
	v_bfe_u32 v5, v90, 16, 1
	s_movk_i32 s11, 0x7fff
	v_add3_u32 v5, v90, v5, s11
	v_cmp_o_f32_e32 vcc, v90, v90
	v_mov_b32_e32 v6, 0x7fc0
	v_cndmask_b32_sdwa v6, v6, v5, vcc dst_sel:DWORD dst_unused:UNUSED_PAD src0_sel:DWORD src1_sel:WORD_1
	v_add_u32_e32 v4, v4, v3
	v_mov_b32_e32 v5, 0
	v_lshlrev_b64 v[4:5], 1, v[4:5]
	s_waitcnt lgkmcnt(0)
	v_mov_b32_e32 v7, s13
	v_add_co_u32_e32 v4, vcc, s12, v4
	v_addc_co_u32_e32 v5, vcc, v7, v5, vcc
	global_store_short v[4:5], v6, off
.LBB166_24:
	s_or_b64 exec, exec, s[8:9]
	v_add3_u32 v4, v30, s15, 16
	v_cmp_gt_u32_e32 vcc, s10, v4
	s_and_b64 exec, exec, vcc
	s_cbranch_execz .LBB166_60
; %bb.25:
	v_mul_lo_u32 v4, v4, s14
	s_and_saveexec_b64 s[8:9], s[0:1]
	s_cbranch_execnz .LBB166_64
; %bb.26:
	s_or_b64 exec, exec, s[8:9]
	s_and_saveexec_b64 s[8:9], s[2:3]
	s_cbranch_execnz .LBB166_65
.LBB166_27:
	s_or_b64 exec, exec, s[8:9]
	s_and_saveexec_b64 s[8:9], s[4:5]
	s_cbranch_execnz .LBB166_66
.LBB166_28:
	s_or_b64 exec, exec, s[8:9]
	s_and_saveexec_b64 s[8:9], s[6:7]
	s_cbranch_execz .LBB166_30
.LBB166_29:
	v_bfe_u32 v5, v84, 16, 1
	s_movk_i32 s11, 0x7fff
	v_add3_u32 v5, v84, v5, s11
	v_cmp_o_f32_e32 vcc, v84, v84
	v_mov_b32_e32 v6, 0x7fc0
	v_cndmask_b32_sdwa v6, v6, v5, vcc dst_sel:DWORD dst_unused:UNUSED_PAD src0_sel:DWORD src1_sel:WORD_1
	v_add_u32_e32 v4, v4, v3
	v_mov_b32_e32 v5, 0
	v_lshlrev_b64 v[4:5], 1, v[4:5]
	s_waitcnt lgkmcnt(0)
	v_mov_b32_e32 v7, s13
	v_add_co_u32_e32 v4, vcc, s12, v4
	v_addc_co_u32_e32 v5, vcc, v7, v5, vcc
	global_store_short v[4:5], v6, off
.LBB166_30:
	s_or_b64 exec, exec, s[8:9]
	v_add3_u32 v4, v30, s15, 24
	v_cmp_gt_u32_e32 vcc, s10, v4
	s_and_b64 exec, exec, vcc
	s_cbranch_execz .LBB166_60
; %bb.31:
	v_mul_lo_u32 v4, v4, s14
	s_and_saveexec_b64 s[8:9], s[0:1]
	s_cbranch_execnz .LBB166_67
; %bb.32:
	s_or_b64 exec, exec, s[8:9]
	s_and_saveexec_b64 s[8:9], s[2:3]
	s_cbranch_execnz .LBB166_68
.LBB166_33:
	s_or_b64 exec, exec, s[8:9]
	s_and_saveexec_b64 s[8:9], s[4:5]
	s_cbranch_execnz .LBB166_69
.LBB166_34:
	s_or_b64 exec, exec, s[8:9]
	s_and_saveexec_b64 s[8:9], s[6:7]
	s_cbranch_execz .LBB166_36
.LBB166_35:
	v_bfe_u32 v5, v80, 16, 1
	s_movk_i32 s11, 0x7fff
	v_add3_u32 v5, v80, v5, s11
	v_cmp_o_f32_e32 vcc, v80, v80
	v_mov_b32_e32 v6, 0x7fc0
	v_cndmask_b32_sdwa v6, v6, v5, vcc dst_sel:DWORD dst_unused:UNUSED_PAD src0_sel:DWORD src1_sel:WORD_1
	v_add_u32_e32 v4, v4, v3
	v_mov_b32_e32 v5, 0
	v_lshlrev_b64 v[4:5], 1, v[4:5]
	s_waitcnt lgkmcnt(0)
	v_mov_b32_e32 v7, s13
	v_add_co_u32_e32 v4, vcc, s12, v4
	v_addc_co_u32_e32 v5, vcc, v7, v5, vcc
	global_store_short v[4:5], v6, off
.LBB166_36:
	s_or_b64 exec, exec, s[8:9]
	v_add3_u32 v4, v30, s15, 32
	v_cmp_gt_u32_e32 vcc, s10, v4
	s_and_b64 exec, exec, vcc
	s_cbranch_execz .LBB166_60
; %bb.37:
	v_mul_lo_u32 v4, v4, s14
	s_and_saveexec_b64 s[8:9], s[0:1]
	s_cbranch_execnz .LBB166_70
; %bb.38:
	s_or_b64 exec, exec, s[8:9]
	s_and_saveexec_b64 s[8:9], s[2:3]
	s_cbranch_execnz .LBB166_71
.LBB166_39:
	s_or_b64 exec, exec, s[8:9]
	s_and_saveexec_b64 s[8:9], s[4:5]
	s_cbranch_execnz .LBB166_72
.LBB166_40:
	s_or_b64 exec, exec, s[8:9]
	s_and_saveexec_b64 s[8:9], s[6:7]
	s_cbranch_execz .LBB166_42
.LBB166_41:
	v_bfe_u32 v5, v76, 16, 1
	s_movk_i32 s11, 0x7fff
	v_add3_u32 v5, v76, v5, s11
	v_cmp_o_f32_e32 vcc, v76, v76
	v_mov_b32_e32 v6, 0x7fc0
	v_cndmask_b32_sdwa v6, v6, v5, vcc dst_sel:DWORD dst_unused:UNUSED_PAD src0_sel:DWORD src1_sel:WORD_1
	v_add_u32_e32 v4, v4, v3
	v_mov_b32_e32 v5, 0
	v_lshlrev_b64 v[4:5], 1, v[4:5]
	s_waitcnt lgkmcnt(0)
	v_mov_b32_e32 v7, s13
	v_add_co_u32_e32 v4, vcc, s12, v4
	v_addc_co_u32_e32 v5, vcc, v7, v5, vcc
	global_store_short v[4:5], v6, off
.LBB166_42:
	s_or_b64 exec, exec, s[8:9]
	v_add3_u32 v4, v30, s15, 40
	v_cmp_gt_u32_e32 vcc, s10, v4
	s_and_b64 exec, exec, vcc
	s_cbranch_execz .LBB166_60
; %bb.43:
	v_mul_lo_u32 v4, v4, s14
	s_and_saveexec_b64 s[8:9], s[0:1]
	s_cbranch_execnz .LBB166_73
; %bb.44:
	s_or_b64 exec, exec, s[8:9]
	s_and_saveexec_b64 s[8:9], s[2:3]
	s_cbranch_execnz .LBB166_74
.LBB166_45:
	s_or_b64 exec, exec, s[8:9]
	s_and_saveexec_b64 s[8:9], s[4:5]
	s_cbranch_execnz .LBB166_75
.LBB166_46:
	s_or_b64 exec, exec, s[8:9]
	s_and_saveexec_b64 s[8:9], s[6:7]
	s_cbranch_execz .LBB166_48
.LBB166_47:
	v_bfe_u32 v5, v72, 16, 1
	s_movk_i32 s11, 0x7fff
	v_add3_u32 v5, v72, v5, s11
	v_cmp_o_f32_e32 vcc, v72, v72
	v_mov_b32_e32 v6, 0x7fc0
	v_cndmask_b32_sdwa v6, v6, v5, vcc dst_sel:DWORD dst_unused:UNUSED_PAD src0_sel:DWORD src1_sel:WORD_1
	v_add_u32_e32 v4, v4, v3
	v_mov_b32_e32 v5, 0
	v_lshlrev_b64 v[4:5], 1, v[4:5]
	s_waitcnt lgkmcnt(0)
	v_mov_b32_e32 v7, s13
	v_add_co_u32_e32 v4, vcc, s12, v4
	v_addc_co_u32_e32 v5, vcc, v7, v5, vcc
	global_store_short v[4:5], v6, off
.LBB166_48:
	s_or_b64 exec, exec, s[8:9]
	v_add3_u32 v4, v30, s15, 48
	v_cmp_gt_u32_e32 vcc, s10, v4
	s_and_b64 exec, exec, vcc
	s_cbranch_execz .LBB166_60
; %bb.49:
	v_mul_lo_u32 v4, v4, s14
	s_and_saveexec_b64 s[8:9], s[0:1]
	s_cbranch_execnz .LBB166_76
; %bb.50:
	s_or_b64 exec, exec, s[8:9]
	s_and_saveexec_b64 s[8:9], s[2:3]
	s_cbranch_execnz .LBB166_77
.LBB166_51:
	s_or_b64 exec, exec, s[8:9]
	s_and_saveexec_b64 s[8:9], s[4:5]
	s_cbranch_execnz .LBB166_78
.LBB166_52:
	s_or_b64 exec, exec, s[8:9]
	s_and_saveexec_b64 s[8:9], s[6:7]
	s_cbranch_execz .LBB166_54
.LBB166_53:
	v_bfe_u32 v5, v68, 16, 1
	s_movk_i32 s11, 0x7fff
	v_add3_u32 v5, v68, v5, s11
	v_cmp_o_f32_e32 vcc, v68, v68
	v_mov_b32_e32 v6, 0x7fc0
	v_cndmask_b32_sdwa v6, v6, v5, vcc dst_sel:DWORD dst_unused:UNUSED_PAD src0_sel:DWORD src1_sel:WORD_1
	v_add_u32_e32 v4, v4, v3
	v_mov_b32_e32 v5, 0
	v_lshlrev_b64 v[4:5], 1, v[4:5]
	s_waitcnt lgkmcnt(0)
	v_mov_b32_e32 v7, s13
	v_add_co_u32_e32 v4, vcc, s12, v4
	v_addc_co_u32_e32 v5, vcc, v7, v5, vcc
	global_store_short v[4:5], v6, off
.LBB166_54:
	s_or_b64 exec, exec, s[8:9]
	v_add3_u32 v4, v30, s15, 56
	v_cmp_gt_u32_e32 vcc, s10, v4
	s_and_b64 exec, exec, vcc
	s_cbranch_execz .LBB166_60
; %bb.55:
	v_mul_lo_u32 v4, v4, s14
	s_and_saveexec_b64 s[8:9], s[0:1]
	s_cbranch_execnz .LBB166_79
; %bb.56:
	s_or_b64 exec, exec, s[8:9]
	s_and_saveexec_b64 s[0:1], s[2:3]
	s_cbranch_execnz .LBB166_80
.LBB166_57:
	s_or_b64 exec, exec, s[0:1]
	s_and_saveexec_b64 s[0:1], s[4:5]
	s_cbranch_execnz .LBB166_81
.LBB166_58:
	s_or_b64 exec, exec, s[0:1]
	s_and_b64 exec, exec, s[6:7]
	s_cbranch_execz .LBB166_60
.LBB166_59:
	v_bfe_u32 v0, v64, 16, 1
	s_movk_i32 s0, 0x7fff
	v_add3_u32 v0, v64, v0, s0
	v_cmp_o_f32_e32 vcc, v64, v64
	v_mov_b32_e32 v1, 0x7fc0
	v_cndmask_b32_sdwa v2, v1, v0, vcc dst_sel:DWORD dst_unused:UNUSED_PAD src0_sel:DWORD src1_sel:WORD_1
	v_add_u32_e32 v0, v4, v3
	v_mov_b32_e32 v1, 0
	v_lshlrev_b64 v[0:1], 1, v[0:1]
	s_waitcnt lgkmcnt(0)
	v_mov_b32_e32 v3, s13
	v_add_co_u32_e32 v0, vcc, s12, v0
	v_addc_co_u32_e32 v1, vcc, v3, v1, vcc
	global_store_short v[0:1], v2, off
.LBB166_60:
	s_endpgm
.LBB166_61:
	v_bfe_u32 v5, v97, 16, 1
	s_movk_i32 s11, 0x7fff
	v_add3_u32 v5, v97, v5, s11
	v_cmp_o_f32_e32 vcc, v97, v97
	v_mov_b32_e32 v6, 0x7fc0
	v_cndmask_b32_sdwa v7, v6, v5, vcc dst_sel:DWORD dst_unused:UNUSED_PAD src0_sel:DWORD src1_sel:WORD_1
	v_add_u32_e32 v5, v4, v0
	v_mov_b32_e32 v6, 0
	v_lshlrev_b64 v[5:6], 1, v[5:6]
	s_waitcnt lgkmcnt(0)
	v_mov_b32_e32 v8, s13
	v_add_co_u32_e32 v5, vcc, s12, v5
	v_addc_co_u32_e32 v6, vcc, v8, v6, vcc
	global_store_short v[5:6], v7, off
	s_or_b64 exec, exec, s[8:9]
	s_and_saveexec_b64 s[8:9], s[2:3]
	s_cbranch_execz .LBB166_21
.LBB166_62:
	v_bfe_u32 v5, v92, 16, 1
	s_movk_i32 s11, 0x7fff
	v_add3_u32 v5, v92, v5, s11
	v_cmp_o_f32_e32 vcc, v92, v92
	v_mov_b32_e32 v6, 0x7fc0
	v_cndmask_b32_sdwa v7, v6, v5, vcc dst_sel:DWORD dst_unused:UNUSED_PAD src0_sel:DWORD src1_sel:WORD_1
	v_add_u32_e32 v5, v4, v1
	v_mov_b32_e32 v6, 0
	v_lshlrev_b64 v[5:6], 1, v[5:6]
	s_waitcnt lgkmcnt(0)
	v_mov_b32_e32 v8, s13
	v_add_co_u32_e32 v5, vcc, s12, v5
	v_addc_co_u32_e32 v6, vcc, v8, v6, vcc
	global_store_short v[5:6], v7, off
	s_or_b64 exec, exec, s[8:9]
	s_and_saveexec_b64 s[8:9], s[4:5]
	s_cbranch_execz .LBB166_22
.LBB166_63:
	v_bfe_u32 v5, v91, 16, 1
	s_movk_i32 s11, 0x7fff
	v_add3_u32 v5, v91, v5, s11
	v_cmp_o_f32_e32 vcc, v91, v91
	v_mov_b32_e32 v6, 0x7fc0
	v_cndmask_b32_sdwa v7, v6, v5, vcc dst_sel:DWORD dst_unused:UNUSED_PAD src0_sel:DWORD src1_sel:WORD_1
	v_add_u32_e32 v5, v4, v2
	v_mov_b32_e32 v6, 0
	v_lshlrev_b64 v[5:6], 1, v[5:6]
	s_waitcnt lgkmcnt(0)
	v_mov_b32_e32 v8, s13
	v_add_co_u32_e32 v5, vcc, s12, v5
	v_addc_co_u32_e32 v6, vcc, v8, v6, vcc
	global_store_short v[5:6], v7, off
	s_or_b64 exec, exec, s[8:9]
	s_and_saveexec_b64 s[8:9], s[6:7]
	s_cbranch_execnz .LBB166_23
	s_branch .LBB166_24
.LBB166_64:
	v_bfe_u32 v5, v88, 16, 1
	s_movk_i32 s11, 0x7fff
	v_add3_u32 v5, v88, v5, s11
	v_cmp_o_f32_e32 vcc, v88, v88
	v_mov_b32_e32 v6, 0x7fc0
	v_cndmask_b32_sdwa v7, v6, v5, vcc dst_sel:DWORD dst_unused:UNUSED_PAD src0_sel:DWORD src1_sel:WORD_1
	v_add_u32_e32 v5, v4, v0
	v_mov_b32_e32 v6, 0
	v_lshlrev_b64 v[5:6], 1, v[5:6]
	s_waitcnt lgkmcnt(0)
	v_mov_b32_e32 v8, s13
	v_add_co_u32_e32 v5, vcc, s12, v5
	v_addc_co_u32_e32 v6, vcc, v8, v6, vcc
	global_store_short v[5:6], v7, off
	s_or_b64 exec, exec, s[8:9]
	s_and_saveexec_b64 s[8:9], s[2:3]
	s_cbranch_execz .LBB166_27
.LBB166_65:
	v_bfe_u32 v5, v86, 16, 1
	s_movk_i32 s11, 0x7fff
	v_add3_u32 v5, v86, v5, s11
	v_cmp_o_f32_e32 vcc, v86, v86
	v_mov_b32_e32 v6, 0x7fc0
	v_cndmask_b32_sdwa v7, v6, v5, vcc dst_sel:DWORD dst_unused:UNUSED_PAD src0_sel:DWORD src1_sel:WORD_1
	v_add_u32_e32 v5, v4, v1
	v_mov_b32_e32 v6, 0
	v_lshlrev_b64 v[5:6], 1, v[5:6]
	s_waitcnt lgkmcnt(0)
	v_mov_b32_e32 v8, s13
	v_add_co_u32_e32 v5, vcc, s12, v5
	v_addc_co_u32_e32 v6, vcc, v8, v6, vcc
	global_store_short v[5:6], v7, off
	s_or_b64 exec, exec, s[8:9]
	s_and_saveexec_b64 s[8:9], s[4:5]
	s_cbranch_execz .LBB166_28
.LBB166_66:
	v_bfe_u32 v5, v85, 16, 1
	s_movk_i32 s11, 0x7fff
	v_add3_u32 v5, v85, v5, s11
	v_cmp_o_f32_e32 vcc, v85, v85
	v_mov_b32_e32 v6, 0x7fc0
	v_cndmask_b32_sdwa v7, v6, v5, vcc dst_sel:DWORD dst_unused:UNUSED_PAD src0_sel:DWORD src1_sel:WORD_1
	v_add_u32_e32 v5, v4, v2
	v_mov_b32_e32 v6, 0
	v_lshlrev_b64 v[5:6], 1, v[5:6]
	s_waitcnt lgkmcnt(0)
	v_mov_b32_e32 v8, s13
	v_add_co_u32_e32 v5, vcc, s12, v5
	v_addc_co_u32_e32 v6, vcc, v8, v6, vcc
	global_store_short v[5:6], v7, off
	s_or_b64 exec, exec, s[8:9]
	s_and_saveexec_b64 s[8:9], s[6:7]
	s_cbranch_execnz .LBB166_29
	s_branch .LBB166_30
.LBB166_67:
	v_bfe_u32 v5, v83, 16, 1
	s_movk_i32 s11, 0x7fff
	v_add3_u32 v5, v83, v5, s11
	v_cmp_o_f32_e32 vcc, v83, v83
	v_mov_b32_e32 v6, 0x7fc0
	v_cndmask_b32_sdwa v7, v6, v5, vcc dst_sel:DWORD dst_unused:UNUSED_PAD src0_sel:DWORD src1_sel:WORD_1
	v_add_u32_e32 v5, v4, v0
	v_mov_b32_e32 v6, 0
	v_lshlrev_b64 v[5:6], 1, v[5:6]
	s_waitcnt lgkmcnt(0)
	v_mov_b32_e32 v8, s13
	v_add_co_u32_e32 v5, vcc, s12, v5
	v_addc_co_u32_e32 v6, vcc, v8, v6, vcc
	global_store_short v[5:6], v7, off
	s_or_b64 exec, exec, s[8:9]
	s_and_saveexec_b64 s[8:9], s[2:3]
	s_cbranch_execz .LBB166_33
.LBB166_68:
	v_bfe_u32 v5, v82, 16, 1
	s_movk_i32 s11, 0x7fff
	v_add3_u32 v5, v82, v5, s11
	v_cmp_o_f32_e32 vcc, v82, v82
	v_mov_b32_e32 v6, 0x7fc0
	v_cndmask_b32_sdwa v7, v6, v5, vcc dst_sel:DWORD dst_unused:UNUSED_PAD src0_sel:DWORD src1_sel:WORD_1
	v_add_u32_e32 v5, v4, v1
	v_mov_b32_e32 v6, 0
	v_lshlrev_b64 v[5:6], 1, v[5:6]
	s_waitcnt lgkmcnt(0)
	v_mov_b32_e32 v8, s13
	v_add_co_u32_e32 v5, vcc, s12, v5
	v_addc_co_u32_e32 v6, vcc, v8, v6, vcc
	global_store_short v[5:6], v7, off
	s_or_b64 exec, exec, s[8:9]
	s_and_saveexec_b64 s[8:9], s[4:5]
	s_cbranch_execz .LBB166_34
.LBB166_69:
	v_bfe_u32 v5, v81, 16, 1
	s_movk_i32 s11, 0x7fff
	v_add3_u32 v5, v81, v5, s11
	v_cmp_o_f32_e32 vcc, v81, v81
	v_mov_b32_e32 v6, 0x7fc0
	v_cndmask_b32_sdwa v7, v6, v5, vcc dst_sel:DWORD dst_unused:UNUSED_PAD src0_sel:DWORD src1_sel:WORD_1
	v_add_u32_e32 v5, v4, v2
	v_mov_b32_e32 v6, 0
	v_lshlrev_b64 v[5:6], 1, v[5:6]
	s_waitcnt lgkmcnt(0)
	v_mov_b32_e32 v8, s13
	v_add_co_u32_e32 v5, vcc, s12, v5
	v_addc_co_u32_e32 v6, vcc, v8, v6, vcc
	global_store_short v[5:6], v7, off
	s_or_b64 exec, exec, s[8:9]
	s_and_saveexec_b64 s[8:9], s[6:7]
	s_cbranch_execnz .LBB166_35
	s_branch .LBB166_36
.LBB166_70:
	v_bfe_u32 v5, v79, 16, 1
	s_movk_i32 s11, 0x7fff
	v_add3_u32 v5, v79, v5, s11
	v_cmp_o_f32_e32 vcc, v79, v79
	v_mov_b32_e32 v6, 0x7fc0
	v_cndmask_b32_sdwa v7, v6, v5, vcc dst_sel:DWORD dst_unused:UNUSED_PAD src0_sel:DWORD src1_sel:WORD_1
	v_add_u32_e32 v5, v4, v0
	v_mov_b32_e32 v6, 0
	v_lshlrev_b64 v[5:6], 1, v[5:6]
	s_waitcnt lgkmcnt(0)
	v_mov_b32_e32 v8, s13
	v_add_co_u32_e32 v5, vcc, s12, v5
	v_addc_co_u32_e32 v6, vcc, v8, v6, vcc
	global_store_short v[5:6], v7, off
	s_or_b64 exec, exec, s[8:9]
	s_and_saveexec_b64 s[8:9], s[2:3]
	s_cbranch_execz .LBB166_39
.LBB166_71:
	v_bfe_u32 v5, v78, 16, 1
	s_movk_i32 s11, 0x7fff
	v_add3_u32 v5, v78, v5, s11
	v_cmp_o_f32_e32 vcc, v78, v78
	v_mov_b32_e32 v6, 0x7fc0
	v_cndmask_b32_sdwa v7, v6, v5, vcc dst_sel:DWORD dst_unused:UNUSED_PAD src0_sel:DWORD src1_sel:WORD_1
	v_add_u32_e32 v5, v4, v1
	v_mov_b32_e32 v6, 0
	v_lshlrev_b64 v[5:6], 1, v[5:6]
	s_waitcnt lgkmcnt(0)
	v_mov_b32_e32 v8, s13
	v_add_co_u32_e32 v5, vcc, s12, v5
	v_addc_co_u32_e32 v6, vcc, v8, v6, vcc
	global_store_short v[5:6], v7, off
	s_or_b64 exec, exec, s[8:9]
	s_and_saveexec_b64 s[8:9], s[4:5]
	s_cbranch_execz .LBB166_40
.LBB166_72:
	v_bfe_u32 v5, v77, 16, 1
	s_movk_i32 s11, 0x7fff
	v_add3_u32 v5, v77, v5, s11
	v_cmp_o_f32_e32 vcc, v77, v77
	v_mov_b32_e32 v6, 0x7fc0
	v_cndmask_b32_sdwa v7, v6, v5, vcc dst_sel:DWORD dst_unused:UNUSED_PAD src0_sel:DWORD src1_sel:WORD_1
	v_add_u32_e32 v5, v4, v2
	v_mov_b32_e32 v6, 0
	v_lshlrev_b64 v[5:6], 1, v[5:6]
	s_waitcnt lgkmcnt(0)
	v_mov_b32_e32 v8, s13
	v_add_co_u32_e32 v5, vcc, s12, v5
	v_addc_co_u32_e32 v6, vcc, v8, v6, vcc
	global_store_short v[5:6], v7, off
	s_or_b64 exec, exec, s[8:9]
	s_and_saveexec_b64 s[8:9], s[6:7]
	s_cbranch_execnz .LBB166_41
	s_branch .LBB166_42
.LBB166_73:
	v_bfe_u32 v5, v75, 16, 1
	s_movk_i32 s11, 0x7fff
	v_add3_u32 v5, v75, v5, s11
	v_cmp_o_f32_e32 vcc, v75, v75
	v_mov_b32_e32 v6, 0x7fc0
	v_cndmask_b32_sdwa v7, v6, v5, vcc dst_sel:DWORD dst_unused:UNUSED_PAD src0_sel:DWORD src1_sel:WORD_1
	v_add_u32_e32 v5, v4, v0
	v_mov_b32_e32 v6, 0
	v_lshlrev_b64 v[5:6], 1, v[5:6]
	s_waitcnt lgkmcnt(0)
	v_mov_b32_e32 v8, s13
	v_add_co_u32_e32 v5, vcc, s12, v5
	v_addc_co_u32_e32 v6, vcc, v8, v6, vcc
	global_store_short v[5:6], v7, off
	s_or_b64 exec, exec, s[8:9]
	s_and_saveexec_b64 s[8:9], s[2:3]
	s_cbranch_execz .LBB166_45
.LBB166_74:
	v_bfe_u32 v5, v74, 16, 1
	s_movk_i32 s11, 0x7fff
	v_add3_u32 v5, v74, v5, s11
	v_cmp_o_f32_e32 vcc, v74, v74
	v_mov_b32_e32 v6, 0x7fc0
	v_cndmask_b32_sdwa v7, v6, v5, vcc dst_sel:DWORD dst_unused:UNUSED_PAD src0_sel:DWORD src1_sel:WORD_1
	v_add_u32_e32 v5, v4, v1
	v_mov_b32_e32 v6, 0
	v_lshlrev_b64 v[5:6], 1, v[5:6]
	s_waitcnt lgkmcnt(0)
	v_mov_b32_e32 v8, s13
	v_add_co_u32_e32 v5, vcc, s12, v5
	v_addc_co_u32_e32 v6, vcc, v8, v6, vcc
	global_store_short v[5:6], v7, off
	s_or_b64 exec, exec, s[8:9]
	s_and_saveexec_b64 s[8:9], s[4:5]
	s_cbranch_execz .LBB166_46
.LBB166_75:
	v_bfe_u32 v5, v73, 16, 1
	s_movk_i32 s11, 0x7fff
	v_add3_u32 v5, v73, v5, s11
	v_cmp_o_f32_e32 vcc, v73, v73
	v_mov_b32_e32 v6, 0x7fc0
	v_cndmask_b32_sdwa v7, v6, v5, vcc dst_sel:DWORD dst_unused:UNUSED_PAD src0_sel:DWORD src1_sel:WORD_1
	v_add_u32_e32 v5, v4, v2
	v_mov_b32_e32 v6, 0
	v_lshlrev_b64 v[5:6], 1, v[5:6]
	s_waitcnt lgkmcnt(0)
	v_mov_b32_e32 v8, s13
	v_add_co_u32_e32 v5, vcc, s12, v5
	v_addc_co_u32_e32 v6, vcc, v8, v6, vcc
	global_store_short v[5:6], v7, off
	s_or_b64 exec, exec, s[8:9]
	s_and_saveexec_b64 s[8:9], s[6:7]
	s_cbranch_execnz .LBB166_47
	s_branch .LBB166_48
.LBB166_76:
	v_bfe_u32 v5, v71, 16, 1
	s_movk_i32 s11, 0x7fff
	v_add3_u32 v5, v71, v5, s11
	v_cmp_o_f32_e32 vcc, v71, v71
	v_mov_b32_e32 v6, 0x7fc0
	v_cndmask_b32_sdwa v7, v6, v5, vcc dst_sel:DWORD dst_unused:UNUSED_PAD src0_sel:DWORD src1_sel:WORD_1
	v_add_u32_e32 v5, v4, v0
	v_mov_b32_e32 v6, 0
	v_lshlrev_b64 v[5:6], 1, v[5:6]
	s_waitcnt lgkmcnt(0)
	v_mov_b32_e32 v8, s13
	v_add_co_u32_e32 v5, vcc, s12, v5
	v_addc_co_u32_e32 v6, vcc, v8, v6, vcc
	global_store_short v[5:6], v7, off
	s_or_b64 exec, exec, s[8:9]
	s_and_saveexec_b64 s[8:9], s[2:3]
	s_cbranch_execz .LBB166_51
.LBB166_77:
	v_bfe_u32 v5, v70, 16, 1
	s_movk_i32 s11, 0x7fff
	v_add3_u32 v5, v70, v5, s11
	v_cmp_o_f32_e32 vcc, v70, v70
	v_mov_b32_e32 v6, 0x7fc0
	v_cndmask_b32_sdwa v7, v6, v5, vcc dst_sel:DWORD dst_unused:UNUSED_PAD src0_sel:DWORD src1_sel:WORD_1
	v_add_u32_e32 v5, v4, v1
	v_mov_b32_e32 v6, 0
	v_lshlrev_b64 v[5:6], 1, v[5:6]
	s_waitcnt lgkmcnt(0)
	v_mov_b32_e32 v8, s13
	v_add_co_u32_e32 v5, vcc, s12, v5
	v_addc_co_u32_e32 v6, vcc, v8, v6, vcc
	global_store_short v[5:6], v7, off
	s_or_b64 exec, exec, s[8:9]
	s_and_saveexec_b64 s[8:9], s[4:5]
	s_cbranch_execz .LBB166_52
.LBB166_78:
	v_bfe_u32 v5, v69, 16, 1
	s_movk_i32 s11, 0x7fff
	v_add3_u32 v5, v69, v5, s11
	v_cmp_o_f32_e32 vcc, v69, v69
	v_mov_b32_e32 v6, 0x7fc0
	v_cndmask_b32_sdwa v7, v6, v5, vcc dst_sel:DWORD dst_unused:UNUSED_PAD src0_sel:DWORD src1_sel:WORD_1
	v_add_u32_e32 v5, v4, v2
	v_mov_b32_e32 v6, 0
	v_lshlrev_b64 v[5:6], 1, v[5:6]
	s_waitcnt lgkmcnt(0)
	v_mov_b32_e32 v8, s13
	v_add_co_u32_e32 v5, vcc, s12, v5
	v_addc_co_u32_e32 v6, vcc, v8, v6, vcc
	global_store_short v[5:6], v7, off
	s_or_b64 exec, exec, s[8:9]
	s_and_saveexec_b64 s[8:9], s[6:7]
	s_cbranch_execnz .LBB166_53
	s_branch .LBB166_54
.LBB166_79:
	v_bfe_u32 v5, v67, 16, 1
	s_movk_i32 s0, 0x7fff
	v_add3_u32 v5, v67, v5, s0
	v_cmp_o_f32_e32 vcc, v67, v67
	v_mov_b32_e32 v6, 0x7fc0
	v_cndmask_b32_sdwa v7, v6, v5, vcc dst_sel:DWORD dst_unused:UNUSED_PAD src0_sel:DWORD src1_sel:WORD_1
	v_add_u32_e32 v5, v4, v0
	v_mov_b32_e32 v6, 0
	v_lshlrev_b64 v[5:6], 1, v[5:6]
	s_waitcnt lgkmcnt(0)
	v_mov_b32_e32 v0, s13
	v_add_co_u32_e32 v5, vcc, s12, v5
	v_addc_co_u32_e32 v6, vcc, v0, v6, vcc
	global_store_short v[5:6], v7, off
	s_or_b64 exec, exec, s[8:9]
	s_and_saveexec_b64 s[0:1], s[2:3]
	s_cbranch_execz .LBB166_57
.LBB166_80:
	v_bfe_u32 v0, v66, 16, 1
	s_movk_i32 s2, 0x7fff
	v_add3_u32 v0, v66, v0, s2
	v_cmp_o_f32_e32 vcc, v66, v66
	v_mov_b32_e32 v5, 0x7fc0
	v_cndmask_b32_sdwa v5, v5, v0, vcc dst_sel:DWORD dst_unused:UNUSED_PAD src0_sel:DWORD src1_sel:WORD_1
	v_add_u32_e32 v0, v4, v1
	v_mov_b32_e32 v1, 0
	v_lshlrev_b64 v[0:1], 1, v[0:1]
	s_waitcnt lgkmcnt(0)
	v_mov_b32_e32 v6, s13
	v_add_co_u32_e32 v0, vcc, s12, v0
	v_addc_co_u32_e32 v1, vcc, v6, v1, vcc
	global_store_short v[0:1], v5, off
	s_or_b64 exec, exec, s[0:1]
	s_and_saveexec_b64 s[0:1], s[4:5]
	s_cbranch_execz .LBB166_58
.LBB166_81:
	v_bfe_u32 v0, v65, 16, 1
	s_movk_i32 s2, 0x7fff
	v_add3_u32 v0, v65, v0, s2
	v_cmp_o_f32_e32 vcc, v65, v65
	v_mov_b32_e32 v1, 0x7fc0
	v_cndmask_b32_sdwa v5, v1, v0, vcc dst_sel:DWORD dst_unused:UNUSED_PAD src0_sel:DWORD src1_sel:WORD_1
	v_add_u32_e32 v0, v4, v2
	v_mov_b32_e32 v1, 0
	v_lshlrev_b64 v[0:1], 1, v[0:1]
	s_waitcnt lgkmcnt(0)
	v_mov_b32_e32 v2, s13
	v_add_co_u32_e32 v0, vcc, s12, v0
	v_addc_co_u32_e32 v1, vcc, v2, v1, vcc
	global_store_short v[0:1], v5, off
	s_or_b64 exec, exec, s[0:1]
	s_and_b64 exec, exec, s[6:7]
	s_cbranch_execnz .LBB166_59
	s_branch .LBB166_60
	.section	.rodata,"a",@progbits
	.p2align	6, 0x0
	.amdhsa_kernel _ZL12mul_mat_q8_0IN3c108BFloat16ELb1EEvPKvS3_PT_iiiii
		.amdhsa_group_segment_fixed_size 28224
		.amdhsa_private_segment_fixed_size 172
		.amdhsa_kernarg_size 44
		.amdhsa_user_sgpr_count 6
		.amdhsa_user_sgpr_private_segment_buffer 1
		.amdhsa_user_sgpr_dispatch_ptr 0
		.amdhsa_user_sgpr_queue_ptr 0
		.amdhsa_user_sgpr_kernarg_segment_ptr 1
		.amdhsa_user_sgpr_dispatch_id 0
		.amdhsa_user_sgpr_flat_scratch_init 0
		.amdhsa_user_sgpr_private_segment_size 0
		.amdhsa_uses_dynamic_stack 0
		.amdhsa_system_sgpr_private_segment_wavefront_offset 1
		.amdhsa_system_sgpr_workgroup_id_x 1
		.amdhsa_system_sgpr_workgroup_id_y 1
		.amdhsa_system_sgpr_workgroup_id_z 0
		.amdhsa_system_sgpr_workgroup_info 0
		.amdhsa_system_vgpr_workitem_id 1
		.amdhsa_next_free_vgpr 128
		.amdhsa_next_free_sgpr 98
		.amdhsa_reserve_vcc 1
		.amdhsa_reserve_flat_scratch 0
		.amdhsa_float_round_mode_32 0
		.amdhsa_float_round_mode_16_64 0
		.amdhsa_float_denorm_mode_32 3
		.amdhsa_float_denorm_mode_16_64 3
		.amdhsa_dx10_clamp 1
		.amdhsa_ieee_mode 1
		.amdhsa_fp16_overflow 0
		.amdhsa_exception_fp_ieee_invalid_op 0
		.amdhsa_exception_fp_denorm_src 0
		.amdhsa_exception_fp_ieee_div_zero 0
		.amdhsa_exception_fp_ieee_overflow 0
		.amdhsa_exception_fp_ieee_underflow 0
		.amdhsa_exception_fp_ieee_inexact 0
		.amdhsa_exception_int_div_zero 0
	.end_amdhsa_kernel
	.section	.text._ZL12mul_mat_q8_0IN3c108BFloat16ELb1EEvPKvS3_PT_iiiii,"axG",@progbits,_ZL12mul_mat_q8_0IN3c108BFloat16ELb1EEvPKvS3_PT_iiiii,comdat
.Lfunc_end166:
	.size	_ZL12mul_mat_q8_0IN3c108BFloat16ELb1EEvPKvS3_PT_iiiii, .Lfunc_end166-_ZL12mul_mat_q8_0IN3c108BFloat16ELb1EEvPKvS3_PT_iiiii
                                        ; -- End function
	.set _ZL12mul_mat_q8_0IN3c108BFloat16ELb1EEvPKvS3_PT_iiiii.num_vgpr, 128
	.set _ZL12mul_mat_q8_0IN3c108BFloat16ELb1EEvPKvS3_PT_iiiii.num_agpr, 0
	.set _ZL12mul_mat_q8_0IN3c108BFloat16ELb1EEvPKvS3_PT_iiiii.numbered_sgpr, 24
	.set _ZL12mul_mat_q8_0IN3c108BFloat16ELb1EEvPKvS3_PT_iiiii.num_named_barrier, 0
	.set _ZL12mul_mat_q8_0IN3c108BFloat16ELb1EEvPKvS3_PT_iiiii.private_seg_size, 172
	.set _ZL12mul_mat_q8_0IN3c108BFloat16ELb1EEvPKvS3_PT_iiiii.uses_vcc, 1
	.set _ZL12mul_mat_q8_0IN3c108BFloat16ELb1EEvPKvS3_PT_iiiii.uses_flat_scratch, 0
	.set _ZL12mul_mat_q8_0IN3c108BFloat16ELb1EEvPKvS3_PT_iiiii.has_dyn_sized_stack, 0
	.set _ZL12mul_mat_q8_0IN3c108BFloat16ELb1EEvPKvS3_PT_iiiii.has_recursion, 0
	.set _ZL12mul_mat_q8_0IN3c108BFloat16ELb1EEvPKvS3_PT_iiiii.has_indirect_call, 0
	.section	.AMDGPU.csdata,"",@progbits
; Kernel info:
; codeLenInByte = 9856
; TotalNumSgprs: 28
; NumVgprs: 128
; ScratchSize: 172
; MemoryBound: 0
; FloatMode: 240
; IeeeMode: 1
; LDSByteSize: 28224 bytes/workgroup (compile time only)
; SGPRBlocks: 12
; VGPRBlocks: 31
; NumSGPRsForWavesPerEU: 102
; NumVGPRsForWavesPerEU: 128
; Occupancy: 2
; WaveLimiterHint : 0
; COMPUTE_PGM_RSRC2:SCRATCH_EN: 1
; COMPUTE_PGM_RSRC2:USER_SGPR: 6
; COMPUTE_PGM_RSRC2:TRAP_HANDLER: 0
; COMPUTE_PGM_RSRC2:TGID_X_EN: 1
; COMPUTE_PGM_RSRC2:TGID_Y_EN: 1
; COMPUTE_PGM_RSRC2:TGID_Z_EN: 0
; COMPUTE_PGM_RSRC2:TIDIG_COMP_CNT: 1
	.section	.text._ZL12mul_mat_q2_KIN3c108BFloat16ELb0EEvPKvS3_PT_iiiii,"axG",@progbits,_ZL12mul_mat_q2_KIN3c108BFloat16ELb0EEvPKvS3_PT_iiiii,comdat
	.globl	_ZL12mul_mat_q2_KIN3c108BFloat16ELb0EEvPKvS3_PT_iiiii ; -- Begin function _ZL12mul_mat_q2_KIN3c108BFloat16ELb0EEvPKvS3_PT_iiiii
	.p2align	8
	.type	_ZL12mul_mat_q2_KIN3c108BFloat16ELb0EEvPKvS3_PT_iiiii,@function
_ZL12mul_mat_q2_KIN3c108BFloat16ELb0EEvPKvS3_PT_iiiii: ; @_ZL12mul_mat_q2_KIN3c108BFloat16ELb0EEvPKvS3_PT_iiiii
; %bb.0:
	s_mov_b64 s[22:23], s[2:3]
	s_mov_b64 s[20:21], s[0:1]
	s_add_u32 s20, s20, s8
	s_load_dword s14, s[4:5], 0x18
	s_load_dwordx4 s[8:11], s[4:5], 0x20
	s_addc_u32 s21, s21, 0
	v_mov_b32_e32 v37, v1
	s_waitcnt lgkmcnt(0)
	s_lshl_b32 s11, s7, 6
	v_mov_b32_e32 v43, v0
	s_cmpk_gt_i32 s14, 0xff
	v_add_u32_e32 v44, s11, v37
	s_cbranch_scc1 .LBB167_2
; %bb.1:
	v_add_u32_e32 v0, s11, v37
	s_mov_b64 s[0:1], 0
	s_branch .LBB167_3
.LBB167_2:
	s_mov_b64 s[0:1], -1
                                        ; implicit-def: $vgpr0
.LBB167_3:
	s_load_dwordx2 s[12:13], s[4:5], 0x10
	s_lshl_b32 s6, s6, 7
	v_mov_b32_e32 v15, 0
	s_andn2_b64 vcc, exec, s[0:1]
	v_mov_b32_e32 v19, 0
	v_mov_b32_e32 v23, 0
	;; [unrolled: 1-line block ×31, first 2 shown]
	s_cbranch_vccnz .LBB167_18
; %bb.4:
	s_load_dwordx4 s[0:3], s[4:5], 0x0
	s_ashr_i32 s4, s14, 31
	s_lshr_b32 s4, s4, 24
	s_add_i32 s14, s14, s4
	s_ashr_i32 s5, s9, 31
	s_ashr_i32 s4, s14, 8
	s_lshr_b32 s5, s5, 27
	s_add_i32 s5, s9, s5
	s_mul_i32 s7, s4, s6
	s_ashr_i32 s9, s5, 5
	s_mul_hi_i32 s14, s7, 0x54
	s_mulk_i32 s7, 0x54
	s_waitcnt lgkmcnt(0)
	s_add_u32 s0, s0, s7
	v_lshlrev_b32_e32 v2, 2, v43
	s_addc_u32 s1, s1, s14
	v_and_b32_e32 v0, 60, v2
	s_movk_i32 s14, 0x84
	buffer_store_dword v0, off, s[20:23], 0 offset:100 ; 4-byte Folded Spill
	v_mad_u32_u24 v0, v37, s14, v2
	s_lshl_b32 s14, s4, 3
	buffer_store_dword v0, off, s[20:23], 0 offset:104 ; 4-byte Folded Spill
	v_mov_b32_e32 v0, s14
	v_mad_i32_i24 v0, s4, v37, v0
	buffer_store_dword v0, off, s[20:23], 0 offset:108 ; 4-byte Folded Spill
	v_add_u32_e32 v0, s14, v0
	buffer_store_dword v0, off, s[20:23], 0 offset:112 ; 4-byte Folded Spill
	v_add_u32_e32 v0, s14, v0
	;; [unrolled: 2-line block ×14, first 2 shown]
	buffer_store_dword v0, off, s[20:23], 0 offset:164 ; 4-byte Folded Spill
	v_lshlrev_b32_e32 v13, 4, v37
	v_lshrrev_b32_e32 v0, 1, v43
	v_add_u32_e32 v0, v0, v13
	v_and_b32_e32 v1, 0x7f, v0
	v_and_b32_e32 v3, 1, v43
	v_mul_i32_i24_e32 v4, s4, v1
	buffer_store_dword v4, off, s[20:23], 0 offset:172 ; 4-byte Folded Spill
	buffer_store_dword v3, off, s[20:23], 0 offset:168 ; 4-byte Folded Spill
	v_lshlrev_b32_e32 v3, 2, v3
	v_lshrrev_b32_e32 v0, 2, v0
	v_lshl_or_b32 v1, v1, 3, v3
	v_and_b32_e32 v0, 28, v0
	s_movk_i32 s14, 0x7280
	v_add3_u32 v0, v1, v0, s14
	v_and_b32_e32 v1, 7, v43
	v_cmp_lt_u32_e32 vcc, 3, v1
	buffer_store_dword v0, off, s[20:23], 0 offset:176 ; 4-byte Folded Spill
	v_lshrrev_b32_e32 v0, 3, v43
	v_cndmask_b32_e64 v3, 0, 1, vcc
	buffer_store_dword v0, off, s[20:23], 0 offset:180 ; 4-byte Folded Spill
	v_lshl_add_u32 v0, v37, 2, v0
	buffer_store_dword v3, off, s[20:23], 0 offset:184 ; 4-byte Folded Spill
	v_and_b32_e32 v3, 12, v2
	buffer_store_dword v3, off, s[20:23], 0 offset:188 ; 4-byte Folded Spill
	v_mul_i32_i24_e32 v3, s4, v0
	s_lshl_b32 s15, s4, 5
	buffer_store_dword v3, off, s[20:23], 0 offset:192 ; 4-byte Folded Spill
	v_and_b32_e32 v3, 0x7fc, v0
	v_lshlrev_b32_e32 v1, 2, v1
	s_movk_i32 s14, 0x6200
	v_mov_b32_e32 v4, s15
	v_add3_u32 v14, v3, v1, s14
	v_add_u32_e32 v3, 32, v0
	v_mad_i32_i24 v5, s4, v0, v4
	v_and_b32_e32 v4, 0xffc, v3
	v_lshlrev_b32_e32 v17, 5, v3
	v_add_u32_e32 v3, 64, v0
	buffer_store_dword v5, off, s[20:23], 0 offset:196 ; 4-byte Folded Spill
	v_add_u32_e32 v5, s15, v5
	v_lshlrev_b32_e32 v15, 5, v0
	v_add3_u32 v16, v4, v1, s14
	v_and_b32_e32 v4, 0xffc, v3
	v_lshlrev_b32_e32 v19, 5, v3
	v_add_u32_e32 v0, 0x60, v0
	v_add_u32_e32 v3, s15, v5
	buffer_store_dword v3, off, s[20:23], 0 offset:204 ; 4-byte Folded Spill
	v_and_b32_e32 v3, 0xffc, v0
	v_add3_u32 v20, v3, v1, s14
	v_and_b32_e32 v3, 31, v43
	v_and_b32_e32 v12, 28, v2
	v_mov_b32_e32 v2, 0x4200
	v_add3_u32 v18, v4, v1, s14
	s_add_i32 s14, s8, -1
	v_lshl_or_b32 v30, v3, 2, v2
	v_lshrrev_b32_e32 v2, 2, v43
	v_lshlrev_b32_e32 v21, 5, v0
	v_cvt_f64_i32_e32 v[0:1], s14
	v_lshl_add_u32 v4, v37, 3, v2
	v_cvt_f64_u32_e32 v[2:3], v44
	buffer_store_dword v5, off, s[20:23], 0 offset:200 ; 4-byte Folded Spill
	v_add_u32_e32 v5, 8, v44
	v_cvt_f64_u32_e32 v[5:6], v5
	v_min_f64 v[2:3], v[2:3], v[0:1]
	v_add_u32_e32 v7, 16, v44
	v_cvt_f64_u32_e32 v[7:8], v7
	v_min_f64 v[5:6], v[5:6], v[0:1]
	v_and_b32_e32 v9, 63, v4
	v_or_b32_e32 v10, s11, v9
	v_min_f64 v[7:8], v[7:8], v[0:1]
	v_and_b32_e32 v4, 3, v43
	v_cvt_i32_f64_e32 v2, v[2:3]
	v_min_i32_e32 v10, s14, v10
	v_add_u32_e32 v26, 0x60, v43
	v_mad_u64_u32 v[10:11], s[14:15], v10, s9, v[4:5]
	v_mul_lo_u32 v2, s9, v2
	v_lshlrev_b32_e32 v4, 2, v4
	v_lshl_or_b32 v3, v9, 4, v4
	buffer_store_dword v10, off, s[20:23], 0 offset:212 ; 4-byte Folded Spill
	s_nop 0
	buffer_store_dword v11, off, s[20:23], 0 offset:216 ; 4-byte Folded Spill
	v_add_u32_e32 v3, 0x76a0, v3
	buffer_store_dword v2, off, s[20:23], 0 offset:8 ; 4-byte Folded Spill
	v_cvt_i32_f64_e32 v2, v[7:8]
	buffer_store_dword v3, off, s[20:23], 0 offset:4 ; 4-byte Folded Spill
	v_cvt_i32_f64_e32 v3, v[5:6]
	v_add_u32_e32 v4, 32, v44
	v_mul_lo_u32 v2, s9, v2
	v_add_u32_e32 v6, 40, v44
	v_mul_lo_u32 v3, s9, v3
	v_add_u32_e32 v8, 48, v44
	buffer_store_dword v2, off, s[20:23], 0 offset:16 ; 4-byte Folded Spill
	v_add_u32_e32 v2, 24, v44
	buffer_store_dword v3, off, s[20:23], 0 offset:12 ; 4-byte Folded Spill
	v_cvt_f64_u32_e32 v[2:3], v2
	v_add_u32_e32 v10, 56, v44
	v_cvt_f64_u32_e32 v[4:5], v4
	v_cvt_f64_u32_e32 v[6:7], v6
	v_min_f64 v[2:3], v[2:3], v[0:1]
	v_cvt_f64_u32_e32 v[8:9], v8
	v_cvt_f64_u32_e32 v[10:11], v10
	v_min_f64 v[4:5], v[4:5], v[0:1]
	v_min_f64 v[6:7], v[6:7], v[0:1]
	v_mov_b32_e32 v29, s3
	buffer_store_dword v44, off, s[20:23], 0 offset:256 ; 4-byte Folded Spill
	v_lshlrev_b32_e32 v31, 7, v37
	v_cvt_i32_f64_e32 v24, v[2:3]
	v_min_f64 v[2:3], v[8:9], v[0:1]
	v_min_f64 v[0:1], v[10:11], v[0:1]
	v_cvt_i32_f64_e32 v4, v[4:5]
	v_cvt_i32_f64_e32 v6, v[6:7]
	v_add_u32_e32 v7, 32, v43
	v_add_u32_e32 v10, 64, v43
	v_lshrrev_b32_e32 v11, 3, v7
	v_mul_lo_u32 v5, s9, v24
	v_cvt_i32_f64_e32 v2, v[2:3]
	v_cvt_i32_f64_e32 v0, v[0:1]
	v_mul_lo_u32 v4, s9, v4
	v_mul_lo_u32 v3, s9, v6
	;; [unrolled: 1-line block ×4, first 2 shown]
	buffer_store_dword v11, off, s[20:23], 0 offset:224 ; 4-byte Folded Spill
	v_lshrrev_b32_e32 v11, 3, v10
	buffer_store_dword v11, off, s[20:23], 0 offset:244 ; 4-byte Folded Spill
	v_lshrrev_b32_e32 v11, 3, v26
	buffer_store_dword v11, off, s[20:23], 0 offset:248 ; 4-byte Folded Spill
	v_add_co_u32_e32 v11, vcc, s2, v12
	v_addc_co_u32_e32 v12, vcc, 0, v29, vcc
	buffer_store_dword v5, off, s[20:23], 0 offset:20 ; 4-byte Folded Spill
	buffer_store_dword v4, off, s[20:23], 0 offset:24 ; 4-byte Folded Spill
	;; [unrolled: 1-line block ×5, first 2 shown]
	v_mul_u32_u24_e32 v3, 33, v43
	buffer_store_dword v11, off, s[20:23], 0 offset:40 ; 4-byte Folded Spill
	s_nop 0
	buffer_store_dword v12, off, s[20:23], 0 offset:44 ; 4-byte Folded Spill
	v_lshlrev_b32_e32 v11, 2, v3
	v_add_u32_e32 v3, 0x76a0, v13
	buffer_store_dword v3, off, s[20:23], 0 offset:48 ; 4-byte Folded Spill
	buffer_store_dword v31, off, s[20:23], 0 offset:220 ; 4-byte Folded Spill
	v_add_u32_e32 v3, 0x4200, v31
	v_lshlrev_b32_e32 v8, 1, v7
	v_lshrrev_b32_e32 v9, 4, v7
	buffer_store_dword v3, off, s[20:23], 0 offset:52 ; 4-byte Folded Spill
	v_lshlrev_b32_e32 v3, 5, v43
	v_and_b32_e32 v7, 0x1fc, v7
	v_add_u32_e32 v62, v3, v7
	v_and_b32_e32 v7, 0x1fc, v10
	v_and_b32_e32 v13, 0xfc, v43
	v_add_u32_e32 v66, v3, v7
	v_and_b32_e32 v7, 0x1fc, v26
	v_add_u32_e32 v12, v3, v13
	v_add_u32_e32 v81, v3, v7
	;; [unrolled: 1-line block ×3, first 2 shown]
	buffer_store_dword v3, off, s[20:23], 0 offset:228 ; 4-byte Folded Spill
	v_add_u32_e32 v3, v16, v17
	buffer_store_dword v3, off, s[20:23], 0 offset:232 ; 4-byte Folded Spill
	v_add_u32_e32 v3, v18, v19
	v_add_u32_e32 v22, 0x400, v31
	buffer_store_dword v3, off, s[20:23], 0 offset:236 ; 4-byte Folded Spill
	v_add_u32_e32 v3, v20, v21
	;; [unrolled: 3-line block ×3, first 2 shown]
	v_add_u32_e32 v5, 0xc00, v31
	v_add_u32_e32 v1, 0x1400, v31
	buffer_store_dword v3, off, s[20:23], 0 offset:56 ; 4-byte Folded Spill
	v_add_u32_e32 v3, v30, v23
	v_add_u32_e32 v4, 0x1000, v31
	;; [unrolled: 1-line block ×3, first 2 shown]
	buffer_store_dword v3, off, s[20:23], 0 offset:60 ; 4-byte Folded Spill
	v_add_u32_e32 v3, v30, v5
	v_add_u32_e32 v1, v30, v1
	;; [unrolled: 1-line block ×3, first 2 shown]
	v_lshlrev_b32_e32 v6, 1, v43
	v_lshlrev_b32_e32 v24, 1, v10
	v_lshrrev_b32_e32 v25, 4, v10
	v_lshlrev_b32_e32 v27, 1, v26
	v_lshrrev_b32_e32 v28, 4, v26
	buffer_store_dword v3, off, s[20:23], 0 offset:64 ; 4-byte Folded Spill
	v_add_u32_e32 v3, v30, v4
	buffer_store_dword v1, off, s[20:23], 0 offset:72 ; 4-byte Folded Spill
	v_add_u32_e32 v1, v30, v2
	s_movk_i32 s5, 0x54
	v_lshrrev_b32_e32 v90, 4, v43
	s_mov_b32 s7, 0
	v_mov_b32_e32 v39, 0
	buffer_store_dword v43, off, s[20:23], 0 offset:252 ; 4-byte Folded Spill
	s_mov_b32 s9, 0x1010101
	buffer_store_dword v3, off, s[20:23], 0 offset:68 ; 4-byte Folded Spill
	buffer_store_dword v1, off, s[20:23], 0 offset:76 ; 4-byte Folded Spill
	;; [unrolled: 1-line block ×3, first 2 shown]
	v_add_u32_e32 v0, v30, v0
	v_lshlrev_b32_e32 v10, 2, v6
	v_lshlrev_b32_e32 v63, 2, v9
	;; [unrolled: 1-line block ×7, first 2 shown]
	v_mov_b32_e32 v55, 0
	v_mov_b32_e32 v40, 0
	v_mov_b32_e32 v34, 0
	v_mov_b32_e32 v30, 0
	v_mov_b32_e32 v26, 0
	v_mov_b32_e32 v22, 0
	v_mov_b32_e32 v18, 0
	v_mov_b32_e32 v76, 0
	v_mov_b32_e32 v45, 0
	v_mov_b32_e32 v38, 0
	v_mov_b32_e32 v33, 0
	v_mov_b32_e32 v29, 0
	v_mov_b32_e32 v25, 0
	v_mov_b32_e32 v21, 0
	v_mov_b32_e32 v17, 0
	v_mov_b32_e32 v73, 0
	v_mov_b32_e32 v42, 0
	v_mov_b32_e32 v36, 0
	v_mov_b32_e32 v32, 0
	v_mov_b32_e32 v28, 0
	v_mov_b32_e32 v24, 0
	v_mov_b32_e32 v20, 0
	v_mov_b32_e32 v16, 0
	v_mov_b32_e32 v67, 0
	v_mov_b32_e32 v41, 0
	v_mov_b32_e32 v35, 0
	v_mov_b32_e32 v31, 0
	v_mov_b32_e32 v27, 0
	v_mov_b32_e32 v23, 0
	v_mov_b32_e32 v19, 0
	v_mov_b32_e32 v15, 0
	buffer_store_dword v0, off, s[20:23], 0 offset:80 ; 4-byte Folded Spill
	buffer_store_dword v37, off, s[20:23], 0 offset:92 ; 4-byte Folded Spill
	;; [unrolled: 1-line block ×3, first 2 shown]
	buffer_store_dword v63, off, s[20:23], 0 ; 4-byte Folded Spill
	s_branch .LBB167_7
.LBB167_5:                              ;   in Loop: Header=BB167_7 Depth=1
	v_mov_b32_e32 v11, v91
.LBB167_6:                              ;   in Loop: Header=BB167_7 Depth=1
	buffer_load_dword v37, off, s[20:23], 0 offset:92 ; 4-byte Folded Reload
	buffer_load_dword v90, off, s[20:23], 0 offset:96 ; 4-byte Folded Reload
	s_add_i32 s7, s7, 2
	s_cmp_ge_i32 s7, s4
	s_cbranch_scc1 .LBB167_17
.LBB167_7:                              ; =>This Loop Header: Depth=1
                                        ;     Child Loop BB167_8 Depth 2
                                        ;     Child Loop BB167_10 Depth 2
	;; [unrolled: 1-line block ×4, first 2 shown]
	buffer_load_dword v6, off, s[20:23], 0 offset:100 ; 4-byte Folded Reload
	buffer_load_dword v7, off, s[20:23], 0 offset:104 ; 4-byte Folded Reload
	s_mul_i32 s14, s7, 0x54
	s_mul_hi_u32 s15, s7, 0x54
	s_add_u32 s14, s0, s14
	s_addc_u32 s15, s1, s15
	v_mov_b32_e32 v2, s14
	v_mov_b32_e32 v3, s15
	s_waitcnt vmcnt(2)
	v_mad_u64_u32 v[4:5], s[14:15], v90, s5, v[2:3]
	v_mul_i32_i24_e32 v0, s4, v37
	v_mov_b32_e32 v116, 15
	v_mad_u64_u32 v[0:1], s[14:15], v0, s5, v[4:5]
	v_mov_b32_e32 v110, 4
	s_waitcnt vmcnt(1)
	v_add_co_u32_e32 v0, vcc, v0, v6
	v_addc_co_u32_e32 v1, vcc, 0, v1, vcc
	global_load_dword v0, v[0:1], off offset:16
	s_waitcnt vmcnt(0)
	ds_write_b32 v7, v0
	buffer_load_dword v0, off, s[20:23], 0 offset:108 ; 4-byte Folded Reload
	s_waitcnt vmcnt(0)
	v_mad_u64_u32 v[0:1], s[14:15], v0, s5, v[4:5]
	v_add_co_u32_e32 v0, vcc, v0, v6
	v_addc_co_u32_e32 v1, vcc, 0, v1, vcc
	global_load_dword v0, v[0:1], off offset:16
	v_add_u32_e32 v1, 0x420, v7
	s_waitcnt vmcnt(0)
	ds_write_b32 v1, v0
	buffer_load_dword v0, off, s[20:23], 0 offset:112 ; 4-byte Folded Reload
	s_waitcnt vmcnt(0)
	v_mad_u64_u32 v[0:1], s[14:15], v0, s5, v[4:5]
	v_add_co_u32_e32 v0, vcc, v0, v6
	v_addc_co_u32_e32 v1, vcc, 0, v1, vcc
	global_load_dword v0, v[0:1], off offset:16
	v_add_u32_e32 v1, 0x840, v7
	;; [unrolled: 9-line block ×14, first 2 shown]
	s_waitcnt vmcnt(0)
	ds_write_b32 v1, v0
	buffer_load_dword v0, off, s[20:23], 0 offset:164 ; 4-byte Folded Reload
	s_waitcnt vmcnt(0)
	v_mad_u64_u32 v[0:1], s[14:15], v0, s5, v[4:5]
	buffer_load_dword v4, off, s[20:23], 0 offset:168 ; 4-byte Folded Reload
	v_add_co_u32_e32 v0, vcc, v0, v6
	v_addc_co_u32_e32 v1, vcc, 0, v1, vcc
	global_load_dword v0, v[0:1], off offset:16
	v_add_u32_e32 v1, 0x3de0, v7
	s_waitcnt vmcnt(0)
	ds_write_b32 v1, v0
	buffer_load_dword v0, off, s[20:23], 0 offset:172 ; 4-byte Folded Reload
	s_waitcnt vmcnt(0)
	v_mad_u64_u32 v[0:1], s[14:15], v0, s5, v[2:3]
	v_mad_u64_u32 v[0:1], s[14:15], v4, s5, v[0:1]
	global_load_dword v0, v[0:1], off offset:80
	s_nop 0
	buffer_load_dword v1, off, s[20:23], 0 offset:176 ; 4-byte Folded Reload
	s_waitcnt vmcnt(0)
	ds_write_b32 v1, v0
	buffer_load_dword v0, off, s[20:23], 0 offset:184 ; 4-byte Folded Reload
	s_waitcnt vmcnt(0)
	v_mad_u64_u32 v[0:1], s[14:15], v0, s5, v[2:3]
	buffer_load_dword v2, off, s[20:23], 0 offset:188 ; 4-byte Folded Reload
	s_waitcnt vmcnt(0)
	v_add_co_u32_e32 v0, vcc, v0, v2
	buffer_load_dword v2, off, s[20:23], 0 offset:192 ; 4-byte Folded Reload
	v_addc_co_u32_e32 v1, vcc, 0, v1, vcc
	s_waitcnt vmcnt(0)
	v_mad_u64_u32 v[2:3], s[14:15], v2, s5, v[0:1]
	global_load_dword v2, v[2:3], off
	s_nop 0
	buffer_load_dword v3, off, s[20:23], 0 offset:228 ; 4-byte Folded Reload
	s_waitcnt vmcnt(0)
	ds_write_b32 v3, v2
	buffer_load_dword v2, off, s[20:23], 0 offset:196 ; 4-byte Folded Reload
	s_waitcnt vmcnt(0)
	v_mad_u64_u32 v[2:3], s[14:15], v2, s5, v[0:1]
	global_load_dword v2, v[2:3], off
	s_nop 0
	buffer_load_dword v3, off, s[20:23], 0 offset:232 ; 4-byte Folded Reload
	s_waitcnt vmcnt(0)
	ds_write_b32 v3, v2
	buffer_load_dword v2, off, s[20:23], 0 offset:200 ; 4-byte Folded Reload
	;; [unrolled: 8-line block ×3, first 2 shown]
	s_waitcnt vmcnt(0)
	v_mad_u64_u32 v[0:1], s[14:15], v2, s5, v[0:1]
	s_lshl_b32 s14, s7, 3
	s_mov_b32 s15, 0
	global_load_dword v0, v[0:1], off
	s_nop 0
	buffer_load_dword v1, off, s[20:23], 0 offset:240 ; 4-byte Folded Reload
	s_waitcnt vmcnt(0)
	ds_write_b32 v1, v0
	buffer_load_dword v0, off, s[20:23], 0 offset:212 ; 4-byte Folded Reload
	buffer_load_dword v1, off, s[20:23], 0 offset:216 ; 4-byte Folded Reload
	s_waitcnt vmcnt(1)
	v_add_u32_e32 v6, s14, v0
	buffer_load_dword v0, off, s[20:23], 0 offset:180 ; 4-byte Folded Reload
	s_waitcnt vmcnt(0)
	v_add_u32_e32 v2, s14, v0
	buffer_load_dword v0, off, s[20:23], 0 offset:8 ; 4-byte Folded Reload
	buffer_load_dword v4, off, s[20:23], 0 offset:40 ; 4-byte Folded Reload
	;; [unrolled: 1-line block ×3, first 2 shown]
	s_waitcnt vmcnt(2)
	v_add_u32_e32 v0, v2, v0
	s_waitcnt vmcnt(0)
	v_mad_i64_i32 v[0:1], s[16:17], v0, 36, v[4:5]
	global_load_dword v0, v[0:1], off offset:4
	s_nop 0
	buffer_load_dword v1, off, s[20:23], 0 offset:208 ; 4-byte Folded Reload
	buffer_load_dword v3, off, s[20:23], 0 offset:220 ; 4-byte Folded Reload
	s_waitcnt vmcnt(0)
	v_add_u32_e32 v1, v1, v3
	ds_write_b32 v1, v0
	buffer_load_dword v0, off, s[20:23], 0 offset:12 ; 4-byte Folded Reload
	s_waitcnt vmcnt(0)
	v_add_u32_e32 v0, v2, v0
	buffer_store_dword v1, off, s[20:23], 0 offset:88 ; 4-byte Folded Spill
	v_mad_i64_i32 v[0:1], s[16:17], v0, 36, v[4:5]
	buffer_store_dword v6, off, s[20:23], 0 offset:84 ; 4-byte Folded Spill
	global_load_dword v0, v[0:1], off offset:4
	s_nop 0
	buffer_load_dword v1, off, s[20:23], 0 offset:56 ; 4-byte Folded Reload
	s_waitcnt vmcnt(0)
	ds_write_b32 v1, v0
	buffer_load_dword v0, off, s[20:23], 0 offset:16 ; 4-byte Folded Reload
	s_waitcnt vmcnt(0)
	v_add_u32_e32 v0, v2, v0
	v_mad_i64_i32 v[0:1], s[16:17], v0, 36, v[4:5]
	global_load_dword v0, v[0:1], off offset:4
	s_nop 0
	buffer_load_dword v1, off, s[20:23], 0 offset:60 ; 4-byte Folded Reload
	s_waitcnt vmcnt(0)
	ds_write_b32 v1, v0
	buffer_load_dword v0, off, s[20:23], 0 offset:20 ; 4-byte Folded Reload
	s_waitcnt vmcnt(0)
	v_add_u32_e32 v0, v2, v0
	v_mad_i64_i32 v[0:1], s[16:17], v0, 36, v[4:5]
	;; [unrolled: 9-line block ×6, first 2 shown]
	global_load_dword v0, v[0:1], off offset:4
	s_nop 0
	buffer_load_dword v1, off, s[20:23], 0 offset:80 ; 4-byte Folded Reload
	s_waitcnt vmcnt(0)
	ds_write_b32 v1, v0
	v_mad_u64_u32 v[0:1], s[16:17], v6, 36, s[2:3]
	global_load_dword v0, v[0:1], off
	s_nop 0
	buffer_load_dword v1, off, s[20:23], 0 offset:4 ; 4-byte Folded Reload
	s_waitcnt vmcnt(1)
	v_cvt_f32_f16_e32 v0, v0
	s_waitcnt vmcnt(0)
	ds_write_b32 v1, v0
	s_waitcnt lgkmcnt(0)
	s_barrier
	buffer_load_dword v120, off, s[20:23], 0 offset:52 ; 4-byte Folded Reload
	buffer_load_dword v121, off, s[20:23], 0 offset:48 ; 4-byte Folded Reload
.LBB167_8:                              ;   Parent Loop BB167_7 Depth=1
                                        ; =>  This Inner Loop Header: Depth=2
	s_and_b32 s17, s15, 0x3ffffff8
	v_lshl_add_u32 v80, s17, 2, v11
	s_waitcnt vmcnt(0)
	ds_read2_b32 v[13:14], v121 offset1:32
	ds_read_b128 v[6:9], v120
	ds_read_b128 v[2:5], v120 offset:16
	ds_read2_b32 v[0:1], v80 offset1:1
	s_lshr_b32 s17, s15, 2
	s_and_b32 s16, s15, -16
	s_and_b32 s17, s17, 0x3ffffffc
	s_add_i32 s16, s15, s16
	s_waitcnt lgkmcnt(0)
	v_ashrrev_i32_e32 v0, s15, v0
	v_and_b32_e32 v49, 0x3030303, v0
	v_ashrrev_i32_e32 v0, s15, v1
	v_and_b32_e32 v48, 0x3030303, v0
	ds_read2_b32 v[0:1], v80 offset0:2 offset1:3
	s_addk_i32 s17, 0x7280
	v_lshlrev_b32_e32 v115, 2, v90
	v_mov_b32_e32 v111, v64
	v_mov_b32_e32 v112, v78
	s_waitcnt lgkmcnt(0)
	v_ashrrev_i32_e32 v0, s15, v0
	v_and_b32_e32 v87, 0x3030303, v0
	v_ashrrev_i32_e32 v0, s15, v1
	v_and_b32_e32 v97, 0x3030303, v0
	ds_read2_b32 v[0:1], v80 offset0:4 offset1:5
	v_mov_b32_e32 v46, v62
	v_mov_b32_e32 v109, v10
	;; [unrolled: 1-line block ×3, first 2 shown]
	ds_read_b128 v[104:107], v120 offset:1024
	s_waitcnt lgkmcnt(1)
	v_ashrrev_i32_e32 v0, s15, v0
	v_and_b32_e32 v98, 0x3030303, v0
	v_ashrrev_i32_e32 v0, s15, v1
	v_and_b32_e32 v99, 0x3030303, v0
	ds_read2_b32 v[0:1], v80 offset0:6 offset1:7
	v_mov_b32_e32 v117, v93
	v_mov_b32_e32 v113, v84
	;; [unrolled: 1-line block ×4, first 2 shown]
	s_waitcnt lgkmcnt(0)
	v_ashrrev_i32_e32 v0, s15, v0
	v_and_b32_e32 v100, 0x3030303, v0
	v_ashrrev_i32_e32 v0, s15, v1
	v_and_b32_e32 v47, 0x3030303, v0
	v_add_u32_e32 v0, 0x6200, v12
	v_add_u32_e32 v61, s16, v0
	v_add3_u32 v0, s17, v115, v10
	ds_read_b32 v50, v0
	ds_read_u16 v61, v61
	v_dot4_i32_i8 v0, v49, v6, 0
	v_dot4_i32_i8 v0, v48, v7, v0
	;; [unrolled: 1-line block ×8, first 2 shown]
	v_add_u32_e32 v0, 0x1080, v80
	ds_read2_b32 v[51:52], v0 offset1:1
	v_mov_b32_e32 v91, v11
	v_mov_b32_e32 v44, v12
	s_waitcnt lgkmcnt(0)
	v_ashrrev_i32_e32 v0, s15, v51
	v_and_b32_e32 v51, 0x3030303, v0
	v_ashrrev_i32_e32 v0, s15, v52
	v_and_b32_e32 v52, 0x3030303, v0
	v_add_u32_e32 v0, 0x1088, v80
	ds_read2_b32 v[53:54], v0 offset1:1
	s_waitcnt lgkmcnt(0)
	v_ashrrev_i32_e32 v0, s15, v53
	v_and_b32_e32 v53, 0x3030303, v0
	v_ashrrev_i32_e32 v0, s15, v54
	v_and_b32_e32 v54, 0x3030303, v0
	v_add_u32_e32 v0, 0x1090, v80
	ds_read2_b32 v[56:57], v0 offset1:1
	;; [unrolled: 7-line block ×3, first 2 shown]
	s_waitcnt lgkmcnt(0)
	v_ashrrev_i32_e32 v0, s15, v58
	v_and_b32_e32 v58, 0x3030303, v0
	v_ashrrev_i32_e32 v0, s15, v59
	v_and_b32_e32 v59, 0x3030303, v0
	v_add_u32_e32 v0, 0x6600, v62
	v_add_u32_e32 v72, s16, v0
	v_add3_u32 v0, s17, v63, v64
	ds_read_b32 v60, v0
	ds_read_u16 v72, v72
	v_dot4_i32_i8 v0, v51, v6, 0
	v_dot4_i32_i8 v0, v52, v7, v0
	;; [unrolled: 1-line block ×8, first 2 shown]
	v_add_u32_e32 v0, 0x2100, v80
	ds_read2_b32 v[64:65], v0 offset1:1
	s_waitcnt lgkmcnt(0)
	v_ashrrev_i32_e32 v0, s15, v64
	v_and_b32_e32 v88, 0x3030303, v0
	v_ashrrev_i32_e32 v0, s15, v65
	v_and_b32_e32 v79, 0x3030303, v0
	v_add_u32_e32 v0, 0x2108, v80
	ds_read2_b32 v[64:65], v0 offset1:1
	s_waitcnt lgkmcnt(0)
	v_ashrrev_i32_e32 v0, s15, v64
	v_and_b32_e32 v64, 0x3030303, v0
	v_ashrrev_i32_e32 v0, s15, v65
	v_and_b32_e32 v65, 0x3030303, v0
	;; [unrolled: 7-line block ×4, first 2 shown]
	v_add_u32_e32 v0, 0x6a00, v66
	v_add_u32_e32 v75, s16, v0
	v_add3_u32 v0, s17, v78, v84
	ds_read_b32 v89, v0
	v_dot4_i32_i8 v0, v88, v6, 0
	v_dot4_i32_i8 v0, v79, v7, v0
	v_dot4_i32_i8 v0, v64, v8, v0
	v_dot4_i32_i8 v92, v65, v9, v0
	v_dot4_i32_i8 v0, v68, v2, 0
	v_dot4_i32_i8 v0, v69, v3, v0
	v_dot4_i32_i8 v0, v70, v4, v0
	v_dot4_i32_i8 v119, v74, v5, v0
	v_add_u32_e32 v0, 0x3180, v80
	ds_read2_b32 v[77:78], v0 offset1:1
	s_waitcnt lgkmcnt(0)
	v_ashrrev_i32_e32 v0, s15, v77
	v_and_b32_e32 v62, 0x3030303, v0
	v_ashrrev_i32_e32 v0, s15, v78
	v_and_b32_e32 v10, 0x3030303, v0
	v_add_u32_e32 v0, 0x3188, v80
	ds_read2_b32 v[77:78], v0 offset1:1
	s_waitcnt lgkmcnt(0)
	v_ashrrev_i32_e32 v0, s15, v77
	v_add_u32_e32 v77, 0x3190, v80
	v_ashrrev_i32_e32 v66, s15, v78
	ds_read2_b32 v[77:78], v77 offset1:1
	v_and_b32_e32 v0, 0x3030303, v0
	v_and_b32_e32 v66, 0x3030303, v66
	s_waitcnt lgkmcnt(0)
	v_ashrrev_i32_e32 v77, s15, v77
	v_and_b32_e32 v127, 0x3030303, v77
	v_ashrrev_i32_e32 v77, s15, v78
	v_and_b32_e32 v126, 0x3030303, v77
	v_add_u32_e32 v77, 0x3198, v80
	ds_read2_b32 v[77:78], v77 offset1:1
	v_and_b32_e32 v80, 15, v61
	s_waitcnt lgkmcnt(0)
	v_ashrrev_i32_e32 v77, s15, v77
	v_and_b32_e32 v125, 0x3030303, v77
	v_ashrrev_i32_e32 v77, s15, v78
	v_and_b32_e32 v124, 0x3030303, v77
	v_add_u32_e32 v77, 0x6e00, v81
	v_add_u32_e32 v103, s16, v77
	v_add3_u32 v77, s17, v86, v93
	ds_read_b32 v122, v77
	v_dot4_i32_i8 v77, v62, v6, 0
	v_dot4_i32_i8 v77, v10, v7, v77
	;; [unrolled: 1-line block ×6, first 2 shown]
	ds_read_b128 v[93:96], v120 offset:1040
	v_dot4_i32_i8 v77, v125, v4, v77
	v_dot4_i32_i8 v123, v124, v5, v77
	v_dot4_i32_i8 v77, v49, v104, 0
	v_dot4_i32_i8 v77, v48, v105, v77
	v_dot4_i32_i8 v77, v87, v106, v77
	v_dot4_i32_i8 v84, v97, v107, v77
	s_waitcnt lgkmcnt(0)
	v_dot4_i32_i8 v77, v98, v93, 0
	v_dot4_i32_i8 v77, v99, v94, v77
	;; [unrolled: 1-line block ×4, first 2 shown]
	v_bfe_u32 v77, v61, 4, 4
	v_mul_lo_u32 v78, v77, s9
	v_and_b32_e32 v81, 0xffff, v80
	v_mul_lo_u32 v37, v81, v37
	v_dot4_i32_i8 v77, v78, v6, 0
	v_dot4_i32_i8 v77, v78, v7, v77
	;; [unrolled: 1-line block ×4, first 2 shown]
	v_and_b32_sdwa v77, v61, v116 dst_sel:DWORD dst_unused:UNUSED_PAD src0_sel:BYTE_1 src1_sel:DWORD
	v_lshrrev_b32_sdwa v61, v110, v61 dst_sel:DWORD dst_unused:UNUSED_PAD src0_sel:DWORD src1_sel:BYTE_1
	v_mul_lo_u32 v80, v61, s9
	v_and_b32_e32 v77, 0xffff, v77
	v_dot4_i32_i8 v61, v80, v2, v82
	v_mad_u64_u32 v[82:83], s[16:17], v77, v1, v[37:38]
	v_dot4_i32_i8 v1, v78, v104, 0
	v_dot4_i32_i8 v1, v78, v105, v1
	v_dot4_i32_i8 v1, v78, v106, v1
	v_dot4_i32_i8 v1, v78, v107, v1
	v_dot4_i32_i8 v1, v80, v93, v1
	v_dot4_i32_i8 v1, v80, v94, v1
	v_dot4_i32_i8 v61, v80, v3, v61
	v_dot4_i32_i8 v1, v80, v95, v1
	v_dot4_i32_i8 v61, v80, v4, v61
	v_dot4_i32_i8 v86, v80, v96, v1
	v_mul_lo_u32 v1, v84, v81
	v_dot4_i32_i8 v61, v80, v5, v61
	v_cvt_f32_i32_e32 v37, v82
	v_cvt_f32_i32_e32 v61, v61
	v_cvt_f32_f16_sdwa v82, v50 dst_sel:DWORD dst_unused:UNUSED_PAD src0_sel:WORD_1
	v_mad_u64_u32 v[83:84], s[16:17], v85, v77, v[1:2]
	v_mul_f32_e32 v1, v82, v61
	v_fma_mix_f32 v1, v50, v37, -v1 op_sel_hi:[1,0,0]
	v_cvt_f32_i32_e32 v37, v86
	v_fmac_f32_e32 v39, v13, v1
	v_cvt_f32_i32_e32 v1, v83
	v_and_b32_sdwa v83, v72, v116 dst_sel:DWORD dst_unused:UNUSED_PAD src0_sel:BYTE_1 src1_sel:DWORD
	v_mul_f32_e32 v37, v82, v37
	v_and_b32_e32 v83, 0xffff, v83
	v_fma_mix_f32 v1, v50, v1, -v37 op_sel_hi:[1,0,0]
	v_fmac_f32_e32 v55, v14, v1
	v_dot4_i32_i8 v1, v51, v104, 0
	v_dot4_i32_i8 v1, v52, v105, v1
	;; [unrolled: 1-line block ×8, first 2 shown]
	v_bfe_u32 v1, v72, 4, 4
	v_mul_lo_u32 v84, v1, s9
	v_dot4_i32_i8 v1, v84, v6, 0
	v_dot4_i32_i8 v1, v84, v7, v1
	;; [unrolled: 1-line block ×4, first 2 shown]
	v_and_b32_e32 v1, 15, v72
	v_and_b32_e32 v86, 0xffff, v1
	v_mul_lo_u32 v1, v86, v71
	v_lshrrev_b32_sdwa v71, v110, v72 dst_sel:DWORD dst_unused:UNUSED_PAD src0_sel:DWORD src1_sel:BYTE_1
	v_mul_lo_u32 v85, v71, s9
	v_dot4_i32_i8 v71, v85, v2, v101
	v_dot4_i32_i8 v71, v85, v3, v71
	;; [unrolled: 1-line block ×4, first 2 shown]
	v_mad_u64_u32 v[71:72], s[16:17], v83, v63, v[1:2]
	v_dot4_i32_i8 v1, v84, v104, 0
	v_dot4_i32_i8 v1, v84, v105, v1
	;; [unrolled: 1-line block ×8, first 2 shown]
	v_mul_lo_u32 v1, v37, v86
	v_cvt_f32_i32_e32 v118, v101
	v_cvt_f32_f16_sdwa v101, v60 dst_sel:DWORD dst_unused:UNUSED_PAD src0_sel:WORD_1
	v_cvt_f32_i32_e32 v63, v71
	v_mad_u64_u32 v[71:72], s[16:17], v61, v83, v[1:2]
	v_mul_f32_e32 v1, v101, v118
	v_fma_mix_f32 v1, v60, v63, -v1 op_sel_hi:[1,0,0]
	v_cvt_f32_i32_e32 v11, v11
	v_fmac_f32_e32 v76, v13, v1
	v_cvt_f32_i32_e32 v1, v71
	ds_read_u16 v61, v75
	v_mul_f32_e32 v11, v101, v11
	v_fma_mix_f32 v1, v60, v1, -v11 op_sel_hi:[1,0,0]
	v_fmac_f32_e32 v45, v14, v1
	v_dot4_i32_i8 v1, v88, v104, 0
	v_dot4_i32_i8 v1, v79, v105, v1
	;; [unrolled: 1-line block ×8, first 2 shown]
	s_waitcnt lgkmcnt(0)
	v_bfe_u32 v1, v61, 4, 4
	v_mul_lo_u32 v75, v1, s9
	v_and_b32_sdwa v37, v61, v116 dst_sel:DWORD dst_unused:UNUSED_PAD src0_sel:BYTE_1 src1_sel:DWORD
	v_and_b32_e32 v72, 0xffff, v37
	v_dot4_i32_i8 v1, v75, v6, 0
	v_dot4_i32_i8 v1, v75, v7, v1
	v_dot4_i32_i8 v1, v75, v8, v1
	v_dot4_i32_i8 v63, v75, v9, v1
	v_and_b32_e32 v1, 15, v61
	v_and_b32_e32 v1, 0xffff, v1
	v_mul_lo_u32 v37, v1, v92
	v_lshrrev_b32_sdwa v61, v110, v61 dst_sel:DWORD dst_unused:UNUSED_PAD src0_sel:DWORD src1_sel:BYTE_1
	v_mul_lo_u32 v92, v61, s9
	v_mad_u64_u32 v[118:119], s[16:17], v72, v119, v[37:38]
	v_dot4_i32_i8 v37, v75, v104, 0
	v_dot4_i32_i8 v37, v75, v105, v37
	;; [unrolled: 1-line block ×8, first 2 shown]
	v_mul_lo_u32 v37, v11, v1
	v_dot4_i32_i8 v61, v92, v2, v63
	v_dot4_i32_i8 v61, v92, v3, v61
	;; [unrolled: 1-line block ×4, first 2 shown]
	v_cvt_f32_i32_e32 v63, v118
	v_mad_u64_u32 v[118:119], s[16:17], v12, v72, v[37:38]
	v_cvt_f32_i32_e32 v61, v61
	v_cvt_f32_f16_sdwa v119, v89 dst_sel:DWORD dst_unused:UNUSED_PAD src0_sel:WORD_1
	v_cvt_f32_i32_e32 v12, v71
	v_mul_f32_e32 v11, v119, v61
	v_fma_mix_f32 v11, v89, v63, -v11 op_sel_hi:[1,0,0]
	ds_read_u16 v63, v103
	v_fmac_f32_e32 v73, v13, v11
	v_cvt_f32_i32_e32 v11, v118
	v_mul_f32_e32 v12, v119, v12
	s_waitcnt lgkmcnt(0)
	v_bfe_u32 v37, v63, 4, 4
	v_mul_lo_u32 v61, v37, s9
	v_fma_mix_f32 v11, v89, v11, -v12 op_sel_hi:[1,0,0]
	v_fmac_f32_e32 v42, v14, v11
	v_dot4_i32_i8 v11, v62, v104, 0
	v_dot4_i32_i8 v6, v61, v6, 0
	v_dot4_i32_i8 v6, v61, v7, v6
	v_dot4_i32_i8 v6, v61, v8, v6
	v_and_b32_sdwa v8, v63, v116 dst_sel:DWORD dst_unused:UNUSED_PAD src0_sel:BYTE_1 src1_sel:DWORD
	v_and_b32_e32 v37, 0xffff, v8
	v_lshrrev_b32_sdwa v8, v110, v63 dst_sel:DWORD dst_unused:UNUSED_PAD src0_sel:DWORD src1_sel:BYTE_1
	v_dot4_i32_i8 v7, v61, v9, v6
	v_and_b32_e32 v6, 15, v63
	v_mul_lo_u32 v63, v8, s9
	v_and_b32_e32 v71, 0xffff, v6
	v_mul_lo_u32 v6, v71, v102
	v_dot4_i32_i8 v11, v10, v105, v11
	v_dot4_i32_i8 v2, v63, v2, v7
	;; [unrolled: 1-line block ×5, first 2 shown]
	v_mad_u64_u32 v[2:3], s[16:17], v37, v123, v[6:7]
	v_dot4_i32_i8 v11, v0, v106, v11
	v_dot4_i32_i8 v11, v66, v107, v11
	v_cvt_f32_i32_e32 v5, v2
	v_dot4_i32_i8 v2, v61, v104, 0
	v_dot4_i32_i8 v2, v61, v105, v2
	v_dot4_i32_i8 v2, v61, v106, v2
	v_dot4_i32_i8 v2, v61, v107, v2
	v_dot4_i32_i8 v2, v63, v93, v2
	v_dot4_i32_i8 v2, v63, v94, v2
	v_dot4_i32_i8 v2, v63, v95, v2
	v_dot4_i32_i8 v12, v127, v93, 0
	v_dot4_i32_i8 v6, v63, v96, v2
	v_mul_lo_u32 v2, v11, v71
	v_dot4_i32_i8 v12, v126, v94, v12
	v_cvt_f32_i32_e32 v4, v4
	v_cvt_f32_f16_sdwa v123, v122 dst_sel:DWORD dst_unused:UNUSED_PAD src0_sel:WORD_1
	v_dot4_i32_i8 v12, v125, v95, v12
	v_dot4_i32_i8 v12, v124, v96, v12
                                        ; kill: def $vgpr3 killed $sgpr0 killed $exec
                                        ; kill: def $vgpr94 killed $sgpr0 killed $exec
	v_mad_u64_u32 v[2:3], s[16:17], v12, v37, v[2:3]
	v_mul_f32_e32 v3, v123, v4
	v_fma_mix_f32 v3, v122, v5, -v3 op_sel_hi:[1,0,0]
	v_fmac_f32_e32 v67, v13, v3
	v_cvt_f32_i32_e32 v3, v6
	v_cvt_f32_i32_e32 v2, v2
	v_mul_f32_e32 v3, v123, v3
	v_fma_mix_f32 v2, v122, v2, -v3 op_sel_hi:[1,0,0]
	v_fmac_f32_e32 v41, v14, v2
	ds_read2_b32 v[13:14], v121 offset0:64 offset1:96
	ds_read_b128 v[6:9], v120 offset:2048
	ds_read_b128 v[2:5], v120 offset:2064
	s_waitcnt lgkmcnt(1)
	v_dot4_i32_i8 v11, v49, v6, 0
	v_dot4_i32_i8 v11, v48, v7, v11
	;; [unrolled: 1-line block ×6, first 2 shown]
	v_mul_lo_u32 v93, v11, v81
	s_waitcnt lgkmcnt(0)
	v_dot4_i32_i8 v11, v98, v2, 0
	v_dot4_i32_i8 v12, v78, v8, v12
	;; [unrolled: 1-line block ×8, first 2 shown]
	v_mad_u64_u32 v[93:94], s[16:17], v11, v77, v[93:94]
	v_dot4_i32_i8 v12, v80, v4, v12
	v_dot4_i32_i8 v12, v80, v5, v12
	v_cvt_f32_i32_e32 v12, v12
	v_cvt_f32_i32_e32 v11, v93
                                        ; kill: def $vgpr94 killed $sgpr0 killed $exec
	v_mul_f32_e32 v12, v82, v12
	v_fma_mix_f32 v11, v50, v11, -v12 op_sel_hi:[1,0,0]
	v_fmac_f32_e32 v40, v13, v11
	v_dot4_i32_i8 v11, v51, v6, 0
	v_dot4_i32_i8 v11, v52, v7, v11
	;; [unrolled: 1-line block ×6, first 2 shown]
	v_mul_lo_u32 v93, v11, v86
	v_dot4_i32_i8 v11, v56, v2, 0
	v_dot4_i32_i8 v12, v84, v8, v12
	;; [unrolled: 1-line block ×8, first 2 shown]
	v_mad_u64_u32 v[93:94], s[16:17], v11, v83, v[93:94]
	v_dot4_i32_i8 v12, v85, v4, v12
	v_dot4_i32_i8 v12, v85, v5, v12
	v_cvt_f32_i32_e32 v12, v12
	v_cvt_f32_i32_e32 v11, v93
                                        ; kill: def $vgpr94 killed $sgpr0 killed $exec
	v_mul_f32_e32 v12, v101, v12
	v_fma_mix_f32 v11, v60, v11, -v12 op_sel_hi:[1,0,0]
	v_fmac_f32_e32 v38, v13, v11
	v_dot4_i32_i8 v11, v88, v6, 0
	v_dot4_i32_i8 v11, v79, v7, v11
	v_dot4_i32_i8 v11, v64, v8, v11
	v_dot4_i32_i8 v12, v75, v6, 0
	v_dot4_i32_i8 v11, v65, v9, v11
	v_dot4_i32_i8 v12, v75, v7, v12
	v_mul_lo_u32 v93, v11, v1
	v_dot4_i32_i8 v11, v68, v2, 0
	v_dot4_i32_i8 v12, v75, v8, v12
	;; [unrolled: 1-line block ×8, first 2 shown]
	v_mad_u64_u32 v[93:94], s[16:17], v11, v72, v[93:94]
	v_dot4_i32_i8 v12, v92, v4, v12
	v_dot4_i32_i8 v12, v92, v5, v12
	v_cvt_f32_i32_e32 v12, v12
	v_cvt_f32_i32_e32 v11, v93
	v_mul_f32_e32 v12, v119, v12
	v_fma_mix_f32 v11, v89, v11, -v12 op_sel_hi:[1,0,0]
	v_fmac_f32_e32 v36, v13, v11
	v_dot4_i32_i8 v11, v62, v6, 0
	v_dot4_i32_i8 v6, v61, v6, 0
	;; [unrolled: 1-line block ×8, first 2 shown]
	v_mul_lo_u32 v6, v7, v71
	v_dot4_i32_i8 v7, v127, v2, 0
	v_dot4_i32_i8 v2, v63, v2, v8
	;; [unrolled: 1-line block ×8, first 2 shown]
	v_mad_u64_u32 v[2:3], s[16:17], v3, v37, v[6:7]
	v_cvt_f32_i32_e32 v3, v4
	v_cvt_f32_i32_e32 v2, v2
	v_mul_f32_e32 v3, v123, v3
	v_fma_mix_f32 v2, v122, v2, -v3 op_sel_hi:[1,0,0]
	v_fmac_f32_e32 v35, v13, v2
	ds_read_b128 v[6:9], v120 offset:3072
	ds_read_b128 v[2:5], v120 offset:3088
	s_waitcnt lgkmcnt(1)
	v_dot4_i32_i8 v11, v49, v6, 0
	v_dot4_i32_i8 v11, v48, v7, v11
	;; [unrolled: 1-line block ×6, first 2 shown]
	v_mul_lo_u32 v13, v11, v81
	s_waitcnt lgkmcnt(0)
	v_dot4_i32_i8 v11, v98, v2, 0
	v_dot4_i32_i8 v12, v78, v8, v12
	;; [unrolled: 1-line block ×8, first 2 shown]
	v_mad_u64_u32 v[93:94], s[16:17], v11, v77, v[13:14]
	v_dot4_i32_i8 v12, v80, v4, v12
	v_dot4_i32_i8 v12, v80, v5, v12
	v_cvt_f32_i32_e32 v12, v12
	v_cvt_f32_i32_e32 v11, v93
	v_mul_f32_e32 v12, v82, v12
	v_fma_mix_f32 v11, v50, v11, -v12 op_sel_hi:[1,0,0]
	v_fmac_f32_e32 v34, v14, v11
	v_dot4_i32_i8 v11, v51, v6, 0
	v_dot4_i32_i8 v11, v52, v7, v11
	;; [unrolled: 1-line block ×6, first 2 shown]
	v_mul_lo_u32 v13, v11, v86
	v_dot4_i32_i8 v11, v56, v2, 0
	v_dot4_i32_i8 v12, v84, v8, v12
	;; [unrolled: 1-line block ×8, first 2 shown]
	v_mad_u64_u32 v[93:94], s[16:17], v11, v83, v[13:14]
	v_dot4_i32_i8 v12, v85, v4, v12
	v_dot4_i32_i8 v12, v85, v5, v12
	v_cvt_f32_i32_e32 v12, v12
	v_cvt_f32_i32_e32 v11, v93
	v_mul_f32_e32 v12, v101, v12
	v_fma_mix_f32 v11, v60, v11, -v12 op_sel_hi:[1,0,0]
	v_fmac_f32_e32 v33, v14, v11
	v_dot4_i32_i8 v11, v88, v6, 0
	v_dot4_i32_i8 v11, v79, v7, v11
	;; [unrolled: 1-line block ×6, first 2 shown]
	v_mul_lo_u32 v13, v11, v1
	v_dot4_i32_i8 v11, v68, v2, 0
	v_dot4_i32_i8 v12, v75, v8, v12
	;; [unrolled: 1-line block ×8, first 2 shown]
	v_mad_u64_u32 v[93:94], s[16:17], v11, v72, v[13:14]
	v_dot4_i32_i8 v12, v92, v4, v12
	v_dot4_i32_i8 v12, v92, v5, v12
	v_cvt_f32_i32_e32 v12, v12
	v_cvt_f32_i32_e32 v11, v93
                                        ; kill: def $vgpr94 killed $sgpr0 killed $exec
	v_mul_f32_e32 v12, v119, v12
	v_fma_mix_f32 v11, v89, v11, -v12 op_sel_hi:[1,0,0]
	v_fmac_f32_e32 v32, v14, v11
	v_dot4_i32_i8 v11, v62, v6, 0
	v_dot4_i32_i8 v6, v61, v6, 0
	v_dot4_i32_i8 v11, v10, v7, v11
	v_dot4_i32_i8 v6, v61, v7, v6
	v_dot4_i32_i8 v7, v0, v8, v11
	v_dot4_i32_i8 v6, v61, v8, v6
	v_dot4_i32_i8 v7, v66, v9, v7
	v_dot4_i32_i8 v8, v61, v9, v6
	v_mul_lo_u32 v6, v7, v71
	v_dot4_i32_i8 v7, v127, v2, 0
	v_dot4_i32_i8 v2, v63, v2, v8
	;; [unrolled: 1-line block ×8, first 2 shown]
	v_mad_u64_u32 v[2:3], s[16:17], v3, v37, v[6:7]
	v_cvt_f32_i32_e32 v3, v4
	v_cvt_f32_i32_e32 v2, v2
	v_mul_f32_e32 v3, v123, v3
	v_fma_mix_f32 v2, v122, v2, -v3 op_sel_hi:[1,0,0]
	v_fmac_f32_e32 v31, v14, v2
	ds_read2_b32 v[13:14], v121 offset0:128 offset1:160
	ds_read_b128 v[6:9], v120 offset:4096
	ds_read_b128 v[2:5], v120 offset:4112
	s_waitcnt lgkmcnt(1)
	v_dot4_i32_i8 v11, v49, v6, 0
	v_dot4_i32_i8 v11, v48, v7, v11
	;; [unrolled: 1-line block ×6, first 2 shown]
	v_mul_lo_u32 v93, v11, v81
	s_waitcnt lgkmcnt(0)
	v_dot4_i32_i8 v11, v98, v2, 0
	v_dot4_i32_i8 v12, v78, v8, v12
	;; [unrolled: 1-line block ×8, first 2 shown]
	v_mad_u64_u32 v[93:94], s[16:17], v11, v77, v[93:94]
	v_dot4_i32_i8 v12, v80, v4, v12
	v_dot4_i32_i8 v12, v80, v5, v12
	v_cvt_f32_i32_e32 v12, v12
	v_cvt_f32_i32_e32 v11, v93
                                        ; kill: def $vgpr94 killed $sgpr0 killed $exec
	v_mul_f32_e32 v12, v82, v12
	v_fma_mix_f32 v11, v50, v11, -v12 op_sel_hi:[1,0,0]
	v_fmac_f32_e32 v30, v13, v11
	v_dot4_i32_i8 v11, v51, v6, 0
	v_dot4_i32_i8 v11, v52, v7, v11
	;; [unrolled: 1-line block ×6, first 2 shown]
	v_mul_lo_u32 v93, v11, v86
	v_dot4_i32_i8 v11, v56, v2, 0
	v_dot4_i32_i8 v12, v84, v8, v12
	;; [unrolled: 1-line block ×8, first 2 shown]
	v_mad_u64_u32 v[93:94], s[16:17], v11, v83, v[93:94]
	v_dot4_i32_i8 v12, v85, v4, v12
	v_dot4_i32_i8 v12, v85, v5, v12
	v_cvt_f32_i32_e32 v12, v12
	v_cvt_f32_i32_e32 v11, v93
                                        ; kill: def $vgpr94 killed $sgpr0 killed $exec
	v_mul_f32_e32 v12, v101, v12
	v_fma_mix_f32 v11, v60, v11, -v12 op_sel_hi:[1,0,0]
	v_fmac_f32_e32 v29, v13, v11
	v_dot4_i32_i8 v11, v88, v6, 0
	v_dot4_i32_i8 v11, v79, v7, v11
	;; [unrolled: 1-line block ×6, first 2 shown]
	v_mul_lo_u32 v93, v11, v1
	v_dot4_i32_i8 v11, v68, v2, 0
	v_dot4_i32_i8 v12, v75, v8, v12
	;; [unrolled: 1-line block ×8, first 2 shown]
	v_mad_u64_u32 v[93:94], s[16:17], v11, v72, v[93:94]
	v_dot4_i32_i8 v12, v92, v4, v12
	v_dot4_i32_i8 v12, v92, v5, v12
	v_cvt_f32_i32_e32 v12, v12
	v_cvt_f32_i32_e32 v11, v93
	v_mul_f32_e32 v12, v119, v12
	v_fma_mix_f32 v11, v89, v11, -v12 op_sel_hi:[1,0,0]
	v_fmac_f32_e32 v28, v13, v11
	v_dot4_i32_i8 v11, v62, v6, 0
	v_dot4_i32_i8 v6, v61, v6, 0
	v_dot4_i32_i8 v11, v10, v7, v11
	v_dot4_i32_i8 v6, v61, v7, v6
	v_dot4_i32_i8 v7, v0, v8, v11
	v_dot4_i32_i8 v6, v61, v8, v6
	v_dot4_i32_i8 v7, v66, v9, v7
	v_dot4_i32_i8 v8, v61, v9, v6
	v_mul_lo_u32 v6, v7, v71
	v_dot4_i32_i8 v7, v127, v2, 0
	v_dot4_i32_i8 v2, v63, v2, v8
	;; [unrolled: 1-line block ×8, first 2 shown]
	v_mad_u64_u32 v[2:3], s[16:17], v3, v37, v[6:7]
	v_cvt_f32_i32_e32 v3, v4
	v_cvt_f32_i32_e32 v2, v2
	v_mul_f32_e32 v3, v123, v3
	v_fma_mix_f32 v2, v122, v2, -v3 op_sel_hi:[1,0,0]
	v_fmac_f32_e32 v27, v13, v2
	ds_read_b128 v[6:9], v120 offset:5120
	ds_read_b128 v[2:5], v120 offset:5136
	s_waitcnt lgkmcnt(1)
	v_dot4_i32_i8 v11, v49, v6, 0
	v_dot4_i32_i8 v11, v48, v7, v11
	;; [unrolled: 1-line block ×6, first 2 shown]
	v_mul_lo_u32 v13, v11, v81
	s_waitcnt lgkmcnt(0)
	v_dot4_i32_i8 v11, v98, v2, 0
	v_dot4_i32_i8 v12, v78, v8, v12
	;; [unrolled: 1-line block ×8, first 2 shown]
	v_mad_u64_u32 v[93:94], s[16:17], v11, v77, v[13:14]
	v_dot4_i32_i8 v12, v80, v4, v12
	v_dot4_i32_i8 v12, v80, v5, v12
	v_cvt_f32_i32_e32 v12, v12
	v_cvt_f32_i32_e32 v11, v93
	v_mul_f32_e32 v12, v82, v12
	v_fma_mix_f32 v11, v50, v11, -v12 op_sel_hi:[1,0,0]
	v_fmac_f32_e32 v26, v14, v11
	v_dot4_i32_i8 v11, v51, v6, 0
	v_dot4_i32_i8 v11, v52, v7, v11
	;; [unrolled: 1-line block ×6, first 2 shown]
	v_mul_lo_u32 v13, v11, v86
	v_dot4_i32_i8 v11, v56, v2, 0
	v_dot4_i32_i8 v12, v84, v8, v12
	v_dot4_i32_i8 v11, v57, v3, v11
	v_dot4_i32_i8 v12, v84, v9, v12
	v_dot4_i32_i8 v11, v58, v4, v11
	v_dot4_i32_i8 v12, v85, v2, v12
	v_dot4_i32_i8 v11, v59, v5, v11
	v_dot4_i32_i8 v12, v85, v3, v12
	v_mad_u64_u32 v[93:94], s[16:17], v11, v83, v[13:14]
	v_dot4_i32_i8 v12, v85, v4, v12
	v_dot4_i32_i8 v12, v85, v5, v12
	v_cvt_f32_i32_e32 v12, v12
	v_cvt_f32_i32_e32 v11, v93
	v_mul_f32_e32 v12, v101, v12
	v_fma_mix_f32 v11, v60, v11, -v12 op_sel_hi:[1,0,0]
	v_fmac_f32_e32 v25, v14, v11
	v_dot4_i32_i8 v11, v88, v6, 0
	v_dot4_i32_i8 v11, v79, v7, v11
	;; [unrolled: 1-line block ×6, first 2 shown]
	v_mul_lo_u32 v13, v11, v1
	v_dot4_i32_i8 v11, v68, v2, 0
	v_dot4_i32_i8 v12, v75, v8, v12
	;; [unrolled: 1-line block ×8, first 2 shown]
	v_mad_u64_u32 v[93:94], s[16:17], v11, v72, v[13:14]
	v_dot4_i32_i8 v12, v92, v4, v12
	v_dot4_i32_i8 v12, v92, v5, v12
	v_cvt_f32_i32_e32 v12, v12
	v_cvt_f32_i32_e32 v11, v93
                                        ; kill: def $vgpr94 killed $sgpr0 killed $exec
	v_mul_f32_e32 v12, v119, v12
	v_fma_mix_f32 v11, v89, v11, -v12 op_sel_hi:[1,0,0]
	v_fmac_f32_e32 v24, v14, v11
	v_dot4_i32_i8 v11, v62, v6, 0
	v_dot4_i32_i8 v6, v61, v6, 0
	;; [unrolled: 1-line block ×8, first 2 shown]
	v_mul_lo_u32 v6, v7, v71
	v_dot4_i32_i8 v7, v127, v2, 0
	v_dot4_i32_i8 v2, v63, v2, v8
	;; [unrolled: 1-line block ×8, first 2 shown]
	v_mad_u64_u32 v[2:3], s[16:17], v3, v37, v[6:7]
	v_cvt_f32_i32_e32 v3, v4
	v_cvt_f32_i32_e32 v2, v2
	v_mul_f32_e32 v3, v123, v3
	v_fma_mix_f32 v2, v122, v2, -v3 op_sel_hi:[1,0,0]
	v_fmac_f32_e32 v23, v14, v2
	ds_read2_b32 v[13:14], v121 offset0:192 offset1:224
	ds_read_b128 v[6:9], v120 offset:6144
	ds_read_b128 v[2:5], v120 offset:6160
	v_add_u32_e32 v121, 4, v121
	s_waitcnt lgkmcnt(1)
	v_dot4_i32_i8 v11, v49, v6, 0
	v_dot4_i32_i8 v11, v48, v7, v11
	;; [unrolled: 1-line block ×6, first 2 shown]
	v_mul_lo_u32 v93, v11, v81
	s_waitcnt lgkmcnt(0)
	v_dot4_i32_i8 v11, v98, v2, 0
	v_dot4_i32_i8 v12, v78, v8, v12
	;; [unrolled: 1-line block ×8, first 2 shown]
	v_mad_u64_u32 v[93:94], s[16:17], v11, v77, v[93:94]
	v_dot4_i32_i8 v12, v80, v4, v12
	v_dot4_i32_i8 v12, v80, v5, v12
	v_cvt_f32_i32_e32 v12, v12
	v_cvt_f32_i32_e32 v11, v93
                                        ; kill: def $vgpr94 killed $sgpr0 killed $exec
	v_mul_f32_e32 v12, v82, v12
	v_fma_mix_f32 v11, v50, v11, -v12 op_sel_hi:[1,0,0]
	v_fmac_f32_e32 v22, v13, v11
	v_dot4_i32_i8 v11, v51, v6, 0
	v_dot4_i32_i8 v11, v52, v7, v11
	;; [unrolled: 1-line block ×6, first 2 shown]
	v_mul_lo_u32 v93, v11, v86
	v_dot4_i32_i8 v11, v56, v2, 0
	v_dot4_i32_i8 v12, v84, v8, v12
	;; [unrolled: 1-line block ×8, first 2 shown]
	v_mad_u64_u32 v[93:94], s[16:17], v11, v83, v[93:94]
	v_dot4_i32_i8 v12, v85, v4, v12
	v_dot4_i32_i8 v12, v85, v5, v12
	v_cvt_f32_i32_e32 v12, v12
	v_cvt_f32_i32_e32 v11, v93
                                        ; kill: def $vgpr94 killed $sgpr0 killed $exec
	v_mul_f32_e32 v12, v101, v12
	v_fma_mix_f32 v11, v60, v11, -v12 op_sel_hi:[1,0,0]
	v_fmac_f32_e32 v21, v13, v11
	v_dot4_i32_i8 v11, v88, v6, 0
	v_dot4_i32_i8 v11, v79, v7, v11
	;; [unrolled: 1-line block ×6, first 2 shown]
	v_mul_lo_u32 v93, v11, v1
	v_dot4_i32_i8 v11, v68, v2, 0
	v_dot4_i32_i8 v12, v75, v8, v12
	;; [unrolled: 1-line block ×8, first 2 shown]
	v_mad_u64_u32 v[93:94], s[16:17], v11, v72, v[93:94]
	v_dot4_i32_i8 v12, v92, v4, v12
	v_dot4_i32_i8 v12, v92, v5, v12
	v_cvt_f32_i32_e32 v12, v12
	v_cvt_f32_i32_e32 v11, v93
	v_mov_b32_e32 v93, v117
	v_mul_f32_e32 v12, v119, v12
	v_fma_mix_f32 v11, v89, v11, -v12 op_sel_hi:[1,0,0]
	v_fmac_f32_e32 v20, v13, v11
	v_dot4_i32_i8 v11, v62, v6, 0
	v_dot4_i32_i8 v6, v61, v6, 0
	;; [unrolled: 1-line block ×8, first 2 shown]
	v_mul_lo_u32 v6, v7, v71
	v_dot4_i32_i8 v7, v127, v2, 0
	v_dot4_i32_i8 v2, v63, v2, v8
	;; [unrolled: 1-line block ×8, first 2 shown]
	v_mad_u64_u32 v[2:3], s[16:17], v3, v37, v[6:7]
	v_cvt_f32_i32_e32 v3, v4
	v_cvt_f32_i32_e32 v2, v2
	v_mul_f32_e32 v3, v123, v3
	v_fma_mix_f32 v2, v122, v2, -v3 op_sel_hi:[1,0,0]
	v_fmac_f32_e32 v19, v13, v2
	ds_read_b128 v[6:9], v120 offset:7168
	ds_read_b128 v[2:5], v120 offset:7184
	v_add_u32_e32 v120, 32, v120
	s_waitcnt lgkmcnt(1)
	v_dot4_i32_i8 v11, v49, v6, 0
	v_dot4_i32_i8 v11, v48, v7, v11
	v_dot4_i32_i8 v11, v87, v8, v11
	v_dot4_i32_i8 v12, v78, v6, 0
	v_dot4_i32_i8 v11, v97, v9, v11
	v_dot4_i32_i8 v12, v78, v7, v12
	v_mul_lo_u32 v13, v11, v81
	s_waitcnt lgkmcnt(0)
	v_dot4_i32_i8 v11, v98, v2, 0
	v_dot4_i32_i8 v12, v78, v8, v12
	;; [unrolled: 1-line block ×8, first 2 shown]
	v_mad_u64_u32 v[47:48], s[16:17], v11, v77, v[13:14]
	v_dot4_i32_i8 v12, v80, v4, v12
	v_dot4_i32_i8 v12, v80, v5, v12
	v_cvt_f32_i32_e32 v12, v12
	v_cvt_f32_i32_e32 v11, v47
	v_mov_b32_e32 v78, v112
	v_mov_b32_e32 v81, v108
	v_mul_f32_e32 v12, v82, v12
	v_fma_mix_f32 v11, v50, v11, -v12 op_sel_hi:[1,0,0]
	v_fmac_f32_e32 v18, v14, v11
	v_dot4_i32_i8 v11, v51, v6, 0
	v_dot4_i32_i8 v11, v52, v7, v11
	v_dot4_i32_i8 v11, v53, v8, v11
	v_dot4_i32_i8 v12, v84, v6, 0
	v_dot4_i32_i8 v11, v54, v9, v11
	v_dot4_i32_i8 v12, v84, v7, v12
	v_mul_lo_u32 v13, v11, v86
	v_dot4_i32_i8 v11, v56, v2, 0
	v_dot4_i32_i8 v12, v84, v8, v12
	v_dot4_i32_i8 v11, v57, v3, v11
	v_dot4_i32_i8 v12, v84, v9, v12
	v_dot4_i32_i8 v11, v58, v4, v11
	v_dot4_i32_i8 v12, v85, v2, v12
	v_dot4_i32_i8 v11, v59, v5, v11
	v_dot4_i32_i8 v12, v85, v3, v12
	v_mad_u64_u32 v[47:48], s[16:17], v11, v83, v[13:14]
	v_dot4_i32_i8 v12, v85, v4, v12
	v_dot4_i32_i8 v12, v85, v5, v12
	v_cvt_f32_i32_e32 v12, v12
	v_cvt_f32_i32_e32 v11, v47
	v_mov_b32_e32 v84, v113
	v_mov_b32_e32 v86, v114
	v_mul_f32_e32 v12, v101, v12
	v_fma_mix_f32 v11, v60, v11, -v12 op_sel_hi:[1,0,0]
	v_fmac_f32_e32 v17, v14, v11
	v_dot4_i32_i8 v11, v88, v6, 0
	v_dot4_i32_i8 v11, v79, v7, v11
	;; [unrolled: 1-line block ×6, first 2 shown]
	v_mul_lo_u32 v1, v11, v1
	v_dot4_i32_i8 v11, v68, v2, 0
	v_dot4_i32_i8 v12, v75, v8, v12
	v_dot4_i32_i8 v11, v69, v3, v11
	v_dot4_i32_i8 v12, v75, v9, v12
	v_dot4_i32_i8 v11, v70, v4, v11
	v_dot4_i32_i8 v12, v92, v2, v12
	v_dot4_i32_i8 v11, v74, v5, v11
	v_dot4_i32_i8 v12, v92, v3, v12
	v_mad_u64_u32 v[47:48], s[16:17], v11, v72, v[1:2]
	v_dot4_i32_i8 v12, v92, v4, v12
	v_dot4_i32_i8 v12, v92, v5, v12
	v_cvt_f32_i32_e32 v11, v12
	v_cvt_f32_i32_e32 v1, v47
	v_mov_b32_e32 v64, v111
	v_mov_b32_e32 v12, v44
	v_mul_f32_e32 v11, v119, v11
	v_fma_mix_f32 v1, v89, v1, -v11 op_sel_hi:[1,0,0]
	v_fmac_f32_e32 v16, v14, v1
	v_dot4_i32_i8 v1, v62, v6, 0
	v_dot4_i32_i8 v6, v61, v6, 0
	;; [unrolled: 1-line block ×12, first 2 shown]
	buffer_load_dword v63, off, s[20:23], 0 ; 4-byte Folded Reload
	v_mul_lo_u32 v6, v6, v71
	v_dot4_i32_i8 v1, v127, v2, 0
	v_dot4_i32_i8 v1, v126, v3, v1
	;; [unrolled: 1-line block ×4, first 2 shown]
	v_mad_u64_u32 v[1:2], s[16:17], v1, v37, v[6:7]
	v_cvt_f32_i32_e32 v0, v0
	s_add_i32 s16, s15, 2
	v_cvt_f32_i32_e32 v1, v1
	v_mov_b32_e32 v11, v91
	v_mul_f32_e32 v0, v123, v0
	v_mov_b32_e32 v62, v46
	v_fma_mix_f32 v0, v122, v1, -v0 op_sel_hi:[1,0,0]
	v_mov_b32_e32 v10, v109
	v_mov_b32_e32 v66, v43
	v_fmac_f32_e32 v15, v14, v0
	s_cmp_lt_u32 s15, 6
	s_mov_b32 s15, s16
	s_cbranch_scc1 .LBB167_8
; %bb.9:                                ;   in Loop: Header=BB167_7 Depth=1
	s_waitcnt vmcnt(0)
	s_barrier
	buffer_load_dword v0, off, s[20:23], 0 offset:224 ; 4-byte Folded Reload
	s_mov_b32 s15, 8
	s_waitcnt vmcnt(0)
	v_add_u32_e32 v2, s14, v0
	buffer_load_dword v0, off, s[20:23], 0 offset:8 ; 4-byte Folded Reload
	buffer_load_dword v3, off, s[20:23], 0 offset:40 ; 4-byte Folded Reload
	;; [unrolled: 1-line block ×3, first 2 shown]
	s_waitcnt vmcnt(2)
	v_add_u32_e32 v0, v2, v0
	s_waitcnt vmcnt(0)
	v_mad_i64_i32 v[0:1], s[16:17], v0, 36, v[3:4]
	global_load_dword v0, v[0:1], off offset:4
	s_nop 0
	buffer_load_dword v1, off, s[20:23], 0 offset:88 ; 4-byte Folded Reload
	s_waitcnt vmcnt(0)
	ds_write_b32 v1, v0
	buffer_load_dword v0, off, s[20:23], 0 offset:12 ; 4-byte Folded Reload
	s_waitcnt vmcnt(0)
	v_add_u32_e32 v0, v2, v0
	v_mad_i64_i32 v[0:1], s[16:17], v0, 36, v[3:4]
	global_load_dword v0, v[0:1], off offset:4
	s_nop 0
	buffer_load_dword v1, off, s[20:23], 0 offset:56 ; 4-byte Folded Reload
	s_waitcnt vmcnt(0)
	ds_write_b32 v1, v0
	buffer_load_dword v0, off, s[20:23], 0 offset:16 ; 4-byte Folded Reload
	s_waitcnt vmcnt(0)
	v_add_u32_e32 v0, v2, v0
	;; [unrolled: 9-line block ×8, first 2 shown]
	v_mad_u64_u32 v[0:1], s[16:17], v0, 36, s[2:3]
	global_load_dword v0, v[0:1], off
	s_nop 0
	buffer_load_dword v1, off, s[20:23], 0 offset:4 ; 4-byte Folded Reload
	s_waitcnt vmcnt(1)
	v_cvt_f32_f16_e32 v0, v0
	s_waitcnt vmcnt(0)
	ds_write_b32 v1, v0
	s_waitcnt lgkmcnt(0)
	s_barrier
	buffer_load_dword v120, off, s[20:23], 0 offset:52 ; 4-byte Folded Reload
	buffer_load_dword v121, off, s[20:23], 0 offset:48 ; 4-byte Folded Reload
.LBB167_10:                             ;   Parent Loop BB167_7 Depth=1
                                        ; =>  This Inner Loop Header: Depth=2
	s_and_b32 s17, s15, 0x3ffffff8
	v_lshl_add_u32 v11, s17, 2, v91
	s_waitcnt vmcnt(0)
	ds_read2_b32 v[13:14], v121 offset1:32
	ds_read_b128 v[6:9], v120
	ds_read_b128 v[2:5], v120 offset:16
	ds_read2_b32 v[0:1], v11 offset1:1
	s_add_i32 s18, s15, -8
	s_lshr_b32 s17, s15, 2
	s_and_b32 s17, s17, 0x3ffffffc
	s_addk_i32 s17, 0x7280
	s_waitcnt lgkmcnt(0)
	v_ashrrev_i32_e32 v0, s18, v0
	v_and_b32_e32 v50, 0x3030303, v0
	v_ashrrev_i32_e32 v0, s18, v1
	v_and_b32_e32 v100, 0x3030303, v0
	ds_read2_b32 v[0:1], v11 offset0:2 offset1:3
	s_and_b32 s16, s15, -16
	s_add_i32 s16, s15, s16
	v_add_u32_e32 v83, s16, v62
	v_add_u32_e32 v77, s16, v12
	s_waitcnt lgkmcnt(0)
	v_ashrrev_i32_e32 v0, s18, v0
	v_and_b32_e32 v47, 0x3030303, v0
	v_ashrrev_i32_e32 v0, s18, v1
	v_and_b32_e32 v48, 0x3030303, v0
	ds_read2_b32 v[0:1], v11 offset0:4 offset1:5
	v_add_u32_e32 v37, s16, v81
	s_waitcnt lgkmcnt(0)
	v_ashrrev_i32_e32 v0, s18, v0
	v_and_b32_e32 v49, 0x3030303, v0
	v_ashrrev_i32_e32 v0, s18, v1
	v_and_b32_e32 v87, 0x3030303, v0
	ds_read2_b32 v[0:1], v11 offset0:6 offset1:7
	s_waitcnt lgkmcnt(0)
	v_ashrrev_i32_e32 v0, s18, v0
	v_and_b32_e32 v97, 0x3030303, v0
	v_ashrrev_i32_e32 v0, s18, v1
	v_and_b32_e32 v98, 0x3030303, v0
	v_add3_u32 v0, s17, v115, v10
	ds_read_b32 v99, v0
	v_dot4_i32_i8 v0, v50, v6, 0
	v_dot4_i32_i8 v0, v100, v7, v0
	;; [unrolled: 1-line block ×8, first 2 shown]
	v_add_u32_e32 v0, 0x1080, v11
	ds_read2_b32 v[0:1], v0 offset1:1
	s_waitcnt lgkmcnt(0)
	v_ashrrev_i32_e32 v0, s18, v0
	v_and_b32_e32 v51, 0x3030303, v0
	v_ashrrev_i32_e32 v0, s18, v1
	v_and_b32_e32 v52, 0x3030303, v0
	v_add_u32_e32 v0, 0x1088, v11
	ds_read2_b32 v[0:1], v0 offset1:1
	s_waitcnt lgkmcnt(0)
	v_ashrrev_i32_e32 v0, s18, v0
	v_and_b32_e32 v54, 0x3030303, v0
	v_ashrrev_i32_e32 v0, s18, v1
	v_and_b32_e32 v56, 0x3030303, v0
	;; [unrolled: 7-line block ×4, first 2 shown]
	v_add3_u32 v0, s17, v63, v64
	ds_read_b32 v53, v0
	v_dot4_i32_i8 v0, v51, v6, 0
	v_dot4_i32_i8 v0, v52, v7, v0
	;; [unrolled: 1-line block ×8, first 2 shown]
	v_add_u32_e32 v0, 0x2100, v11
	ds_read2_b32 v[0:1], v0 offset1:1
	s_waitcnt lgkmcnt(0)
	v_ashrrev_i32_e32 v0, s18, v0
	v_and_b32_e32 v10, 0x3030303, v0
	v_ashrrev_i32_e32 v0, s18, v1
	v_and_b32_e32 v74, 0x3030303, v0
	v_add_u32_e32 v0, 0x2108, v11
	ds_read2_b32 v[0:1], v0 offset1:1
	v_dot4_i32_i8 v12, v10, v6, 0
	v_dot4_i32_i8 v12, v74, v7, v12
	s_waitcnt lgkmcnt(0)
	v_ashrrev_i32_e32 v0, s18, v0
	v_and_b32_e32 v62, 0x3030303, v0
	v_ashrrev_i32_e32 v0, s18, v1
	v_and_b32_e32 v64, 0x3030303, v0
	v_add_u32_e32 v0, 0x2110, v11
	ds_read2_b32 v[0:1], v0 offset1:1
	v_dot4_i32_i8 v12, v62, v8, v12
	v_dot4_i32_i8 v71, v64, v9, v12
	;; [unrolled: 9-line block ×3, first 2 shown]
	s_waitcnt lgkmcnt(0)
	v_ashrrev_i32_e32 v0, s18, v0
	v_and_b32_e32 v69, 0x3030303, v0
	v_ashrrev_i32_e32 v0, s18, v1
	v_and_b32_e32 v70, 0x3030303, v0
	v_dot4_i32_i8 v12, v69, v4, v12
	v_dot4_i32_i8 v61, v70, v5, v12
	v_add_u32_e32 v12, 0x3180, v11
	v_add3_u32 v0, s17, v78, v84
	ds_read2_b32 v[84:85], v12 offset1:1
	v_add_u32_e32 v1, s16, v66
	ds_read_b32 v0, v0
	s_waitcnt lgkmcnt(1)
	v_ashrrev_i32_e32 v12, s18, v84
	v_and_b32_e32 v79, 0x3030303, v12
	v_ashrrev_i32_e32 v12, s18, v85
	v_and_b32_e32 v89, 0x3030303, v12
	v_add_u32_e32 v12, 0x3188, v11
	ds_read2_b32 v[84:85], v12 offset1:1
	s_waitcnt lgkmcnt(0)
	v_ashrrev_i32_e32 v12, s18, v84
	v_and_b32_e32 v88, 0x3030303, v12
	v_ashrrev_i32_e32 v12, s18, v85
	v_and_b32_e32 v66, 0x3030303, v12
	v_add_u32_e32 v12, 0x3190, v11
	ds_read2_b32 v[84:85], v12 offset1:1
	v_add_u32_e32 v11, 0x3198, v11
	s_waitcnt lgkmcnt(0)
	v_ashrrev_i32_e32 v12, s18, v84
	v_and_b32_e32 v127, 0x3030303, v12
	v_ashrrev_i32_e32 v12, s18, v85
	ds_read2_b32 v[84:85], v11 offset1:1
	v_and_b32_e32 v126, 0x3030303, v12
	v_cvt_f32_f16_sdwa v119, v0 dst_sel:DWORD dst_unused:UNUSED_PAD src0_sel:WORD_1
	s_waitcnt lgkmcnt(0)
	v_ashrrev_i32_e32 v11, s18, v84
	v_and_b32_e32 v125, 0x3030303, v11
	v_ashrrev_i32_e32 v11, s18, v85
	v_and_b32_e32 v124, 0x3030303, v11
	v_add3_u32 v11, s17, v86, v93
	ds_read_b32 v122, v11
	ds_read_b128 v[93:96], v120 offset:1024
	ds_read_b128 v[102:105], v120 offset:1040
	ds_read_u16 v85, v77 offset:25088
	v_dot4_i32_i8 v11, v79, v6, 0
	v_dot4_i32_i8 v11, v89, v7, v11
	;; [unrolled: 1-line block ×4, first 2 shown]
	s_waitcnt lgkmcnt(0)
	v_bfe_u32 v77, v85, 4, 4
	v_mul_lo_u32 v78, v77, s9
	v_and_b32_e32 v81, 15, v85
	v_and_b32_e32 v81, 0xffff, v81
	v_mul_lo_u32 v84, v81, v80
	v_lshrrev_b32_sdwa v80, v110, v85 dst_sel:DWORD dst_unused:UNUSED_PAD src0_sel:DWORD src1_sel:BYTE_1
	v_dot4_i32_i8 v77, v78, v6, 0
	v_mul_lo_u32 v80, v80, s9
	v_dot4_i32_i8 v77, v78, v7, v77
	v_dot4_i32_i8 v77, v78, v8, v77
	;; [unrolled: 1-line block ×3, first 2 shown]
	v_and_b32_sdwa v77, v85, v116 dst_sel:DWORD dst_unused:UNUSED_PAD src0_sel:BYTE_1 src1_sel:DWORD
	v_dot4_i32_i8 v85, v80, v2, v86
	v_dot4_i32_i8 v85, v80, v3, v85
	v_dot4_i32_i8 v85, v80, v4, v85
	v_and_b32_e32 v77, 0xffff, v77
	v_dot4_i32_i8 v86, v80, v5, v85
                                        ; kill: def $vgpr85 killed $sgpr0 killed $exec
	v_dot4_i32_i8 v11, v127, v2, 0
	v_mad_u64_u32 v[84:85], s[16:17], v77, v82, v[84:85]
	v_dot4_i32_i8 v82, v78, v93, 0
	v_dot4_i32_i8 v11, v126, v3, v11
	;; [unrolled: 1-line block ×16, first 2 shown]
	v_mul_lo_u32 v82, v11, v81
	v_dot4_i32_i8 v12, v87, v103, v12
	v_dot4_i32_i8 v12, v97, v104, v12
	;; [unrolled: 1-line block ×3, first 2 shown]
	v_cvt_f32_i32_e32 v92, v84
	v_mad_u64_u32 v[84:85], s[16:17], v12, v77, v[82:83]
	v_cvt_f32_i32_e32 v86, v86
	v_cvt_f32_f16_sdwa v82, v99 dst_sel:DWORD dst_unused:UNUSED_PAD src0_sel:WORD_1
	ds_read_u16 v85, v83 offset:26112
	v_cvt_f32_i32_e32 v12, v101
	v_cvt_f32_f16_sdwa v101, v53 dst_sel:DWORD dst_unused:UNUSED_PAD src0_sel:WORD_1
	v_mul_f32_e32 v11, v82, v86
	v_fma_mix_f32 v11, v99, v92, -v11 op_sel_hi:[1,0,0]
	s_waitcnt lgkmcnt(0)
	v_bfe_u32 v83, v85, 4, 4
	v_fmac_f32_e32 v39, v13, v11
	v_cvt_f32_i32_e32 v11, v84
	v_mul_lo_u32 v84, v83, s9
	v_and_b32_e32 v86, 15, v85
	v_and_b32_e32 v86, 0xffff, v86
	v_mul_lo_u32 v75, v86, v75
	v_dot4_i32_i8 v83, v84, v6, 0
	v_dot4_i32_i8 v83, v84, v7, v83
	;; [unrolled: 1-line block ×4, first 2 shown]
	v_and_b32_sdwa v83, v85, v116 dst_sel:DWORD dst_unused:UNUSED_PAD src0_sel:BYTE_1 src1_sel:DWORD
	v_lshrrev_b32_sdwa v85, v110, v85 dst_sel:DWORD dst_unused:UNUSED_PAD src0_sel:DWORD src1_sel:BYTE_1
	v_mul_lo_u32 v85, v85, s9
	v_and_b32_e32 v83, 0xffff, v83
	v_mad_u64_u32 v[106:107], s[16:17], v83, v72, v[75:76]
	v_dot4_i32_i8 v92, v85, v2, v92
	v_dot4_i32_i8 v92, v85, v3, v92
	v_dot4_i32_i8 v72, v84, v93, 0
	v_mul_f32_e32 v12, v82, v12
	v_dot4_i32_i8 v92, v85, v4, v92
	v_dot4_i32_i8 v72, v84, v94, v72
	v_fma_mix_f32 v11, v99, v11, -v12 op_sel_hi:[1,0,0]
	v_dot4_i32_i8 v92, v85, v5, v92
	v_dot4_i32_i8 v72, v84, v95, v72
	v_fmac_f32_e32 v55, v14, v11
	v_dot4_i32_i8 v11, v51, v93, 0
	v_cvt_f32_i32_e32 v92, v92
	v_dot4_i32_i8 v72, v84, v96, v72
	v_dot4_i32_i8 v11, v52, v94, v11
	;; [unrolled: 1-line block ×8, first 2 shown]
	v_mul_lo_u32 v72, v11, v86
	v_mul_f32_e32 v11, v101, v92
	ds_read_u16 v92, v1 offset:27136
	v_cvt_f32_i32_e32 v75, v106
	v_dot4_i32_i8 v12, v57, v102, 0
	v_dot4_i32_i8 v12, v58, v103, v12
	;; [unrolled: 1-line block ×3, first 2 shown]
	s_waitcnt lgkmcnt(0)
	v_bfe_u32 v1, v92, 4, 4
	v_fma_mix_f32 v11, v53, v75, -v11 op_sel_hi:[1,0,0]
	v_mul_lo_u32 v75, v1, s9
	v_dot4_i32_i8 v12, v60, v105, v12
	v_mad_u64_u32 v[106:107], s[16:17], v12, v83, v[72:73]
	v_dot4_i32_i8 v1, v75, v6, 0
	v_dot4_i32_i8 v1, v75, v7, v1
	;; [unrolled: 1-line block ×3, first 2 shown]
	v_fmac_f32_e32 v76, v13, v11
	v_cvt_f32_i32_e32 v11, v106
	v_dot4_i32_i8 v106, v75, v9, v1
	v_and_b32_e32 v1, 15, v92
	v_and_b32_sdwa v72, v92, v116 dst_sel:DWORD dst_unused:UNUSED_PAD src0_sel:BYTE_1 src1_sel:DWORD
	v_lshrrev_b32_sdwa v92, v110, v92 dst_sel:DWORD dst_unused:UNUSED_PAD src0_sel:DWORD src1_sel:BYTE_1
	v_mul_lo_u32 v92, v92, s9
	v_and_b32_e32 v1, 0xffff, v1
	v_mul_lo_u32 v71, v1, v71
	v_cvt_f32_i32_e32 v12, v118
	v_dot4_i32_i8 v106, v92, v2, v106
	v_dot4_i32_i8 v106, v92, v3, v106
	v_and_b32_e32 v72, 0xffff, v72
	v_dot4_i32_i8 v106, v92, v4, v106
	v_dot4_i32_i8 v118, v92, v5, v106
	v_mad_u64_u32 v[106:107], s[16:17], v72, v61, v[71:72]
	v_dot4_i32_i8 v61, v75, v93, 0
	v_mul_f32_e32 v12, v101, v12
	v_dot4_i32_i8 v61, v75, v94, v61
	v_fma_mix_f32 v11, v53, v11, -v12 op_sel_hi:[1,0,0]
	v_dot4_i32_i8 v61, v75, v95, v61
	v_fmac_f32_e32 v45, v14, v11
	v_dot4_i32_i8 v11, v10, v93, 0
	v_dot4_i32_i8 v61, v75, v96, v61
	;; [unrolled: 1-line block ×10, first 2 shown]
	v_mul_lo_u32 v61, v11, v1
	v_dot4_i32_i8 v12, v68, v103, v12
	v_dot4_i32_i8 v12, v69, v104, v12
	;; [unrolled: 1-line block ×3, first 2 shown]
	v_cvt_f32_i32_e32 v71, v106
	v_mad_u64_u32 v[106:107], s[16:17], v12, v72, v[61:62]
	v_cvt_f32_i32_e32 v12, v90
	ds_read_u16 v90, v37 offset:28160
	v_cvt_f32_i32_e32 v118, v118
	v_mul_f32_e32 v12, v119, v12
	s_waitcnt lgkmcnt(0)
	v_bfe_u32 v37, v90, 4, 4
	v_mul_lo_u32 v61, v37, s9
	v_mul_f32_e32 v11, v119, v118
	v_fma_mix_f32 v11, v0, v71, -v11 op_sel_hi:[1,0,0]
	v_fmac_f32_e32 v73, v13, v11
	v_dot4_i32_i8 v6, v61, v6, 0
	v_dot4_i32_i8 v6, v61, v7, v6
	;; [unrolled: 1-line block ×4, first 2 shown]
	v_and_b32_e32 v6, 15, v90
	v_and_b32_sdwa v8, v90, v116 dst_sel:DWORD dst_unused:UNUSED_PAD src0_sel:BYTE_1 src1_sel:DWORD
	v_and_b32_e32 v37, 0xffff, v8
	v_and_b32_e32 v71, 0xffff, v6
	v_lshrrev_b32_sdwa v8, v110, v90 dst_sel:DWORD dst_unused:UNUSED_PAD src0_sel:DWORD src1_sel:BYTE_1
	v_mul_lo_u32 v6, v71, v63
	v_mul_lo_u32 v63, v8, s9
	v_cvt_f32_i32_e32 v11, v106
	v_dot4_i32_i8 v2, v63, v2, v7
	v_dot4_i32_i8 v2, v63, v3, v2
	;; [unrolled: 1-line block ×4, first 2 shown]
	v_mad_u64_u32 v[2:3], s[16:17], v37, v123, v[6:7]
	v_fma_mix_f32 v11, v0, v11, -v12 op_sel_hi:[1,0,0]
	v_fmac_f32_e32 v42, v14, v11
	v_cvt_f32_i32_e32 v5, v2
	v_dot4_i32_i8 v2, v61, v93, 0
	v_dot4_i32_i8 v2, v61, v94, v2
	;; [unrolled: 1-line block ×13, first 2 shown]
	v_mul_lo_u32 v2, v11, v71
	v_dot4_i32_i8 v12, v126, v103, v12
	v_cvt_f32_i32_e32 v4, v4
	v_cvt_f32_f16_sdwa v123, v122 dst_sel:DWORD dst_unused:UNUSED_PAD src0_sel:WORD_1
	v_dot4_i32_i8 v12, v125, v104, v12
	v_dot4_i32_i8 v12, v124, v105, v12
                                        ; kill: def $vgpr3 killed $sgpr0 killed $exec
	v_mad_u64_u32 v[2:3], s[16:17], v12, v37, v[2:3]
	v_mul_f32_e32 v3, v123, v4
	v_fma_mix_f32 v3, v122, v5, -v3 op_sel_hi:[1,0,0]
	v_fmac_f32_e32 v67, v13, v3
	v_cvt_f32_i32_e32 v3, v6
	v_cvt_f32_i32_e32 v2, v2
	v_mul_f32_e32 v3, v123, v3
	v_fma_mix_f32 v2, v122, v2, -v3 op_sel_hi:[1,0,0]
	v_fmac_f32_e32 v41, v14, v2
	ds_read2_b32 v[13:14], v121 offset0:64 offset1:96
	ds_read_b128 v[6:9], v120 offset:2048
	ds_read_b128 v[2:5], v120 offset:2064
	s_waitcnt lgkmcnt(1)
	v_dot4_i32_i8 v11, v50, v6, 0
	v_dot4_i32_i8 v11, v100, v7, v11
	;; [unrolled: 1-line block ×6, first 2 shown]
	v_mul_lo_u32 v93, v11, v81
	s_waitcnt lgkmcnt(0)
	v_dot4_i32_i8 v11, v49, v2, 0
	v_dot4_i32_i8 v12, v78, v8, v12
	;; [unrolled: 1-line block ×8, first 2 shown]
	v_mad_u64_u32 v[93:94], s[16:17], v11, v77, v[93:94]
	v_dot4_i32_i8 v12, v80, v4, v12
	v_dot4_i32_i8 v12, v80, v5, v12
	v_cvt_f32_i32_e32 v12, v12
	v_cvt_f32_i32_e32 v11, v93
	v_mul_f32_e32 v12, v82, v12
	v_fma_mix_f32 v11, v99, v11, -v12 op_sel_hi:[1,0,0]
	v_fmac_f32_e32 v40, v13, v11
	v_dot4_i32_i8 v11, v51, v6, 0
	v_dot4_i32_i8 v11, v52, v7, v11
	;; [unrolled: 1-line block ×6, first 2 shown]
	v_mul_lo_u32 v93, v11, v86
	v_dot4_i32_i8 v11, v57, v2, 0
	v_dot4_i32_i8 v12, v84, v8, v12
	;; [unrolled: 1-line block ×8, first 2 shown]
	v_mad_u64_u32 v[93:94], s[16:17], v11, v83, v[93:94]
	v_dot4_i32_i8 v12, v85, v4, v12
	v_dot4_i32_i8 v12, v85, v5, v12
	v_cvt_f32_i32_e32 v12, v12
	v_cvt_f32_i32_e32 v11, v93
	v_mul_f32_e32 v12, v101, v12
	v_fma_mix_f32 v11, v53, v11, -v12 op_sel_hi:[1,0,0]
	v_fmac_f32_e32 v38, v13, v11
	v_dot4_i32_i8 v11, v10, v6, 0
	v_dot4_i32_i8 v11, v74, v7, v11
	;; [unrolled: 1-line block ×6, first 2 shown]
	v_mul_lo_u32 v93, v11, v1
	v_dot4_i32_i8 v11, v65, v2, 0
	v_dot4_i32_i8 v12, v75, v8, v12
	;; [unrolled: 1-line block ×8, first 2 shown]
	v_mad_u64_u32 v[93:94], s[16:17], v11, v72, v[93:94]
	v_dot4_i32_i8 v12, v92, v4, v12
	v_dot4_i32_i8 v12, v92, v5, v12
	v_cvt_f32_i32_e32 v12, v12
	v_cvt_f32_i32_e32 v11, v93
	v_mul_f32_e32 v12, v119, v12
	v_fma_mix_f32 v11, v0, v11, -v12 op_sel_hi:[1,0,0]
	v_fmac_f32_e32 v36, v13, v11
	v_dot4_i32_i8 v11, v79, v6, 0
	v_dot4_i32_i8 v6, v61, v6, 0
	;; [unrolled: 1-line block ×8, first 2 shown]
	v_mul_lo_u32 v6, v7, v71
	v_dot4_i32_i8 v7, v127, v2, 0
	v_dot4_i32_i8 v2, v63, v2, v8
	;; [unrolled: 1-line block ×8, first 2 shown]
	v_mad_u64_u32 v[2:3], s[16:17], v3, v37, v[6:7]
	v_cvt_f32_i32_e32 v3, v4
	v_cvt_f32_i32_e32 v2, v2
	v_mul_f32_e32 v3, v123, v3
	v_fma_mix_f32 v2, v122, v2, -v3 op_sel_hi:[1,0,0]
	v_fmac_f32_e32 v35, v13, v2
	ds_read_b128 v[6:9], v120 offset:3072
	ds_read_b128 v[2:5], v120 offset:3088
	s_waitcnt lgkmcnt(1)
	v_dot4_i32_i8 v11, v50, v6, 0
	v_dot4_i32_i8 v11, v100, v7, v11
	;; [unrolled: 1-line block ×6, first 2 shown]
	v_mul_lo_u32 v13, v11, v81
	s_waitcnt lgkmcnt(0)
	v_dot4_i32_i8 v11, v49, v2, 0
	v_dot4_i32_i8 v12, v78, v8, v12
	;; [unrolled: 1-line block ×8, first 2 shown]
	v_mad_u64_u32 v[93:94], s[16:17], v11, v77, v[13:14]
	v_dot4_i32_i8 v12, v80, v4, v12
	v_dot4_i32_i8 v12, v80, v5, v12
	v_cvt_f32_i32_e32 v12, v12
	v_cvt_f32_i32_e32 v11, v93
	v_mul_f32_e32 v12, v82, v12
	v_fma_mix_f32 v11, v99, v11, -v12 op_sel_hi:[1,0,0]
	v_fmac_f32_e32 v34, v14, v11
	v_dot4_i32_i8 v11, v51, v6, 0
	v_dot4_i32_i8 v11, v52, v7, v11
	;; [unrolled: 1-line block ×6, first 2 shown]
	v_mul_lo_u32 v13, v11, v86
	v_dot4_i32_i8 v11, v57, v2, 0
	v_dot4_i32_i8 v12, v84, v8, v12
	;; [unrolled: 1-line block ×8, first 2 shown]
	v_mad_u64_u32 v[93:94], s[16:17], v11, v83, v[13:14]
	v_dot4_i32_i8 v12, v85, v4, v12
	v_dot4_i32_i8 v12, v85, v5, v12
	v_cvt_f32_i32_e32 v12, v12
	v_cvt_f32_i32_e32 v11, v93
	v_mul_f32_e32 v12, v101, v12
	v_fma_mix_f32 v11, v53, v11, -v12 op_sel_hi:[1,0,0]
	v_fmac_f32_e32 v33, v14, v11
	v_dot4_i32_i8 v11, v10, v6, 0
	v_dot4_i32_i8 v11, v74, v7, v11
	;; [unrolled: 1-line block ×6, first 2 shown]
	v_mul_lo_u32 v13, v11, v1
	v_dot4_i32_i8 v11, v65, v2, 0
	v_dot4_i32_i8 v12, v75, v8, v12
	;; [unrolled: 1-line block ×8, first 2 shown]
	v_mad_u64_u32 v[93:94], s[16:17], v11, v72, v[13:14]
	v_dot4_i32_i8 v12, v92, v4, v12
	v_dot4_i32_i8 v12, v92, v5, v12
	v_cvt_f32_i32_e32 v12, v12
	v_cvt_f32_i32_e32 v11, v93
	v_mul_f32_e32 v12, v119, v12
	v_fma_mix_f32 v11, v0, v11, -v12 op_sel_hi:[1,0,0]
	v_fmac_f32_e32 v32, v14, v11
	v_dot4_i32_i8 v11, v79, v6, 0
	v_dot4_i32_i8 v6, v61, v6, 0
	;; [unrolled: 1-line block ×8, first 2 shown]
	v_mul_lo_u32 v6, v7, v71
	v_dot4_i32_i8 v7, v127, v2, 0
	v_dot4_i32_i8 v2, v63, v2, v8
	;; [unrolled: 1-line block ×8, first 2 shown]
	v_mad_u64_u32 v[2:3], s[16:17], v3, v37, v[6:7]
	v_cvt_f32_i32_e32 v3, v4
	v_cvt_f32_i32_e32 v2, v2
	v_mul_f32_e32 v3, v123, v3
	v_fma_mix_f32 v2, v122, v2, -v3 op_sel_hi:[1,0,0]
	v_fmac_f32_e32 v31, v14, v2
	ds_read2_b32 v[13:14], v121 offset0:128 offset1:160
	ds_read_b128 v[6:9], v120 offset:4096
	ds_read_b128 v[2:5], v120 offset:4112
	s_waitcnt lgkmcnt(1)
	v_dot4_i32_i8 v11, v50, v6, 0
	v_dot4_i32_i8 v11, v100, v7, v11
	;; [unrolled: 1-line block ×6, first 2 shown]
	v_mul_lo_u32 v93, v11, v81
	s_waitcnt lgkmcnt(0)
	v_dot4_i32_i8 v11, v49, v2, 0
	v_dot4_i32_i8 v12, v78, v8, v12
	;; [unrolled: 1-line block ×8, first 2 shown]
	v_mad_u64_u32 v[93:94], s[16:17], v11, v77, v[93:94]
	v_dot4_i32_i8 v12, v80, v4, v12
	v_dot4_i32_i8 v12, v80, v5, v12
	v_cvt_f32_i32_e32 v12, v12
	v_cvt_f32_i32_e32 v11, v93
	v_mul_f32_e32 v12, v82, v12
	v_fma_mix_f32 v11, v99, v11, -v12 op_sel_hi:[1,0,0]
	v_fmac_f32_e32 v30, v13, v11
	v_dot4_i32_i8 v11, v51, v6, 0
	v_dot4_i32_i8 v11, v52, v7, v11
	;; [unrolled: 1-line block ×6, first 2 shown]
	v_mul_lo_u32 v93, v11, v86
	v_dot4_i32_i8 v11, v57, v2, 0
	v_dot4_i32_i8 v12, v84, v8, v12
	;; [unrolled: 1-line block ×8, first 2 shown]
	v_mad_u64_u32 v[93:94], s[16:17], v11, v83, v[93:94]
	v_dot4_i32_i8 v12, v85, v4, v12
	v_dot4_i32_i8 v12, v85, v5, v12
	v_cvt_f32_i32_e32 v12, v12
	v_cvt_f32_i32_e32 v11, v93
	v_mul_f32_e32 v12, v101, v12
	v_fma_mix_f32 v11, v53, v11, -v12 op_sel_hi:[1,0,0]
	v_fmac_f32_e32 v29, v13, v11
	v_dot4_i32_i8 v11, v10, v6, 0
	v_dot4_i32_i8 v11, v74, v7, v11
	v_dot4_i32_i8 v11, v62, v8, v11
	v_dot4_i32_i8 v12, v75, v6, 0
	v_dot4_i32_i8 v11, v64, v9, v11
	v_dot4_i32_i8 v12, v75, v7, v12
	v_mul_lo_u32 v93, v11, v1
	v_dot4_i32_i8 v11, v65, v2, 0
	v_dot4_i32_i8 v12, v75, v8, v12
	;; [unrolled: 1-line block ×8, first 2 shown]
	v_mad_u64_u32 v[93:94], s[16:17], v11, v72, v[93:94]
	v_dot4_i32_i8 v12, v92, v4, v12
	v_dot4_i32_i8 v12, v92, v5, v12
	v_cvt_f32_i32_e32 v12, v12
	v_cvt_f32_i32_e32 v11, v93
	v_mul_f32_e32 v12, v119, v12
	v_fma_mix_f32 v11, v0, v11, -v12 op_sel_hi:[1,0,0]
	v_fmac_f32_e32 v28, v13, v11
	v_dot4_i32_i8 v11, v79, v6, 0
	v_dot4_i32_i8 v6, v61, v6, 0
	;; [unrolled: 1-line block ×8, first 2 shown]
	v_mul_lo_u32 v6, v7, v71
	v_dot4_i32_i8 v7, v127, v2, 0
	v_dot4_i32_i8 v2, v63, v2, v8
	;; [unrolled: 1-line block ×8, first 2 shown]
	v_mad_u64_u32 v[2:3], s[16:17], v3, v37, v[6:7]
	v_cvt_f32_i32_e32 v3, v4
	v_cvt_f32_i32_e32 v2, v2
	v_mul_f32_e32 v3, v123, v3
	v_fma_mix_f32 v2, v122, v2, -v3 op_sel_hi:[1,0,0]
	v_fmac_f32_e32 v27, v13, v2
	ds_read_b128 v[6:9], v120 offset:5120
	ds_read_b128 v[2:5], v120 offset:5136
	s_waitcnt lgkmcnt(1)
	v_dot4_i32_i8 v11, v50, v6, 0
	v_dot4_i32_i8 v11, v100, v7, v11
	;; [unrolled: 1-line block ×6, first 2 shown]
	v_mul_lo_u32 v13, v11, v81
	s_waitcnt lgkmcnt(0)
	v_dot4_i32_i8 v11, v49, v2, 0
	v_dot4_i32_i8 v12, v78, v8, v12
	v_dot4_i32_i8 v11, v87, v3, v11
	v_dot4_i32_i8 v12, v78, v9, v12
	v_dot4_i32_i8 v11, v97, v4, v11
	v_dot4_i32_i8 v12, v80, v2, v12
	v_dot4_i32_i8 v11, v98, v5, v11
	v_dot4_i32_i8 v12, v80, v3, v12
	v_mad_u64_u32 v[93:94], s[16:17], v11, v77, v[13:14]
	v_dot4_i32_i8 v12, v80, v4, v12
	v_dot4_i32_i8 v12, v80, v5, v12
	v_cvt_f32_i32_e32 v12, v12
	v_cvt_f32_i32_e32 v11, v93
	v_mul_f32_e32 v12, v82, v12
	v_fma_mix_f32 v11, v99, v11, -v12 op_sel_hi:[1,0,0]
	v_fmac_f32_e32 v26, v14, v11
	v_dot4_i32_i8 v11, v51, v6, 0
	v_dot4_i32_i8 v11, v52, v7, v11
	;; [unrolled: 1-line block ×6, first 2 shown]
	v_mul_lo_u32 v13, v11, v86
	v_dot4_i32_i8 v11, v57, v2, 0
	v_dot4_i32_i8 v12, v84, v8, v12
	v_dot4_i32_i8 v11, v58, v3, v11
	v_dot4_i32_i8 v12, v84, v9, v12
	v_dot4_i32_i8 v11, v59, v4, v11
	v_dot4_i32_i8 v12, v85, v2, v12
	v_dot4_i32_i8 v11, v60, v5, v11
	v_dot4_i32_i8 v12, v85, v3, v12
	v_mad_u64_u32 v[93:94], s[16:17], v11, v83, v[13:14]
	v_dot4_i32_i8 v12, v85, v4, v12
	v_dot4_i32_i8 v12, v85, v5, v12
	v_cvt_f32_i32_e32 v12, v12
	v_cvt_f32_i32_e32 v11, v93
	v_mul_f32_e32 v12, v101, v12
	v_fma_mix_f32 v11, v53, v11, -v12 op_sel_hi:[1,0,0]
	v_fmac_f32_e32 v25, v14, v11
	v_dot4_i32_i8 v11, v10, v6, 0
	v_dot4_i32_i8 v11, v74, v7, v11
	;; [unrolled: 1-line block ×6, first 2 shown]
	v_mul_lo_u32 v13, v11, v1
	v_dot4_i32_i8 v11, v65, v2, 0
	v_dot4_i32_i8 v12, v75, v8, v12
	;; [unrolled: 1-line block ×8, first 2 shown]
	v_mad_u64_u32 v[93:94], s[16:17], v11, v72, v[13:14]
	v_dot4_i32_i8 v12, v92, v4, v12
	v_dot4_i32_i8 v12, v92, v5, v12
	v_cvt_f32_i32_e32 v12, v12
	v_cvt_f32_i32_e32 v11, v93
	v_mul_f32_e32 v12, v119, v12
	v_fma_mix_f32 v11, v0, v11, -v12 op_sel_hi:[1,0,0]
	v_fmac_f32_e32 v24, v14, v11
	v_dot4_i32_i8 v11, v79, v6, 0
	v_dot4_i32_i8 v6, v61, v6, 0
	v_dot4_i32_i8 v11, v89, v7, v11
	v_dot4_i32_i8 v6, v61, v7, v6
	v_dot4_i32_i8 v7, v88, v8, v11
	v_dot4_i32_i8 v6, v61, v8, v6
	v_dot4_i32_i8 v7, v66, v9, v7
	v_dot4_i32_i8 v8, v61, v9, v6
	v_mul_lo_u32 v6, v7, v71
	v_dot4_i32_i8 v7, v127, v2, 0
	v_dot4_i32_i8 v2, v63, v2, v8
	;; [unrolled: 1-line block ×8, first 2 shown]
	v_mad_u64_u32 v[2:3], s[16:17], v3, v37, v[6:7]
	v_cvt_f32_i32_e32 v3, v4
	v_cvt_f32_i32_e32 v2, v2
	v_mul_f32_e32 v3, v123, v3
	v_fma_mix_f32 v2, v122, v2, -v3 op_sel_hi:[1,0,0]
	v_fmac_f32_e32 v23, v14, v2
	ds_read2_b32 v[13:14], v121 offset0:192 offset1:224
	ds_read_b128 v[6:9], v120 offset:6144
	ds_read_b128 v[2:5], v120 offset:6160
	v_add_u32_e32 v121, 4, v121
	s_waitcnt lgkmcnt(1)
	v_dot4_i32_i8 v11, v50, v6, 0
	v_dot4_i32_i8 v11, v100, v7, v11
	;; [unrolled: 1-line block ×6, first 2 shown]
	v_mul_lo_u32 v93, v11, v81
	s_waitcnt lgkmcnt(0)
	v_dot4_i32_i8 v11, v49, v2, 0
	v_dot4_i32_i8 v12, v78, v8, v12
	;; [unrolled: 1-line block ×8, first 2 shown]
	v_mad_u64_u32 v[93:94], s[16:17], v11, v77, v[93:94]
	v_dot4_i32_i8 v12, v80, v4, v12
	v_dot4_i32_i8 v12, v80, v5, v12
	v_cvt_f32_i32_e32 v12, v12
	v_cvt_f32_i32_e32 v11, v93
	v_mul_f32_e32 v12, v82, v12
	v_fma_mix_f32 v11, v99, v11, -v12 op_sel_hi:[1,0,0]
	v_fmac_f32_e32 v22, v13, v11
	v_dot4_i32_i8 v11, v51, v6, 0
	v_dot4_i32_i8 v11, v52, v7, v11
	;; [unrolled: 1-line block ×6, first 2 shown]
	v_mul_lo_u32 v93, v11, v86
	v_dot4_i32_i8 v11, v57, v2, 0
	v_dot4_i32_i8 v12, v84, v8, v12
	;; [unrolled: 1-line block ×8, first 2 shown]
	v_mad_u64_u32 v[93:94], s[16:17], v11, v83, v[93:94]
	v_dot4_i32_i8 v12, v85, v4, v12
	v_dot4_i32_i8 v12, v85, v5, v12
	v_cvt_f32_i32_e32 v12, v12
	v_cvt_f32_i32_e32 v11, v93
	v_mul_f32_e32 v12, v101, v12
	v_fma_mix_f32 v11, v53, v11, -v12 op_sel_hi:[1,0,0]
	v_fmac_f32_e32 v21, v13, v11
	v_dot4_i32_i8 v11, v10, v6, 0
	v_dot4_i32_i8 v11, v74, v7, v11
	v_dot4_i32_i8 v11, v62, v8, v11
	v_dot4_i32_i8 v12, v75, v6, 0
	v_dot4_i32_i8 v11, v64, v9, v11
	v_dot4_i32_i8 v12, v75, v7, v12
	v_mul_lo_u32 v93, v11, v1
	v_dot4_i32_i8 v11, v65, v2, 0
	v_dot4_i32_i8 v12, v75, v8, v12
	;; [unrolled: 1-line block ×8, first 2 shown]
	v_mad_u64_u32 v[93:94], s[16:17], v11, v72, v[93:94]
	v_dot4_i32_i8 v12, v92, v4, v12
	v_dot4_i32_i8 v12, v92, v5, v12
	v_cvt_f32_i32_e32 v12, v12
	v_cvt_f32_i32_e32 v11, v93
	v_mov_b32_e32 v93, v117
	v_mul_f32_e32 v12, v119, v12
	v_fma_mix_f32 v11, v0, v11, -v12 op_sel_hi:[1,0,0]
	v_fmac_f32_e32 v20, v13, v11
	v_dot4_i32_i8 v11, v79, v6, 0
	v_dot4_i32_i8 v6, v61, v6, 0
	;; [unrolled: 1-line block ×8, first 2 shown]
	v_mul_lo_u32 v6, v7, v71
	v_dot4_i32_i8 v7, v127, v2, 0
	v_dot4_i32_i8 v2, v63, v2, v8
	;; [unrolled: 1-line block ×8, first 2 shown]
	v_mad_u64_u32 v[2:3], s[16:17], v3, v37, v[6:7]
	v_cvt_f32_i32_e32 v3, v4
	v_cvt_f32_i32_e32 v2, v2
	v_mul_f32_e32 v3, v123, v3
	v_fma_mix_f32 v2, v122, v2, -v3 op_sel_hi:[1,0,0]
	v_fmac_f32_e32 v19, v13, v2
	ds_read_b128 v[6:9], v120 offset:7168
	ds_read_b128 v[2:5], v120 offset:7184
	v_add_u32_e32 v120, 32, v120
	s_waitcnt lgkmcnt(1)
	v_dot4_i32_i8 v11, v50, v6, 0
	v_dot4_i32_i8 v11, v100, v7, v11
	;; [unrolled: 1-line block ×6, first 2 shown]
	v_mul_lo_u32 v13, v11, v81
	s_waitcnt lgkmcnt(0)
	v_dot4_i32_i8 v11, v49, v2, 0
	v_dot4_i32_i8 v12, v78, v8, v12
	;; [unrolled: 1-line block ×8, first 2 shown]
	v_mad_u64_u32 v[47:48], s[16:17], v11, v77, v[13:14]
	v_dot4_i32_i8 v12, v80, v4, v12
	v_dot4_i32_i8 v12, v80, v5, v12
	v_cvt_f32_i32_e32 v12, v12
	v_cvt_f32_i32_e32 v11, v47
	v_dot4_i32_i8 v10, v10, v6, 0
	v_dot4_i32_i8 v10, v74, v7, v10
	v_mul_f32_e32 v12, v82, v12
	v_fma_mix_f32 v11, v99, v11, -v12 op_sel_hi:[1,0,0]
	v_fmac_f32_e32 v18, v14, v11
	v_dot4_i32_i8 v11, v51, v6, 0
	v_dot4_i32_i8 v11, v52, v7, v11
	;; [unrolled: 1-line block ×6, first 2 shown]
	v_mul_lo_u32 v13, v11, v86
	v_dot4_i32_i8 v11, v57, v2, 0
	v_dot4_i32_i8 v12, v84, v8, v12
	;; [unrolled: 1-line block ×8, first 2 shown]
	v_mad_u64_u32 v[47:48], s[16:17], v11, v83, v[13:14]
	v_dot4_i32_i8 v12, v85, v4, v12
	v_dot4_i32_i8 v12, v85, v5, v12
	v_cvt_f32_i32_e32 v12, v12
	v_cvt_f32_i32_e32 v11, v47
	v_dot4_i32_i8 v10, v62, v8, v10
	v_dot4_i32_i8 v10, v64, v9, v10
	v_mul_f32_e32 v12, v101, v12
	v_fma_mix_f32 v11, v53, v11, -v12 op_sel_hi:[1,0,0]
	v_fmac_f32_e32 v17, v14, v11
	v_dot4_i32_i8 v11, v75, v6, 0
	v_dot4_i32_i8 v11, v75, v7, v11
	v_mul_lo_u32 v1, v10, v1
	v_dot4_i32_i8 v10, v65, v2, 0
	v_dot4_i32_i8 v11, v75, v8, v11
	;; [unrolled: 1-line block ×8, first 2 shown]
	v_mad_u64_u32 v[47:48], s[16:17], v10, v72, v[1:2]
	v_dot4_i32_i8 v11, v92, v4, v11
	v_dot4_i32_i8 v11, v92, v5, v11
	v_cvt_f32_i32_e32 v10, v11
	v_cvt_f32_i32_e32 v1, v47
	v_mov_b32_e32 v78, v112
	v_mov_b32_e32 v81, v108
	v_mul_f32_e32 v10, v119, v10
	v_fma_mix_f32 v0, v0, v1, -v10 op_sel_hi:[1,0,0]
	v_fmac_f32_e32 v16, v14, v0
	v_dot4_i32_i8 v0, v79, v6, 0
	v_dot4_i32_i8 v1, v61, v6, 0
	;; [unrolled: 1-line block ×12, first 2 shown]
	buffer_load_dword v63, off, s[20:23], 0 ; 4-byte Folded Reload
	v_mul_lo_u32 v6, v6, v71
	v_dot4_i32_i8 v1, v127, v2, 0
	v_dot4_i32_i8 v1, v126, v3, v1
	;; [unrolled: 1-line block ×4, first 2 shown]
	v_mad_u64_u32 v[1:2], s[16:17], v1, v37, v[6:7]
	v_cvt_f32_i32_e32 v0, v0
	s_add_i32 s16, s15, 2
	v_cvt_f32_i32_e32 v1, v1
	v_mov_b32_e32 v84, v113
	v_mul_f32_e32 v0, v123, v0
	v_mov_b32_e32 v86, v114
	v_fma_mix_f32 v0, v122, v1, -v0 op_sel_hi:[1,0,0]
	v_mov_b32_e32 v62, v46
	v_mov_b32_e32 v64, v111
	;; [unrolled: 1-line block ×5, first 2 shown]
	v_fmac_f32_e32 v15, v14, v0
	s_cmp_lt_u32 s15, 14
	s_mov_b32 s15, s16
	s_cbranch_scc1 .LBB167_10
; %bb.11:                               ;   in Loop: Header=BB167_7 Depth=1
	s_or_b32 s15, s7, 1
	s_cmp_ge_i32 s15, s4
	s_waitcnt vmcnt(0)
	s_barrier
	s_cbranch_scc1 .LBB167_5
; %bb.12:                               ;   in Loop: Header=BB167_7 Depth=1
	buffer_load_dword v0, off, s[20:23], 0 offset:244 ; 4-byte Folded Reload
	s_mov_b32 s15, 16
	v_mov_b32_e32 v116, v115
	v_mov_b32_e32 v115, 15
	;; [unrolled: 1-line block ×3, first 2 shown]
	s_waitcnt vmcnt(0)
	v_add_u32_e32 v2, s14, v0
	buffer_load_dword v0, off, s[20:23], 0 offset:8 ; 4-byte Folded Reload
	buffer_load_dword v3, off, s[20:23], 0 offset:40 ; 4-byte Folded Reload
	buffer_load_dword v4, off, s[20:23], 0 offset:44 ; 4-byte Folded Reload
	s_waitcnt vmcnt(2)
	v_add_u32_e32 v0, v2, v0
	s_waitcnt vmcnt(0)
	v_mad_i64_i32 v[0:1], s[16:17], v0, 36, v[3:4]
	global_load_dword v0, v[0:1], off offset:4
	s_nop 0
	buffer_load_dword v1, off, s[20:23], 0 offset:88 ; 4-byte Folded Reload
	s_waitcnt vmcnt(0)
	ds_write_b32 v1, v0
	buffer_load_dword v0, off, s[20:23], 0 offset:12 ; 4-byte Folded Reload
	s_waitcnt vmcnt(0)
	v_add_u32_e32 v0, v2, v0
	v_mad_i64_i32 v[0:1], s[16:17], v0, 36, v[3:4]
	global_load_dword v0, v[0:1], off offset:4
	s_nop 0
	buffer_load_dword v1, off, s[20:23], 0 offset:56 ; 4-byte Folded Reload
	s_waitcnt vmcnt(0)
	ds_write_b32 v1, v0
	buffer_load_dword v0, off, s[20:23], 0 offset:16 ; 4-byte Folded Reload
	s_waitcnt vmcnt(0)
	v_add_u32_e32 v0, v2, v0
	v_mad_i64_i32 v[0:1], s[16:17], v0, 36, v[3:4]
	global_load_dword v0, v[0:1], off offset:4
	s_nop 0
	buffer_load_dword v1, off, s[20:23], 0 offset:60 ; 4-byte Folded Reload
	s_waitcnt vmcnt(0)
	ds_write_b32 v1, v0
	buffer_load_dword v0, off, s[20:23], 0 offset:20 ; 4-byte Folded Reload
	s_waitcnt vmcnt(0)
	v_add_u32_e32 v0, v2, v0
	v_mad_i64_i32 v[0:1], s[16:17], v0, 36, v[3:4]
	global_load_dword v0, v[0:1], off offset:4
	s_nop 0
	buffer_load_dword v1, off, s[20:23], 0 offset:64 ; 4-byte Folded Reload
	s_waitcnt vmcnt(0)
	ds_write_b32 v1, v0
	buffer_load_dword v0, off, s[20:23], 0 offset:24 ; 4-byte Folded Reload
	s_waitcnt vmcnt(0)
	v_add_u32_e32 v0, v2, v0
	v_mad_i64_i32 v[0:1], s[16:17], v0, 36, v[3:4]
	global_load_dword v0, v[0:1], off offset:4
	s_nop 0
	buffer_load_dword v1, off, s[20:23], 0 offset:68 ; 4-byte Folded Reload
	s_waitcnt vmcnt(0)
	ds_write_b32 v1, v0
	buffer_load_dword v0, off, s[20:23], 0 offset:28 ; 4-byte Folded Reload
	s_waitcnt vmcnt(0)
	v_add_u32_e32 v0, v2, v0
	v_mad_i64_i32 v[0:1], s[16:17], v0, 36, v[3:4]
	global_load_dword v0, v[0:1], off offset:4
	s_nop 0
	buffer_load_dword v1, off, s[20:23], 0 offset:72 ; 4-byte Folded Reload
	s_waitcnt vmcnt(0)
	ds_write_b32 v1, v0
	buffer_load_dword v0, off, s[20:23], 0 offset:32 ; 4-byte Folded Reload
	s_waitcnt vmcnt(0)
	v_add_u32_e32 v0, v2, v0
	v_mad_i64_i32 v[0:1], s[16:17], v0, 36, v[3:4]
	global_load_dword v0, v[0:1], off offset:4
	s_nop 0
	buffer_load_dword v1, off, s[20:23], 0 offset:76 ; 4-byte Folded Reload
	s_waitcnt vmcnt(0)
	ds_write_b32 v1, v0
	buffer_load_dword v0, off, s[20:23], 0 offset:36 ; 4-byte Folded Reload
	s_waitcnt vmcnt(0)
	v_add_u32_e32 v0, v2, v0
	v_mad_i64_i32 v[0:1], s[16:17], v0, 36, v[3:4]
	global_load_dword v0, v[0:1], off offset:4
	s_nop 0
	buffer_load_dword v1, off, s[20:23], 0 offset:80 ; 4-byte Folded Reload
	s_waitcnt vmcnt(0)
	ds_write_b32 v1, v0
	buffer_load_dword v0, off, s[20:23], 0 offset:84 ; 4-byte Folded Reload
	s_waitcnt vmcnt(0)
	v_add_u32_e32 v0, 8, v0
	v_mad_u64_u32 v[0:1], s[16:17], v0, 36, s[2:3]
	global_load_dword v0, v[0:1], off
	s_nop 0
	buffer_load_dword v1, off, s[20:23], 0 offset:4 ; 4-byte Folded Reload
	s_waitcnt vmcnt(1)
	v_cvt_f32_f16_e32 v0, v0
	s_waitcnt vmcnt(0)
	ds_write_b32 v1, v0
	s_waitcnt lgkmcnt(0)
	s_barrier
	buffer_load_dword v120, off, s[20:23], 0 offset:52 ; 4-byte Folded Reload
	buffer_load_dword v121, off, s[20:23], 0 offset:48 ; 4-byte Folded Reload
.LBB167_13:                             ;   Parent Loop BB167_7 Depth=1
                                        ; =>  This Inner Loop Header: Depth=2
	s_and_b32 s17, s15, 0x3ffffff8
	v_lshl_add_u32 v11, s17, 2, v91
	s_waitcnt vmcnt(0)
	ds_read2_b32 v[13:14], v121 offset1:32
	ds_read_b128 v[6:9], v120
	ds_read_b128 v[2:5], v120 offset:16
	ds_read2_b32 v[0:1], v11 offset1:1
	s_add_i32 s18, s15, -16
	s_lshr_b32 s17, s15, 2
	s_and_b32 s17, s17, 0x3ffffffc
	s_addk_i32 s17, 0x7280
	s_waitcnt lgkmcnt(0)
	v_ashrrev_i32_e32 v0, s18, v0
	v_and_b32_e32 v50, 0x3030303, v0
	v_ashrrev_i32_e32 v0, s18, v1
	v_and_b32_e32 v100, 0x3030303, v0
	ds_read2_b32 v[0:1], v11 offset0:2 offset1:3
	s_and_b32 s16, s15, -16
	s_add_i32 s16, s15, s16
	v_add_u32_e32 v83, s16, v62
	v_add_u32_e32 v77, s16, v12
	s_waitcnt lgkmcnt(0)
	v_ashrrev_i32_e32 v0, s18, v0
	v_and_b32_e32 v47, 0x3030303, v0
	v_ashrrev_i32_e32 v0, s18, v1
	v_and_b32_e32 v48, 0x3030303, v0
	ds_read2_b32 v[0:1], v11 offset0:4 offset1:5
	v_add_u32_e32 v37, s16, v81
	s_waitcnt lgkmcnt(0)
	v_ashrrev_i32_e32 v0, s18, v0
	v_and_b32_e32 v49, 0x3030303, v0
	v_ashrrev_i32_e32 v0, s18, v1
	v_and_b32_e32 v87, 0x3030303, v0
	ds_read2_b32 v[0:1], v11 offset0:6 offset1:7
	s_waitcnt lgkmcnt(0)
	v_ashrrev_i32_e32 v0, s18, v0
	v_and_b32_e32 v97, 0x3030303, v0
	v_ashrrev_i32_e32 v0, s18, v1
	v_and_b32_e32 v98, 0x3030303, v0
	v_add3_u32 v0, s17, v116, v10
	ds_read_b32 v99, v0
	v_dot4_i32_i8 v0, v50, v6, 0
	v_dot4_i32_i8 v0, v100, v7, v0
	;; [unrolled: 1-line block ×8, first 2 shown]
	v_add_u32_e32 v0, 0x1080, v11
	ds_read2_b32 v[0:1], v0 offset1:1
	s_waitcnt lgkmcnt(0)
	v_ashrrev_i32_e32 v0, s18, v0
	v_and_b32_e32 v51, 0x3030303, v0
	v_ashrrev_i32_e32 v0, s18, v1
	v_and_b32_e32 v52, 0x3030303, v0
	v_add_u32_e32 v0, 0x1088, v11
	ds_read2_b32 v[0:1], v0 offset1:1
	s_waitcnt lgkmcnt(0)
	v_ashrrev_i32_e32 v0, s18, v0
	v_and_b32_e32 v54, 0x3030303, v0
	v_ashrrev_i32_e32 v0, s18, v1
	v_and_b32_e32 v56, 0x3030303, v0
	;; [unrolled: 7-line block ×4, first 2 shown]
	v_add3_u32 v0, s17, v63, v64
	ds_read_b32 v53, v0
	v_dot4_i32_i8 v0, v51, v6, 0
	v_dot4_i32_i8 v0, v52, v7, v0
	;; [unrolled: 1-line block ×8, first 2 shown]
	v_add_u32_e32 v0, 0x2100, v11
	ds_read2_b32 v[0:1], v0 offset1:1
	s_waitcnt lgkmcnt(1)
	v_cvt_f32_f16_sdwa v101, v53 dst_sel:DWORD dst_unused:UNUSED_PAD src0_sel:WORD_1
	s_waitcnt lgkmcnt(0)
	v_ashrrev_i32_e32 v0, s18, v0
	v_and_b32_e32 v10, 0x3030303, v0
	v_ashrrev_i32_e32 v0, s18, v1
	v_and_b32_e32 v74, 0x3030303, v0
	v_add_u32_e32 v0, 0x2108, v11
	ds_read2_b32 v[0:1], v0 offset1:1
	v_dot4_i32_i8 v12, v10, v6, 0
	v_dot4_i32_i8 v12, v74, v7, v12
	s_waitcnt lgkmcnt(0)
	v_ashrrev_i32_e32 v0, s18, v0
	v_and_b32_e32 v62, 0x3030303, v0
	v_ashrrev_i32_e32 v0, s18, v1
	v_and_b32_e32 v64, 0x3030303, v0
	v_add_u32_e32 v0, 0x2110, v11
	ds_read2_b32 v[0:1], v0 offset1:1
	v_dot4_i32_i8 v12, v62, v8, v12
	v_dot4_i32_i8 v71, v64, v9, v12
	;; [unrolled: 9-line block ×3, first 2 shown]
	s_waitcnt lgkmcnt(0)
	v_ashrrev_i32_e32 v0, s18, v0
	v_and_b32_e32 v69, 0x3030303, v0
	v_ashrrev_i32_e32 v0, s18, v1
	v_and_b32_e32 v70, 0x3030303, v0
	v_dot4_i32_i8 v12, v69, v4, v12
	v_dot4_i32_i8 v61, v70, v5, v12
	v_add_u32_e32 v12, 0x3180, v11
	v_add3_u32 v0, s17, v78, v84
	ds_read2_b32 v[84:85], v12 offset1:1
	v_add_u32_e32 v1, s16, v66
	ds_read_b32 v0, v0
	s_waitcnt lgkmcnt(1)
	v_ashrrev_i32_e32 v12, s18, v84
	v_and_b32_e32 v79, 0x3030303, v12
	v_ashrrev_i32_e32 v12, s18, v85
	v_and_b32_e32 v89, 0x3030303, v12
	v_add_u32_e32 v12, 0x3188, v11
	ds_read2_b32 v[84:85], v12 offset1:1
	s_waitcnt lgkmcnt(0)
	v_ashrrev_i32_e32 v12, s18, v84
	v_and_b32_e32 v88, 0x3030303, v12
	v_ashrrev_i32_e32 v12, s18, v85
	v_and_b32_e32 v66, 0x3030303, v12
	v_add_u32_e32 v12, 0x3190, v11
	ds_read2_b32 v[84:85], v12 offset1:1
	v_add_u32_e32 v11, 0x3198, v11
	s_waitcnt lgkmcnt(0)
	v_ashrrev_i32_e32 v12, s18, v84
	v_and_b32_e32 v127, 0x3030303, v12
	v_ashrrev_i32_e32 v12, s18, v85
	ds_read2_b32 v[84:85], v11 offset1:1
	v_and_b32_e32 v126, 0x3030303, v12
	v_cvt_f32_f16_sdwa v119, v0 dst_sel:DWORD dst_unused:UNUSED_PAD src0_sel:WORD_1
	s_waitcnt lgkmcnt(0)
	v_ashrrev_i32_e32 v11, s18, v84
	v_and_b32_e32 v125, 0x3030303, v11
	v_ashrrev_i32_e32 v11, s18, v85
	v_and_b32_e32 v124, 0x3030303, v11
	v_add3_u32 v11, s17, v86, v93
	ds_read_b32 v122, v11
	ds_read_b128 v[93:96], v120 offset:1024
	ds_read_b128 v[102:105], v120 offset:1040
	ds_read_u16 v85, v77 offset:25072
	v_dot4_i32_i8 v11, v79, v6, 0
	v_dot4_i32_i8 v11, v89, v7, v11
	;; [unrolled: 1-line block ×4, first 2 shown]
	s_waitcnt lgkmcnt(0)
	v_bfe_u32 v77, v85, 4, 4
	v_mul_lo_u32 v78, v77, s9
	v_and_b32_e32 v81, 15, v85
	v_and_b32_e32 v81, 0xffff, v81
	v_mul_lo_u32 v84, v81, v80
	v_lshrrev_b32_sdwa v80, v110, v85 dst_sel:DWORD dst_unused:UNUSED_PAD src0_sel:DWORD src1_sel:BYTE_1
	v_dot4_i32_i8 v77, v78, v6, 0
	v_mul_lo_u32 v80, v80, s9
	v_dot4_i32_i8 v77, v78, v7, v77
	v_dot4_i32_i8 v77, v78, v8, v77
	;; [unrolled: 1-line block ×3, first 2 shown]
	v_and_b32_sdwa v77, v85, v115 dst_sel:DWORD dst_unused:UNUSED_PAD src0_sel:BYTE_1 src1_sel:DWORD
	v_dot4_i32_i8 v85, v80, v2, v86
	v_dot4_i32_i8 v85, v80, v3, v85
	;; [unrolled: 1-line block ×3, first 2 shown]
	v_and_b32_e32 v77, 0xffff, v77
	v_dot4_i32_i8 v86, v80, v5, v85
                                        ; kill: def $vgpr85 killed $sgpr0 killed $exec
	v_dot4_i32_i8 v11, v127, v2, 0
	v_mad_u64_u32 v[84:85], s[16:17], v77, v82, v[84:85]
	v_dot4_i32_i8 v82, v78, v93, 0
	v_dot4_i32_i8 v11, v126, v3, v11
	v_dot4_i32_i8 v82, v78, v94, v82
	v_dot4_i32_i8 v11, v125, v4, v11
	v_dot4_i32_i8 v82, v78, v95, v82
	v_dot4_i32_i8 v123, v124, v5, v11
	v_dot4_i32_i8 v11, v50, v93, 0
	v_dot4_i32_i8 v82, v78, v96, v82
	v_dot4_i32_i8 v11, v100, v94, v11
	v_dot4_i32_i8 v82, v80, v102, v82
	v_dot4_i32_i8 v11, v47, v95, v11
	v_dot4_i32_i8 v82, v80, v103, v82
	v_dot4_i32_i8 v11, v48, v96, v11
	v_dot4_i32_i8 v82, v80, v104, v82
	v_dot4_i32_i8 v12, v49, v102, 0
	v_dot4_i32_i8 v92, v80, v105, v82
	v_mul_lo_u32 v82, v11, v81
	v_dot4_i32_i8 v12, v87, v103, v12
	v_dot4_i32_i8 v12, v97, v104, v12
	;; [unrolled: 1-line block ×3, first 2 shown]
	v_cvt_f32_i32_e32 v90, v84
	v_mad_u64_u32 v[84:85], s[16:17], v12, v77, v[82:83]
	v_cvt_f32_i32_e32 v86, v86
	v_cvt_f32_f16_sdwa v82, v99 dst_sel:DWORD dst_unused:UNUSED_PAD src0_sel:WORD_1
	ds_read_u16 v85, v83 offset:26096
	v_cvt_f32_i32_e32 v12, v92
	v_mul_f32_e32 v11, v82, v86
	v_fma_mix_f32 v11, v99, v90, -v11 op_sel_hi:[1,0,0]
	s_waitcnt lgkmcnt(0)
	v_bfe_u32 v83, v85, 4, 4
	v_fmac_f32_e32 v39, v13, v11
	v_cvt_f32_i32_e32 v11, v84
	v_mul_lo_u32 v84, v83, s9
	v_and_b32_e32 v86, 15, v85
	v_and_b32_e32 v86, 0xffff, v86
	v_mul_lo_u32 v75, v86, v75
	v_dot4_i32_i8 v83, v84, v6, 0
	v_dot4_i32_i8 v83, v84, v7, v83
	;; [unrolled: 1-line block ×4, first 2 shown]
	v_and_b32_sdwa v83, v85, v115 dst_sel:DWORD dst_unused:UNUSED_PAD src0_sel:BYTE_1 src1_sel:DWORD
	v_lshrrev_b32_sdwa v85, v110, v85 dst_sel:DWORD dst_unused:UNUSED_PAD src0_sel:DWORD src1_sel:BYTE_1
	v_mul_lo_u32 v85, v85, s9
	v_and_b32_e32 v83, 0xffff, v83
	v_mad_u64_u32 v[106:107], s[16:17], v83, v72, v[75:76]
	v_dot4_i32_i8 v90, v85, v2, v90
	v_dot4_i32_i8 v90, v85, v3, v90
	;; [unrolled: 1-line block ×3, first 2 shown]
	v_mul_f32_e32 v12, v82, v12
	v_dot4_i32_i8 v90, v85, v4, v90
	v_dot4_i32_i8 v72, v84, v94, v72
	v_fma_mix_f32 v11, v99, v11, -v12 op_sel_hi:[1,0,0]
	v_dot4_i32_i8 v90, v85, v5, v90
	v_dot4_i32_i8 v72, v84, v95, v72
	v_fmac_f32_e32 v55, v14, v11
	v_dot4_i32_i8 v11, v51, v93, 0
	v_cvt_f32_i32_e32 v90, v90
	v_dot4_i32_i8 v72, v84, v96, v72
	v_dot4_i32_i8 v11, v52, v94, v11
	v_dot4_i32_i8 v72, v85, v102, v72
	v_dot4_i32_i8 v11, v54, v95, v11
	v_dot4_i32_i8 v72, v85, v103, v72
	v_dot4_i32_i8 v11, v56, v96, v11
	v_dot4_i32_i8 v72, v85, v104, v72
	v_dot4_i32_i8 v92, v85, v105, v72
	v_mul_lo_u32 v72, v11, v86
	v_mul_f32_e32 v11, v101, v90
	ds_read_u16 v90, v1 offset:27120
	v_cvt_f32_i32_e32 v75, v106
	v_dot4_i32_i8 v12, v57, v102, 0
	v_dot4_i32_i8 v12, v58, v103, v12
	v_dot4_i32_i8 v12, v59, v104, v12
	s_waitcnt lgkmcnt(0)
	v_bfe_u32 v1, v90, 4, 4
	v_fma_mix_f32 v11, v53, v75, -v11 op_sel_hi:[1,0,0]
	v_mul_lo_u32 v75, v1, s9
	v_dot4_i32_i8 v12, v60, v105, v12
	v_mad_u64_u32 v[106:107], s[16:17], v12, v83, v[72:73]
	v_dot4_i32_i8 v1, v75, v6, 0
	v_dot4_i32_i8 v1, v75, v7, v1
	;; [unrolled: 1-line block ×3, first 2 shown]
	v_fmac_f32_e32 v76, v13, v11
	v_cvt_f32_i32_e32 v11, v106
	v_dot4_i32_i8 v106, v75, v9, v1
	v_and_b32_e32 v1, 15, v90
	v_and_b32_sdwa v72, v90, v115 dst_sel:DWORD dst_unused:UNUSED_PAD src0_sel:BYTE_1 src1_sel:DWORD
	v_lshrrev_b32_sdwa v90, v110, v90 dst_sel:DWORD dst_unused:UNUSED_PAD src0_sel:DWORD src1_sel:BYTE_1
	v_cvt_f32_i32_e32 v12, v92
	v_and_b32_e32 v1, 0xffff, v1
	v_mul_lo_u32 v92, v90, s9
	v_mul_lo_u32 v71, v1, v71
	v_and_b32_e32 v72, 0xffff, v72
	v_mul_f32_e32 v12, v101, v12
	v_dot4_i32_i8 v90, v92, v2, v106
	v_dot4_i32_i8 v90, v92, v3, v90
	v_mad_u64_u32 v[106:107], s[16:17], v72, v61, v[71:72]
	v_dot4_i32_i8 v61, v75, v93, 0
	v_dot4_i32_i8 v90, v92, v4, v90
	;; [unrolled: 1-line block ×3, first 2 shown]
	v_fma_mix_f32 v11, v53, v11, -v12 op_sel_hi:[1,0,0]
	v_dot4_i32_i8 v90, v92, v5, v90
	v_dot4_i32_i8 v61, v75, v95, v61
	v_fmac_f32_e32 v45, v14, v11
	v_dot4_i32_i8 v11, v10, v93, 0
	v_cvt_f32_i32_e32 v90, v90
	v_dot4_i32_i8 v61, v75, v96, v61
	v_dot4_i32_i8 v11, v74, v94, v11
	v_dot4_i32_i8 v61, v92, v102, v61
	v_dot4_i32_i8 v11, v62, v95, v11
	v_dot4_i32_i8 v61, v92, v103, v61
	v_dot4_i32_i8 v11, v64, v96, v11
	v_dot4_i32_i8 v61, v92, v104, v61
	v_dot4_i32_i8 v118, v92, v105, v61
	v_mul_lo_u32 v61, v11, v1
	v_mul_f32_e32 v11, v119, v90
	ds_read_u16 v90, v37 offset:28144
	v_dot4_i32_i8 v12, v65, v102, 0
	v_dot4_i32_i8 v12, v68, v103, v12
	;; [unrolled: 1-line block ×4, first 2 shown]
	s_waitcnt lgkmcnt(0)
	v_bfe_u32 v37, v90, 4, 4
	v_cvt_f32_i32_e32 v71, v106
	v_mad_u64_u32 v[106:107], s[16:17], v12, v72, v[61:62]
	v_mul_lo_u32 v61, v37, s9
	v_fma_mix_f32 v11, v0, v71, -v11 op_sel_hi:[1,0,0]
	v_cvt_f32_i32_e32 v12, v118
	v_fmac_f32_e32 v73, v13, v11
	v_dot4_i32_i8 v6, v61, v6, 0
	v_dot4_i32_i8 v6, v61, v7, v6
	;; [unrolled: 1-line block ×4, first 2 shown]
	v_and_b32_e32 v6, 15, v90
	v_and_b32_sdwa v8, v90, v115 dst_sel:DWORD dst_unused:UNUSED_PAD src0_sel:BYTE_1 src1_sel:DWORD
	v_and_b32_e32 v37, 0xffff, v8
	v_and_b32_e32 v71, 0xffff, v6
	v_lshrrev_b32_sdwa v8, v110, v90 dst_sel:DWORD dst_unused:UNUSED_PAD src0_sel:DWORD src1_sel:BYTE_1
	v_mul_lo_u32 v6, v71, v63
	v_mul_lo_u32 v63, v8, s9
	v_cvt_f32_i32_e32 v11, v106
	v_mul_f32_e32 v12, v119, v12
	v_dot4_i32_i8 v2, v63, v2, v7
	v_dot4_i32_i8 v2, v63, v3, v2
	;; [unrolled: 1-line block ×4, first 2 shown]
	v_mad_u64_u32 v[2:3], s[16:17], v37, v123, v[6:7]
	v_fma_mix_f32 v11, v0, v11, -v12 op_sel_hi:[1,0,0]
	v_fmac_f32_e32 v42, v14, v11
	v_cvt_f32_i32_e32 v5, v2
	v_dot4_i32_i8 v2, v61, v93, 0
	v_dot4_i32_i8 v2, v61, v94, v2
	;; [unrolled: 1-line block ×13, first 2 shown]
	v_mul_lo_u32 v2, v11, v71
	v_dot4_i32_i8 v12, v126, v103, v12
	v_cvt_f32_i32_e32 v4, v4
	v_cvt_f32_f16_sdwa v123, v122 dst_sel:DWORD dst_unused:UNUSED_PAD src0_sel:WORD_1
	v_dot4_i32_i8 v12, v125, v104, v12
	v_dot4_i32_i8 v12, v124, v105, v12
                                        ; kill: def $vgpr3 killed $sgpr0 killed $exec
	v_mad_u64_u32 v[2:3], s[16:17], v12, v37, v[2:3]
	v_mul_f32_e32 v3, v123, v4
	v_fma_mix_f32 v3, v122, v5, -v3 op_sel_hi:[1,0,0]
	v_fmac_f32_e32 v67, v13, v3
	v_cvt_f32_i32_e32 v3, v6
	v_cvt_f32_i32_e32 v2, v2
	v_mul_f32_e32 v3, v123, v3
	v_fma_mix_f32 v2, v122, v2, -v3 op_sel_hi:[1,0,0]
	v_fmac_f32_e32 v41, v14, v2
	ds_read2_b32 v[13:14], v121 offset0:64 offset1:96
	ds_read_b128 v[6:9], v120 offset:2048
	ds_read_b128 v[2:5], v120 offset:2064
	s_waitcnt lgkmcnt(1)
	v_dot4_i32_i8 v11, v50, v6, 0
	v_dot4_i32_i8 v11, v100, v7, v11
	;; [unrolled: 1-line block ×6, first 2 shown]
	v_mul_lo_u32 v93, v11, v81
	s_waitcnt lgkmcnt(0)
	v_dot4_i32_i8 v11, v49, v2, 0
	v_dot4_i32_i8 v12, v78, v8, v12
	;; [unrolled: 1-line block ×8, first 2 shown]
	v_mad_u64_u32 v[93:94], s[16:17], v11, v77, v[93:94]
	v_dot4_i32_i8 v12, v80, v4, v12
	v_dot4_i32_i8 v12, v80, v5, v12
	v_cvt_f32_i32_e32 v12, v12
	v_cvt_f32_i32_e32 v11, v93
	v_mul_f32_e32 v12, v82, v12
	v_fma_mix_f32 v11, v99, v11, -v12 op_sel_hi:[1,0,0]
	v_fmac_f32_e32 v40, v13, v11
	v_dot4_i32_i8 v11, v51, v6, 0
	v_dot4_i32_i8 v11, v52, v7, v11
	;; [unrolled: 1-line block ×6, first 2 shown]
	v_mul_lo_u32 v93, v11, v86
	v_dot4_i32_i8 v11, v57, v2, 0
	v_dot4_i32_i8 v12, v84, v8, v12
	;; [unrolled: 1-line block ×8, first 2 shown]
	v_mad_u64_u32 v[93:94], s[16:17], v11, v83, v[93:94]
	v_dot4_i32_i8 v12, v85, v4, v12
	v_dot4_i32_i8 v12, v85, v5, v12
	v_cvt_f32_i32_e32 v12, v12
	v_cvt_f32_i32_e32 v11, v93
	v_mul_f32_e32 v12, v101, v12
	v_fma_mix_f32 v11, v53, v11, -v12 op_sel_hi:[1,0,0]
	v_fmac_f32_e32 v38, v13, v11
	v_dot4_i32_i8 v11, v10, v6, 0
	v_dot4_i32_i8 v11, v74, v7, v11
	;; [unrolled: 1-line block ×6, first 2 shown]
	v_mul_lo_u32 v93, v11, v1
	v_dot4_i32_i8 v11, v65, v2, 0
	v_dot4_i32_i8 v12, v75, v8, v12
	;; [unrolled: 1-line block ×8, first 2 shown]
	v_mad_u64_u32 v[93:94], s[16:17], v11, v72, v[93:94]
	v_dot4_i32_i8 v12, v92, v4, v12
	v_dot4_i32_i8 v12, v92, v5, v12
	v_cvt_f32_i32_e32 v12, v12
	v_cvt_f32_i32_e32 v11, v93
	v_mul_f32_e32 v12, v119, v12
	v_fma_mix_f32 v11, v0, v11, -v12 op_sel_hi:[1,0,0]
	v_fmac_f32_e32 v36, v13, v11
	v_dot4_i32_i8 v11, v79, v6, 0
	v_dot4_i32_i8 v6, v61, v6, 0
	v_dot4_i32_i8 v11, v89, v7, v11
	v_dot4_i32_i8 v6, v61, v7, v6
	v_dot4_i32_i8 v7, v88, v8, v11
	v_dot4_i32_i8 v6, v61, v8, v6
	v_dot4_i32_i8 v7, v66, v9, v7
	v_dot4_i32_i8 v8, v61, v9, v6
	v_mul_lo_u32 v6, v7, v71
	v_dot4_i32_i8 v7, v127, v2, 0
	v_dot4_i32_i8 v2, v63, v2, v8
	;; [unrolled: 1-line block ×8, first 2 shown]
	v_mad_u64_u32 v[2:3], s[16:17], v3, v37, v[6:7]
	v_cvt_f32_i32_e32 v3, v4
	v_cvt_f32_i32_e32 v2, v2
	v_mul_f32_e32 v3, v123, v3
	v_fma_mix_f32 v2, v122, v2, -v3 op_sel_hi:[1,0,0]
	v_fmac_f32_e32 v35, v13, v2
	ds_read_b128 v[6:9], v120 offset:3072
	ds_read_b128 v[2:5], v120 offset:3088
	s_waitcnt lgkmcnt(1)
	v_dot4_i32_i8 v11, v50, v6, 0
	v_dot4_i32_i8 v11, v100, v7, v11
	;; [unrolled: 1-line block ×6, first 2 shown]
	v_mul_lo_u32 v13, v11, v81
	s_waitcnt lgkmcnt(0)
	v_dot4_i32_i8 v11, v49, v2, 0
	v_dot4_i32_i8 v12, v78, v8, v12
	;; [unrolled: 1-line block ×8, first 2 shown]
	v_mad_u64_u32 v[93:94], s[16:17], v11, v77, v[13:14]
	v_dot4_i32_i8 v12, v80, v4, v12
	v_dot4_i32_i8 v12, v80, v5, v12
	v_cvt_f32_i32_e32 v12, v12
	v_cvt_f32_i32_e32 v11, v93
	v_mul_f32_e32 v12, v82, v12
	v_fma_mix_f32 v11, v99, v11, -v12 op_sel_hi:[1,0,0]
	v_fmac_f32_e32 v34, v14, v11
	v_dot4_i32_i8 v11, v51, v6, 0
	v_dot4_i32_i8 v11, v52, v7, v11
	;; [unrolled: 1-line block ×6, first 2 shown]
	v_mul_lo_u32 v13, v11, v86
	v_dot4_i32_i8 v11, v57, v2, 0
	v_dot4_i32_i8 v12, v84, v8, v12
	;; [unrolled: 1-line block ×8, first 2 shown]
	v_mad_u64_u32 v[93:94], s[16:17], v11, v83, v[13:14]
	v_dot4_i32_i8 v12, v85, v4, v12
	v_dot4_i32_i8 v12, v85, v5, v12
	v_cvt_f32_i32_e32 v12, v12
	v_cvt_f32_i32_e32 v11, v93
	v_mul_f32_e32 v12, v101, v12
	v_fma_mix_f32 v11, v53, v11, -v12 op_sel_hi:[1,0,0]
	v_fmac_f32_e32 v33, v14, v11
	v_dot4_i32_i8 v11, v10, v6, 0
	v_dot4_i32_i8 v11, v74, v7, v11
	;; [unrolled: 1-line block ×6, first 2 shown]
	v_mul_lo_u32 v13, v11, v1
	v_dot4_i32_i8 v11, v65, v2, 0
	v_dot4_i32_i8 v12, v75, v8, v12
	;; [unrolled: 1-line block ×8, first 2 shown]
	v_mad_u64_u32 v[93:94], s[16:17], v11, v72, v[13:14]
	v_dot4_i32_i8 v12, v92, v4, v12
	v_dot4_i32_i8 v12, v92, v5, v12
	v_cvt_f32_i32_e32 v12, v12
	v_cvt_f32_i32_e32 v11, v93
	v_mul_f32_e32 v12, v119, v12
	v_fma_mix_f32 v11, v0, v11, -v12 op_sel_hi:[1,0,0]
	v_fmac_f32_e32 v32, v14, v11
	v_dot4_i32_i8 v11, v79, v6, 0
	v_dot4_i32_i8 v6, v61, v6, 0
	;; [unrolled: 1-line block ×8, first 2 shown]
	v_mul_lo_u32 v6, v7, v71
	v_dot4_i32_i8 v7, v127, v2, 0
	v_dot4_i32_i8 v2, v63, v2, v8
	;; [unrolled: 1-line block ×8, first 2 shown]
	v_mad_u64_u32 v[2:3], s[16:17], v3, v37, v[6:7]
	v_cvt_f32_i32_e32 v3, v4
	v_cvt_f32_i32_e32 v2, v2
	v_mul_f32_e32 v3, v123, v3
	v_fma_mix_f32 v2, v122, v2, -v3 op_sel_hi:[1,0,0]
	v_fmac_f32_e32 v31, v14, v2
	ds_read2_b32 v[13:14], v121 offset0:128 offset1:160
	ds_read_b128 v[6:9], v120 offset:4096
	ds_read_b128 v[2:5], v120 offset:4112
	s_waitcnt lgkmcnt(1)
	v_dot4_i32_i8 v11, v50, v6, 0
	v_dot4_i32_i8 v11, v100, v7, v11
	;; [unrolled: 1-line block ×6, first 2 shown]
	v_mul_lo_u32 v93, v11, v81
	s_waitcnt lgkmcnt(0)
	v_dot4_i32_i8 v11, v49, v2, 0
	v_dot4_i32_i8 v12, v78, v8, v12
	;; [unrolled: 1-line block ×8, first 2 shown]
	v_mad_u64_u32 v[93:94], s[16:17], v11, v77, v[93:94]
	v_dot4_i32_i8 v12, v80, v4, v12
	v_dot4_i32_i8 v12, v80, v5, v12
	v_cvt_f32_i32_e32 v12, v12
	v_cvt_f32_i32_e32 v11, v93
	v_mul_f32_e32 v12, v82, v12
	v_fma_mix_f32 v11, v99, v11, -v12 op_sel_hi:[1,0,0]
	v_fmac_f32_e32 v30, v13, v11
	v_dot4_i32_i8 v11, v51, v6, 0
	v_dot4_i32_i8 v11, v52, v7, v11
	;; [unrolled: 1-line block ×6, first 2 shown]
	v_mul_lo_u32 v93, v11, v86
	v_dot4_i32_i8 v11, v57, v2, 0
	v_dot4_i32_i8 v12, v84, v8, v12
	;; [unrolled: 1-line block ×8, first 2 shown]
	v_mad_u64_u32 v[93:94], s[16:17], v11, v83, v[93:94]
	v_dot4_i32_i8 v12, v85, v4, v12
	v_dot4_i32_i8 v12, v85, v5, v12
	v_cvt_f32_i32_e32 v12, v12
	v_cvt_f32_i32_e32 v11, v93
	v_mul_f32_e32 v12, v101, v12
	v_fma_mix_f32 v11, v53, v11, -v12 op_sel_hi:[1,0,0]
	v_fmac_f32_e32 v29, v13, v11
	v_dot4_i32_i8 v11, v10, v6, 0
	v_dot4_i32_i8 v11, v74, v7, v11
	;; [unrolled: 1-line block ×6, first 2 shown]
	v_mul_lo_u32 v93, v11, v1
	v_dot4_i32_i8 v11, v65, v2, 0
	v_dot4_i32_i8 v12, v75, v8, v12
	;; [unrolled: 1-line block ×8, first 2 shown]
	v_mad_u64_u32 v[93:94], s[16:17], v11, v72, v[93:94]
	v_dot4_i32_i8 v12, v92, v4, v12
	v_dot4_i32_i8 v12, v92, v5, v12
	v_cvt_f32_i32_e32 v12, v12
	v_cvt_f32_i32_e32 v11, v93
	v_mul_f32_e32 v12, v119, v12
	v_fma_mix_f32 v11, v0, v11, -v12 op_sel_hi:[1,0,0]
	v_fmac_f32_e32 v28, v13, v11
	v_dot4_i32_i8 v11, v79, v6, 0
	v_dot4_i32_i8 v6, v61, v6, 0
	;; [unrolled: 1-line block ×8, first 2 shown]
	v_mul_lo_u32 v6, v7, v71
	v_dot4_i32_i8 v7, v127, v2, 0
	v_dot4_i32_i8 v2, v63, v2, v8
	;; [unrolled: 1-line block ×8, first 2 shown]
	v_mad_u64_u32 v[2:3], s[16:17], v3, v37, v[6:7]
	v_cvt_f32_i32_e32 v3, v4
	v_cvt_f32_i32_e32 v2, v2
	v_mul_f32_e32 v3, v123, v3
	v_fma_mix_f32 v2, v122, v2, -v3 op_sel_hi:[1,0,0]
	v_fmac_f32_e32 v27, v13, v2
	ds_read_b128 v[6:9], v120 offset:5120
	ds_read_b128 v[2:5], v120 offset:5136
	s_waitcnt lgkmcnt(1)
	v_dot4_i32_i8 v11, v50, v6, 0
	v_dot4_i32_i8 v11, v100, v7, v11
	;; [unrolled: 1-line block ×6, first 2 shown]
	v_mul_lo_u32 v13, v11, v81
	s_waitcnt lgkmcnt(0)
	v_dot4_i32_i8 v11, v49, v2, 0
	v_dot4_i32_i8 v12, v78, v8, v12
	;; [unrolled: 1-line block ×8, first 2 shown]
	v_mad_u64_u32 v[93:94], s[16:17], v11, v77, v[13:14]
	v_dot4_i32_i8 v12, v80, v4, v12
	v_dot4_i32_i8 v12, v80, v5, v12
	v_cvt_f32_i32_e32 v12, v12
	v_cvt_f32_i32_e32 v11, v93
	v_mul_f32_e32 v12, v82, v12
	v_fma_mix_f32 v11, v99, v11, -v12 op_sel_hi:[1,0,0]
	v_fmac_f32_e32 v26, v14, v11
	v_dot4_i32_i8 v11, v51, v6, 0
	v_dot4_i32_i8 v11, v52, v7, v11
	;; [unrolled: 1-line block ×6, first 2 shown]
	v_mul_lo_u32 v13, v11, v86
	v_dot4_i32_i8 v11, v57, v2, 0
	v_dot4_i32_i8 v12, v84, v8, v12
	;; [unrolled: 1-line block ×8, first 2 shown]
	v_mad_u64_u32 v[93:94], s[16:17], v11, v83, v[13:14]
	v_dot4_i32_i8 v12, v85, v4, v12
	v_dot4_i32_i8 v12, v85, v5, v12
	v_cvt_f32_i32_e32 v12, v12
	v_cvt_f32_i32_e32 v11, v93
	v_mul_f32_e32 v12, v101, v12
	v_fma_mix_f32 v11, v53, v11, -v12 op_sel_hi:[1,0,0]
	v_fmac_f32_e32 v25, v14, v11
	v_dot4_i32_i8 v11, v10, v6, 0
	v_dot4_i32_i8 v11, v74, v7, v11
	;; [unrolled: 1-line block ×6, first 2 shown]
	v_mul_lo_u32 v13, v11, v1
	v_dot4_i32_i8 v11, v65, v2, 0
	v_dot4_i32_i8 v12, v75, v8, v12
	;; [unrolled: 1-line block ×8, first 2 shown]
	v_mad_u64_u32 v[93:94], s[16:17], v11, v72, v[13:14]
	v_dot4_i32_i8 v12, v92, v4, v12
	v_dot4_i32_i8 v12, v92, v5, v12
	v_cvt_f32_i32_e32 v12, v12
	v_cvt_f32_i32_e32 v11, v93
	v_mul_f32_e32 v12, v119, v12
	v_fma_mix_f32 v11, v0, v11, -v12 op_sel_hi:[1,0,0]
	v_fmac_f32_e32 v24, v14, v11
	v_dot4_i32_i8 v11, v79, v6, 0
	v_dot4_i32_i8 v6, v61, v6, 0
	;; [unrolled: 1-line block ×8, first 2 shown]
	v_mul_lo_u32 v6, v7, v71
	v_dot4_i32_i8 v7, v127, v2, 0
	v_dot4_i32_i8 v2, v63, v2, v8
	;; [unrolled: 1-line block ×8, first 2 shown]
	v_mad_u64_u32 v[2:3], s[16:17], v3, v37, v[6:7]
	v_cvt_f32_i32_e32 v3, v4
	v_cvt_f32_i32_e32 v2, v2
	v_mul_f32_e32 v3, v123, v3
	v_fma_mix_f32 v2, v122, v2, -v3 op_sel_hi:[1,0,0]
	v_fmac_f32_e32 v23, v14, v2
	ds_read2_b32 v[13:14], v121 offset0:192 offset1:224
	ds_read_b128 v[6:9], v120 offset:6144
	ds_read_b128 v[2:5], v120 offset:6160
	v_add_u32_e32 v121, 4, v121
	s_waitcnt lgkmcnt(1)
	v_dot4_i32_i8 v11, v50, v6, 0
	v_dot4_i32_i8 v11, v100, v7, v11
	;; [unrolled: 1-line block ×6, first 2 shown]
	v_mul_lo_u32 v93, v11, v81
	s_waitcnt lgkmcnt(0)
	v_dot4_i32_i8 v11, v49, v2, 0
	v_dot4_i32_i8 v12, v78, v8, v12
	;; [unrolled: 1-line block ×8, first 2 shown]
	v_mad_u64_u32 v[93:94], s[16:17], v11, v77, v[93:94]
	v_dot4_i32_i8 v12, v80, v4, v12
	v_dot4_i32_i8 v12, v80, v5, v12
	v_cvt_f32_i32_e32 v12, v12
	v_cvt_f32_i32_e32 v11, v93
	v_mul_f32_e32 v12, v82, v12
	v_fma_mix_f32 v11, v99, v11, -v12 op_sel_hi:[1,0,0]
	v_fmac_f32_e32 v22, v13, v11
	v_dot4_i32_i8 v11, v51, v6, 0
	v_dot4_i32_i8 v11, v52, v7, v11
	;; [unrolled: 1-line block ×6, first 2 shown]
	v_mul_lo_u32 v93, v11, v86
	v_dot4_i32_i8 v11, v57, v2, 0
	v_dot4_i32_i8 v12, v84, v8, v12
	;; [unrolled: 1-line block ×8, first 2 shown]
	v_mad_u64_u32 v[93:94], s[16:17], v11, v83, v[93:94]
	v_dot4_i32_i8 v12, v85, v4, v12
	v_dot4_i32_i8 v12, v85, v5, v12
	v_cvt_f32_i32_e32 v12, v12
	v_cvt_f32_i32_e32 v11, v93
	v_mul_f32_e32 v12, v101, v12
	v_fma_mix_f32 v11, v53, v11, -v12 op_sel_hi:[1,0,0]
	v_fmac_f32_e32 v21, v13, v11
	v_dot4_i32_i8 v11, v10, v6, 0
	v_dot4_i32_i8 v11, v74, v7, v11
	;; [unrolled: 1-line block ×6, first 2 shown]
	v_mul_lo_u32 v93, v11, v1
	v_dot4_i32_i8 v11, v65, v2, 0
	v_dot4_i32_i8 v12, v75, v8, v12
	;; [unrolled: 1-line block ×8, first 2 shown]
	v_mad_u64_u32 v[93:94], s[16:17], v11, v72, v[93:94]
	v_dot4_i32_i8 v12, v92, v4, v12
	v_dot4_i32_i8 v12, v92, v5, v12
	v_cvt_f32_i32_e32 v12, v12
	v_cvt_f32_i32_e32 v11, v93
	v_mov_b32_e32 v93, v117
	v_mul_f32_e32 v12, v119, v12
	v_fma_mix_f32 v11, v0, v11, -v12 op_sel_hi:[1,0,0]
	v_fmac_f32_e32 v20, v13, v11
	v_dot4_i32_i8 v11, v79, v6, 0
	v_dot4_i32_i8 v6, v61, v6, 0
	;; [unrolled: 1-line block ×8, first 2 shown]
	v_mul_lo_u32 v6, v7, v71
	v_dot4_i32_i8 v7, v127, v2, 0
	v_dot4_i32_i8 v2, v63, v2, v8
	;; [unrolled: 1-line block ×8, first 2 shown]
	v_mad_u64_u32 v[2:3], s[16:17], v3, v37, v[6:7]
	v_cvt_f32_i32_e32 v3, v4
	v_cvt_f32_i32_e32 v2, v2
	v_mul_f32_e32 v3, v123, v3
	v_fma_mix_f32 v2, v122, v2, -v3 op_sel_hi:[1,0,0]
	v_fmac_f32_e32 v19, v13, v2
	ds_read_b128 v[6:9], v120 offset:7168
	ds_read_b128 v[2:5], v120 offset:7184
	v_add_u32_e32 v120, 32, v120
	s_waitcnt lgkmcnt(1)
	v_dot4_i32_i8 v11, v50, v6, 0
	v_dot4_i32_i8 v11, v100, v7, v11
	;; [unrolled: 1-line block ×6, first 2 shown]
	v_mul_lo_u32 v13, v11, v81
	s_waitcnt lgkmcnt(0)
	v_dot4_i32_i8 v11, v49, v2, 0
	v_dot4_i32_i8 v12, v78, v8, v12
	;; [unrolled: 1-line block ×8, first 2 shown]
	v_mad_u64_u32 v[47:48], s[16:17], v11, v77, v[13:14]
	v_dot4_i32_i8 v12, v80, v4, v12
	v_dot4_i32_i8 v12, v80, v5, v12
	v_cvt_f32_i32_e32 v12, v12
	v_cvt_f32_i32_e32 v11, v47
	v_dot4_i32_i8 v10, v10, v6, 0
	v_dot4_i32_i8 v10, v74, v7, v10
	v_mul_f32_e32 v12, v82, v12
	v_fma_mix_f32 v11, v99, v11, -v12 op_sel_hi:[1,0,0]
	v_fmac_f32_e32 v18, v14, v11
	v_dot4_i32_i8 v11, v51, v6, 0
	v_dot4_i32_i8 v11, v52, v7, v11
	;; [unrolled: 1-line block ×6, first 2 shown]
	v_mul_lo_u32 v13, v11, v86
	v_dot4_i32_i8 v11, v57, v2, 0
	v_dot4_i32_i8 v12, v84, v8, v12
	;; [unrolled: 1-line block ×8, first 2 shown]
	v_mad_u64_u32 v[47:48], s[16:17], v11, v83, v[13:14]
	v_dot4_i32_i8 v12, v85, v4, v12
	v_dot4_i32_i8 v12, v85, v5, v12
	v_cvt_f32_i32_e32 v12, v12
	v_cvt_f32_i32_e32 v11, v47
	v_dot4_i32_i8 v10, v62, v8, v10
	v_dot4_i32_i8 v10, v64, v9, v10
	v_mul_f32_e32 v12, v101, v12
	v_fma_mix_f32 v11, v53, v11, -v12 op_sel_hi:[1,0,0]
	v_fmac_f32_e32 v17, v14, v11
	v_dot4_i32_i8 v11, v75, v6, 0
	v_dot4_i32_i8 v11, v75, v7, v11
	v_mul_lo_u32 v1, v10, v1
	v_dot4_i32_i8 v10, v65, v2, 0
	v_dot4_i32_i8 v11, v75, v8, v11
	;; [unrolled: 1-line block ×8, first 2 shown]
	v_mad_u64_u32 v[47:48], s[16:17], v10, v72, v[1:2]
	v_dot4_i32_i8 v11, v92, v4, v11
	v_dot4_i32_i8 v11, v92, v5, v11
	v_cvt_f32_i32_e32 v10, v11
	v_cvt_f32_i32_e32 v1, v47
	v_mov_b32_e32 v78, v112
	v_mov_b32_e32 v81, v108
	v_mul_f32_e32 v10, v119, v10
	v_fma_mix_f32 v0, v0, v1, -v10 op_sel_hi:[1,0,0]
	v_fmac_f32_e32 v16, v14, v0
	v_dot4_i32_i8 v0, v79, v6, 0
	v_dot4_i32_i8 v1, v61, v6, 0
	;; [unrolled: 1-line block ×12, first 2 shown]
	buffer_load_dword v63, off, s[20:23], 0 ; 4-byte Folded Reload
	v_mul_lo_u32 v6, v6, v71
	v_dot4_i32_i8 v1, v127, v2, 0
	v_dot4_i32_i8 v1, v126, v3, v1
	;; [unrolled: 1-line block ×4, first 2 shown]
	v_mad_u64_u32 v[1:2], s[16:17], v1, v37, v[6:7]
	v_cvt_f32_i32_e32 v0, v0
	s_add_i32 s16, s15, 2
	v_cvt_f32_i32_e32 v1, v1
	v_mov_b32_e32 v84, v113
	v_mul_f32_e32 v0, v123, v0
	v_mov_b32_e32 v86, v114
	v_fma_mix_f32 v0, v122, v1, -v0 op_sel_hi:[1,0,0]
	v_mov_b32_e32 v62, v46
	v_mov_b32_e32 v64, v111
	;; [unrolled: 1-line block ×5, first 2 shown]
	v_fmac_f32_e32 v15, v14, v0
	s_cmp_lt_u32 s15, 22
	s_mov_b32 s15, s16
	s_cbranch_scc1 .LBB167_13
; %bb.14:                               ;   in Loop: Header=BB167_7 Depth=1
	s_waitcnt vmcnt(0)
	s_barrier
	buffer_load_dword v0, off, s[20:23], 0 offset:248 ; 4-byte Folded Reload
	s_waitcnt vmcnt(0)
	v_add_u32_e32 v2, s14, v0
	buffer_load_dword v0, off, s[20:23], 0 offset:8 ; 4-byte Folded Reload
	buffer_load_dword v3, off, s[20:23], 0 offset:40 ; 4-byte Folded Reload
	;; [unrolled: 1-line block ×3, first 2 shown]
	s_waitcnt vmcnt(2)
	v_add_u32_e32 v0, v2, v0
	s_waitcnt vmcnt(0)
	v_mad_i64_i32 v[0:1], s[14:15], v0, 36, v[3:4]
	global_load_dword v0, v[0:1], off offset:4
	s_nop 0
	buffer_load_dword v1, off, s[20:23], 0 offset:88 ; 4-byte Folded Reload
	s_waitcnt vmcnt(0)
	ds_write_b32 v1, v0
	buffer_load_dword v0, off, s[20:23], 0 offset:12 ; 4-byte Folded Reload
	s_waitcnt vmcnt(0)
	v_add_u32_e32 v0, v2, v0
	v_mad_i64_i32 v[0:1], s[14:15], v0, 36, v[3:4]
	global_load_dword v0, v[0:1], off offset:4
	s_nop 0
	buffer_load_dword v1, off, s[20:23], 0 offset:56 ; 4-byte Folded Reload
	s_waitcnt vmcnt(0)
	ds_write_b32 v1, v0
	buffer_load_dword v0, off, s[20:23], 0 offset:16 ; 4-byte Folded Reload
	s_waitcnt vmcnt(0)
	v_add_u32_e32 v0, v2, v0
	;; [unrolled: 9-line block ×8, first 2 shown]
	v_mad_u64_u32 v[0:1], s[14:15], v0, 36, s[2:3]
	s_mov_b32 s14, 24
	global_load_dword v0, v[0:1], off
	s_nop 0
	buffer_load_dword v1, off, s[20:23], 0 offset:4 ; 4-byte Folded Reload
	s_waitcnt vmcnt(1)
	v_cvt_f32_f16_e32 v0, v0
	s_waitcnt vmcnt(0)
	ds_write_b32 v1, v0
	s_waitcnt lgkmcnt(0)
	s_barrier
	buffer_load_dword v118, off, s[20:23], 0 offset:52 ; 4-byte Folded Reload
	buffer_load_dword v119, off, s[20:23], 0 offset:48 ; 4-byte Folded Reload
.LBB167_15:                             ;   Parent Loop BB167_7 Depth=1
                                        ; =>  This Inner Loop Header: Depth=2
	s_and_b32 s16, s14, 0x3ffffff8
	v_lshl_add_u32 v11, s16, 2, v91
	s_waitcnt vmcnt(0)
	ds_read2_b32 v[13:14], v119 offset1:32
	ds_read_b128 v[6:9], v118
	ds_read_b128 v[2:5], v118 offset:16
	ds_read2_b32 v[0:1], v11 offset1:1
	s_sub_i32 s17, s14, 24
	s_lshr_b32 s16, s14, 2
	s_and_b32 s16, s16, 0x3ffffffc
	s_addk_i32 s16, 0x7280
	s_waitcnt lgkmcnt(0)
	v_ashrrev_i32_e32 v0, s17, v0
	v_and_b32_e32 v50, 0x3030303, v0
	v_ashrrev_i32_e32 v0, s17, v1
	v_and_b32_e32 v100, 0x3030303, v0
	ds_read2_b32 v[0:1], v11 offset0:2 offset1:3
	s_and_b32 s15, s14, -16
	s_add_i32 s15, s14, s15
	v_add_u32_e32 v83, s15, v62
	v_add_u32_e32 v77, s15, v12
	s_waitcnt lgkmcnt(0)
	v_ashrrev_i32_e32 v0, s17, v0
	v_and_b32_e32 v47, 0x3030303, v0
	v_ashrrev_i32_e32 v0, s17, v1
	v_and_b32_e32 v48, 0x3030303, v0
	ds_read2_b32 v[0:1], v11 offset0:4 offset1:5
	v_add_u32_e32 v37, s15, v81
	s_waitcnt lgkmcnt(0)
	v_ashrrev_i32_e32 v0, s17, v0
	v_and_b32_e32 v49, 0x3030303, v0
	v_ashrrev_i32_e32 v0, s17, v1
	v_and_b32_e32 v87, 0x3030303, v0
	ds_read2_b32 v[0:1], v11 offset0:6 offset1:7
	s_waitcnt lgkmcnt(0)
	v_ashrrev_i32_e32 v0, s17, v0
	v_and_b32_e32 v97, 0x3030303, v0
	v_ashrrev_i32_e32 v0, s17, v1
	v_and_b32_e32 v98, 0x3030303, v0
	v_add3_u32 v0, s16, v116, v10
	ds_read_b32 v99, v0
	v_dot4_i32_i8 v0, v50, v6, 0
	v_dot4_i32_i8 v0, v100, v7, v0
	;; [unrolled: 1-line block ×8, first 2 shown]
	v_add_u32_e32 v0, 0x1080, v11
	ds_read2_b32 v[0:1], v0 offset1:1
	s_waitcnt lgkmcnt(0)
	v_ashrrev_i32_e32 v0, s17, v0
	v_and_b32_e32 v51, 0x3030303, v0
	v_ashrrev_i32_e32 v0, s17, v1
	v_and_b32_e32 v52, 0x3030303, v0
	v_add_u32_e32 v0, 0x1088, v11
	ds_read2_b32 v[0:1], v0 offset1:1
	s_waitcnt lgkmcnt(0)
	v_ashrrev_i32_e32 v0, s17, v0
	v_and_b32_e32 v54, 0x3030303, v0
	v_ashrrev_i32_e32 v0, s17, v1
	v_and_b32_e32 v56, 0x3030303, v0
	;; [unrolled: 7-line block ×4, first 2 shown]
	v_add3_u32 v0, s16, v63, v64
	ds_read_b32 v53, v0
	v_dot4_i32_i8 v0, v51, v6, 0
	v_dot4_i32_i8 v0, v52, v7, v0
	;; [unrolled: 1-line block ×8, first 2 shown]
	v_add_u32_e32 v0, 0x2100, v11
	ds_read2_b32 v[0:1], v0 offset1:1
	s_waitcnt lgkmcnt(1)
	v_cvt_f32_f16_sdwa v101, v53 dst_sel:DWORD dst_unused:UNUSED_PAD src0_sel:WORD_1
	s_waitcnt lgkmcnt(0)
	v_ashrrev_i32_e32 v0, s17, v0
	v_and_b32_e32 v10, 0x3030303, v0
	v_ashrrev_i32_e32 v0, s17, v1
	v_and_b32_e32 v74, 0x3030303, v0
	v_add_u32_e32 v0, 0x2108, v11
	ds_read2_b32 v[0:1], v0 offset1:1
	v_dot4_i32_i8 v12, v10, v6, 0
	v_dot4_i32_i8 v12, v74, v7, v12
	s_waitcnt lgkmcnt(0)
	v_ashrrev_i32_e32 v0, s17, v0
	v_and_b32_e32 v62, 0x3030303, v0
	v_ashrrev_i32_e32 v0, s17, v1
	v_and_b32_e32 v64, 0x3030303, v0
	v_add_u32_e32 v0, 0x2110, v11
	ds_read2_b32 v[0:1], v0 offset1:1
	v_dot4_i32_i8 v12, v62, v8, v12
	v_dot4_i32_i8 v71, v64, v9, v12
	;; [unrolled: 9-line block ×3, first 2 shown]
	s_waitcnt lgkmcnt(0)
	v_ashrrev_i32_e32 v0, s17, v0
	v_and_b32_e32 v69, 0x3030303, v0
	v_ashrrev_i32_e32 v0, s17, v1
	v_and_b32_e32 v70, 0x3030303, v0
	v_dot4_i32_i8 v12, v69, v4, v12
	v_dot4_i32_i8 v61, v70, v5, v12
	v_add_u32_e32 v12, 0x3180, v11
	v_add3_u32 v0, s16, v78, v84
	ds_read2_b32 v[84:85], v12 offset1:1
	v_add_u32_e32 v1, s15, v66
	ds_read_b32 v0, v0
	s_add_i32 s15, s14, 2
	s_cmp_lt_u32 s14, 30
	s_waitcnt lgkmcnt(1)
	v_ashrrev_i32_e32 v12, s17, v84
	v_and_b32_e32 v79, 0x3030303, v12
	v_ashrrev_i32_e32 v12, s17, v85
	v_and_b32_e32 v89, 0x3030303, v12
	v_add_u32_e32 v12, 0x3188, v11
	ds_read2_b32 v[84:85], v12 offset1:1
	s_mov_b32 s14, s15
	s_waitcnt lgkmcnt(0)
	v_ashrrev_i32_e32 v12, s17, v84
	v_and_b32_e32 v88, 0x3030303, v12
	v_ashrrev_i32_e32 v12, s17, v85
	v_and_b32_e32 v66, 0x3030303, v12
	v_add_u32_e32 v12, 0x3190, v11
	ds_read2_b32 v[84:85], v12 offset1:1
	v_add_u32_e32 v11, 0x3198, v11
	s_waitcnt lgkmcnt(0)
	v_ashrrev_i32_e32 v12, s17, v84
	v_and_b32_e32 v125, 0x3030303, v12
	v_ashrrev_i32_e32 v12, s17, v85
	ds_read2_b32 v[84:85], v11 offset1:1
	v_and_b32_e32 v124, 0x3030303, v12
	v_cvt_f32_f16_sdwa v126, v0 dst_sel:DWORD dst_unused:UNUSED_PAD src0_sel:WORD_1
	s_waitcnt lgkmcnt(0)
	v_ashrrev_i32_e32 v11, s17, v84
	v_and_b32_e32 v123, 0x3030303, v11
	v_ashrrev_i32_e32 v11, s17, v85
	v_and_b32_e32 v122, 0x3030303, v11
	v_add3_u32 v11, s16, v86, v93
	ds_read_b32 v120, v11
	ds_read_b128 v[93:96], v118 offset:1024
	ds_read_b128 v[102:105], v118 offset:1040
	ds_read_u16 v85, v77 offset:25072
	v_dot4_i32_i8 v11, v79, v6, 0
	v_dot4_i32_i8 v11, v89, v7, v11
	;; [unrolled: 1-line block ×4, first 2 shown]
	s_waitcnt lgkmcnt(0)
	v_bfe_u32 v77, v85, 4, 4
	v_mul_lo_u32 v78, v77, s9
	v_and_b32_e32 v81, 15, v85
	v_and_b32_e32 v81, 0xffff, v81
	v_mul_lo_u32 v84, v81, v80
	v_lshrrev_b32_sdwa v80, v110, v85 dst_sel:DWORD dst_unused:UNUSED_PAD src0_sel:DWORD src1_sel:BYTE_1
	v_dot4_i32_i8 v77, v78, v6, 0
	v_mul_lo_u32 v80, v80, s9
	v_dot4_i32_i8 v77, v78, v7, v77
	v_dot4_i32_i8 v77, v78, v8, v77
	;; [unrolled: 1-line block ×3, first 2 shown]
	v_and_b32_sdwa v77, v85, v115 dst_sel:DWORD dst_unused:UNUSED_PAD src0_sel:BYTE_1 src1_sel:DWORD
	v_dot4_i32_i8 v85, v80, v2, v86
	v_dot4_i32_i8 v85, v80, v3, v85
	;; [unrolled: 1-line block ×3, first 2 shown]
	v_and_b32_e32 v77, 0xffff, v77
	v_dot4_i32_i8 v86, v80, v5, v85
                                        ; kill: def $vgpr85 killed $sgpr0 killed $exec
	v_dot4_i32_i8 v11, v125, v2, 0
	v_mad_u64_u32 v[84:85], s[16:17], v77, v82, v[84:85]
	v_dot4_i32_i8 v82, v78, v93, 0
	v_dot4_i32_i8 v11, v124, v3, v11
	;; [unrolled: 1-line block ×16, first 2 shown]
	v_mul_lo_u32 v82, v11, v81
	v_dot4_i32_i8 v12, v87, v103, v12
	v_dot4_i32_i8 v12, v97, v104, v12
	;; [unrolled: 1-line block ×3, first 2 shown]
	v_cvt_f32_i32_e32 v90, v84
	v_mad_u64_u32 v[84:85], s[16:17], v12, v77, v[82:83]
	v_cvt_f32_i32_e32 v86, v86
	v_cvt_f32_f16_sdwa v82, v99 dst_sel:DWORD dst_unused:UNUSED_PAD src0_sel:WORD_1
	ds_read_u16 v85, v83 offset:26096
	v_cvt_f32_i32_e32 v12, v92
	v_mul_f32_e32 v11, v82, v86
	v_fma_mix_f32 v11, v99, v90, -v11 op_sel_hi:[1,0,0]
	s_waitcnt lgkmcnt(0)
	v_bfe_u32 v83, v85, 4, 4
	v_fmac_f32_e32 v39, v13, v11
	v_cvt_f32_i32_e32 v11, v84
	v_mul_lo_u32 v84, v83, s9
	v_and_b32_e32 v86, 15, v85
	v_and_b32_e32 v86, 0xffff, v86
	v_mul_lo_u32 v75, v86, v75
	v_dot4_i32_i8 v83, v84, v6, 0
	v_dot4_i32_i8 v83, v84, v7, v83
	;; [unrolled: 1-line block ×4, first 2 shown]
	v_and_b32_sdwa v83, v85, v115 dst_sel:DWORD dst_unused:UNUSED_PAD src0_sel:BYTE_1 src1_sel:DWORD
	v_lshrrev_b32_sdwa v85, v110, v85 dst_sel:DWORD dst_unused:UNUSED_PAD src0_sel:DWORD src1_sel:BYTE_1
	v_mul_lo_u32 v85, v85, s9
	v_and_b32_e32 v83, 0xffff, v83
	v_mad_u64_u32 v[106:107], s[16:17], v83, v72, v[75:76]
	v_dot4_i32_i8 v90, v85, v2, v90
	v_dot4_i32_i8 v90, v85, v3, v90
	;; [unrolled: 1-line block ×3, first 2 shown]
	v_mul_f32_e32 v12, v82, v12
	v_dot4_i32_i8 v90, v85, v4, v90
	v_dot4_i32_i8 v72, v84, v94, v72
	v_fma_mix_f32 v11, v99, v11, -v12 op_sel_hi:[1,0,0]
	v_dot4_i32_i8 v90, v85, v5, v90
	v_dot4_i32_i8 v72, v84, v95, v72
	v_fmac_f32_e32 v55, v14, v11
	v_dot4_i32_i8 v11, v51, v93, 0
	v_cvt_f32_i32_e32 v90, v90
	v_dot4_i32_i8 v72, v84, v96, v72
	v_dot4_i32_i8 v11, v52, v94, v11
	;; [unrolled: 1-line block ×8, first 2 shown]
	v_mul_lo_u32 v72, v11, v86
	v_mul_f32_e32 v11, v101, v90
	ds_read_u16 v90, v1 offset:27120
	v_cvt_f32_i32_e32 v75, v106
	v_dot4_i32_i8 v12, v57, v102, 0
	v_dot4_i32_i8 v12, v58, v103, v12
	;; [unrolled: 1-line block ×3, first 2 shown]
	s_waitcnt lgkmcnt(0)
	v_bfe_u32 v1, v90, 4, 4
	v_fma_mix_f32 v11, v53, v75, -v11 op_sel_hi:[1,0,0]
	v_mul_lo_u32 v75, v1, s9
	v_dot4_i32_i8 v12, v60, v105, v12
	v_mad_u64_u32 v[106:107], s[16:17], v12, v83, v[72:73]
	v_dot4_i32_i8 v1, v75, v6, 0
	v_dot4_i32_i8 v1, v75, v7, v1
	;; [unrolled: 1-line block ×3, first 2 shown]
	v_fmac_f32_e32 v76, v13, v11
	v_cvt_f32_i32_e32 v11, v106
	v_dot4_i32_i8 v106, v75, v9, v1
	v_and_b32_e32 v1, 15, v90
	v_and_b32_sdwa v72, v90, v115 dst_sel:DWORD dst_unused:UNUSED_PAD src0_sel:BYTE_1 src1_sel:DWORD
	v_lshrrev_b32_sdwa v90, v110, v90 dst_sel:DWORD dst_unused:UNUSED_PAD src0_sel:DWORD src1_sel:BYTE_1
	v_cvt_f32_i32_e32 v12, v92
	v_and_b32_e32 v1, 0xffff, v1
	v_mul_lo_u32 v92, v90, s9
	v_mul_lo_u32 v71, v1, v71
	v_and_b32_e32 v72, 0xffff, v72
	v_mul_f32_e32 v12, v101, v12
	v_dot4_i32_i8 v90, v92, v2, v106
	v_dot4_i32_i8 v90, v92, v3, v90
	v_mad_u64_u32 v[106:107], s[16:17], v72, v61, v[71:72]
	v_dot4_i32_i8 v61, v75, v93, 0
	v_dot4_i32_i8 v90, v92, v4, v90
	;; [unrolled: 1-line block ×3, first 2 shown]
	v_fma_mix_f32 v11, v53, v11, -v12 op_sel_hi:[1,0,0]
	v_dot4_i32_i8 v90, v92, v5, v90
	v_dot4_i32_i8 v61, v75, v95, v61
	v_fmac_f32_e32 v45, v14, v11
	v_dot4_i32_i8 v11, v10, v93, 0
	v_cvt_f32_i32_e32 v90, v90
	v_dot4_i32_i8 v61, v75, v96, v61
	v_dot4_i32_i8 v11, v74, v94, v11
	;; [unrolled: 1-line block ×8, first 2 shown]
	v_mul_lo_u32 v61, v11, v1
	v_mul_f32_e32 v11, v126, v90
	ds_read_u16 v90, v37 offset:28144
	v_dot4_i32_i8 v12, v65, v102, 0
	v_dot4_i32_i8 v12, v68, v103, v12
	;; [unrolled: 1-line block ×4, first 2 shown]
	s_waitcnt lgkmcnt(0)
	v_bfe_u32 v37, v90, 4, 4
	v_cvt_f32_i32_e32 v71, v106
	v_mad_u64_u32 v[106:107], s[16:17], v12, v72, v[61:62]
	v_mul_lo_u32 v61, v37, s9
	v_fma_mix_f32 v11, v0, v71, -v11 op_sel_hi:[1,0,0]
	v_cvt_f32_i32_e32 v12, v127
	v_fmac_f32_e32 v73, v13, v11
	v_dot4_i32_i8 v6, v61, v6, 0
	v_dot4_i32_i8 v6, v61, v7, v6
	;; [unrolled: 1-line block ×4, first 2 shown]
	v_and_b32_e32 v6, 15, v90
	v_and_b32_sdwa v8, v90, v115 dst_sel:DWORD dst_unused:UNUSED_PAD src0_sel:BYTE_1 src1_sel:DWORD
	v_and_b32_e32 v37, 0xffff, v8
	v_and_b32_e32 v71, 0xffff, v6
	v_lshrrev_b32_sdwa v8, v110, v90 dst_sel:DWORD dst_unused:UNUSED_PAD src0_sel:DWORD src1_sel:BYTE_1
	v_mul_lo_u32 v6, v71, v63
	v_mul_lo_u32 v63, v8, s9
	v_cvt_f32_i32_e32 v11, v106
	v_mul_f32_e32 v12, v126, v12
	v_dot4_i32_i8 v2, v63, v2, v7
	v_dot4_i32_i8 v2, v63, v3, v2
	;; [unrolled: 1-line block ×4, first 2 shown]
	v_mad_u64_u32 v[2:3], s[16:17], v37, v121, v[6:7]
	v_fma_mix_f32 v11, v0, v11, -v12 op_sel_hi:[1,0,0]
	v_fmac_f32_e32 v42, v14, v11
	v_cvt_f32_i32_e32 v5, v2
	v_dot4_i32_i8 v2, v61, v93, 0
	v_dot4_i32_i8 v2, v61, v94, v2
	;; [unrolled: 1-line block ×13, first 2 shown]
	v_mul_lo_u32 v2, v11, v71
	v_dot4_i32_i8 v12, v124, v103, v12
	v_cvt_f32_i32_e32 v4, v4
	v_cvt_f32_f16_sdwa v121, v120 dst_sel:DWORD dst_unused:UNUSED_PAD src0_sel:WORD_1
	v_dot4_i32_i8 v12, v123, v104, v12
	v_dot4_i32_i8 v12, v122, v105, v12
                                        ; kill: def $vgpr3 killed $sgpr0 killed $exec
	v_mad_u64_u32 v[2:3], s[16:17], v12, v37, v[2:3]
	v_mul_f32_e32 v3, v121, v4
	v_fma_mix_f32 v3, v120, v5, -v3 op_sel_hi:[1,0,0]
	v_fmac_f32_e32 v67, v13, v3
	v_cvt_f32_i32_e32 v3, v6
	v_cvt_f32_i32_e32 v2, v2
	v_mul_f32_e32 v3, v121, v3
	v_fma_mix_f32 v2, v120, v2, -v3 op_sel_hi:[1,0,0]
	v_fmac_f32_e32 v41, v14, v2
	ds_read2_b32 v[13:14], v119 offset0:64 offset1:96
	ds_read_b128 v[6:9], v118 offset:2048
	ds_read_b128 v[2:5], v118 offset:2064
	s_waitcnt lgkmcnt(1)
	v_dot4_i32_i8 v11, v50, v6, 0
	v_dot4_i32_i8 v11, v100, v7, v11
	;; [unrolled: 1-line block ×6, first 2 shown]
	v_mul_lo_u32 v93, v11, v81
	s_waitcnt lgkmcnt(0)
	v_dot4_i32_i8 v11, v49, v2, 0
	v_dot4_i32_i8 v12, v78, v8, v12
	;; [unrolled: 1-line block ×8, first 2 shown]
	v_mad_u64_u32 v[93:94], s[16:17], v11, v77, v[93:94]
	v_dot4_i32_i8 v12, v80, v4, v12
	v_dot4_i32_i8 v12, v80, v5, v12
	v_cvt_f32_i32_e32 v12, v12
	v_cvt_f32_i32_e32 v11, v93
	v_mul_f32_e32 v12, v82, v12
	v_fma_mix_f32 v11, v99, v11, -v12 op_sel_hi:[1,0,0]
	v_fmac_f32_e32 v40, v13, v11
	v_dot4_i32_i8 v11, v51, v6, 0
	v_dot4_i32_i8 v11, v52, v7, v11
	;; [unrolled: 1-line block ×6, first 2 shown]
	v_mul_lo_u32 v93, v11, v86
	v_dot4_i32_i8 v11, v57, v2, 0
	v_dot4_i32_i8 v12, v84, v8, v12
	;; [unrolled: 1-line block ×8, first 2 shown]
	v_mad_u64_u32 v[93:94], s[16:17], v11, v83, v[93:94]
	v_dot4_i32_i8 v12, v85, v4, v12
	v_dot4_i32_i8 v12, v85, v5, v12
	v_cvt_f32_i32_e32 v12, v12
	v_cvt_f32_i32_e32 v11, v93
	v_mul_f32_e32 v12, v101, v12
	v_fma_mix_f32 v11, v53, v11, -v12 op_sel_hi:[1,0,0]
	v_fmac_f32_e32 v38, v13, v11
	v_dot4_i32_i8 v11, v10, v6, 0
	v_dot4_i32_i8 v11, v74, v7, v11
	;; [unrolled: 1-line block ×6, first 2 shown]
	v_mul_lo_u32 v93, v11, v1
	v_dot4_i32_i8 v11, v65, v2, 0
	v_dot4_i32_i8 v12, v75, v8, v12
	;; [unrolled: 1-line block ×8, first 2 shown]
	v_mad_u64_u32 v[93:94], s[16:17], v11, v72, v[93:94]
	v_dot4_i32_i8 v12, v92, v4, v12
	v_dot4_i32_i8 v12, v92, v5, v12
	v_cvt_f32_i32_e32 v12, v12
	v_cvt_f32_i32_e32 v11, v93
	v_mul_f32_e32 v12, v126, v12
	v_fma_mix_f32 v11, v0, v11, -v12 op_sel_hi:[1,0,0]
	v_fmac_f32_e32 v36, v13, v11
	v_dot4_i32_i8 v11, v79, v6, 0
	v_dot4_i32_i8 v6, v61, v6, 0
	v_dot4_i32_i8 v11, v89, v7, v11
	v_dot4_i32_i8 v6, v61, v7, v6
	v_dot4_i32_i8 v7, v88, v8, v11
	v_dot4_i32_i8 v6, v61, v8, v6
	v_dot4_i32_i8 v7, v66, v9, v7
	v_dot4_i32_i8 v8, v61, v9, v6
	v_mul_lo_u32 v6, v7, v71
	v_dot4_i32_i8 v7, v125, v2, 0
	v_dot4_i32_i8 v2, v63, v2, v8
	;; [unrolled: 1-line block ×8, first 2 shown]
	v_mad_u64_u32 v[2:3], s[16:17], v3, v37, v[6:7]
	v_cvt_f32_i32_e32 v3, v4
	v_cvt_f32_i32_e32 v2, v2
	v_mul_f32_e32 v3, v121, v3
	v_fma_mix_f32 v2, v120, v2, -v3 op_sel_hi:[1,0,0]
	v_fmac_f32_e32 v35, v13, v2
	ds_read_b128 v[6:9], v118 offset:3072
	ds_read_b128 v[2:5], v118 offset:3088
	s_waitcnt lgkmcnt(1)
	v_dot4_i32_i8 v11, v50, v6, 0
	v_dot4_i32_i8 v11, v100, v7, v11
	;; [unrolled: 1-line block ×6, first 2 shown]
	v_mul_lo_u32 v13, v11, v81
	s_waitcnt lgkmcnt(0)
	v_dot4_i32_i8 v11, v49, v2, 0
	v_dot4_i32_i8 v12, v78, v8, v12
	;; [unrolled: 1-line block ×8, first 2 shown]
	v_mad_u64_u32 v[93:94], s[16:17], v11, v77, v[13:14]
	v_dot4_i32_i8 v12, v80, v4, v12
	v_dot4_i32_i8 v12, v80, v5, v12
	v_cvt_f32_i32_e32 v12, v12
	v_cvt_f32_i32_e32 v11, v93
	v_mul_f32_e32 v12, v82, v12
	v_fma_mix_f32 v11, v99, v11, -v12 op_sel_hi:[1,0,0]
	v_fmac_f32_e32 v34, v14, v11
	v_dot4_i32_i8 v11, v51, v6, 0
	v_dot4_i32_i8 v11, v52, v7, v11
	;; [unrolled: 1-line block ×6, first 2 shown]
	v_mul_lo_u32 v13, v11, v86
	v_dot4_i32_i8 v11, v57, v2, 0
	v_dot4_i32_i8 v12, v84, v8, v12
	;; [unrolled: 1-line block ×8, first 2 shown]
	v_mad_u64_u32 v[93:94], s[16:17], v11, v83, v[13:14]
	v_dot4_i32_i8 v12, v85, v4, v12
	v_dot4_i32_i8 v12, v85, v5, v12
	v_cvt_f32_i32_e32 v12, v12
	v_cvt_f32_i32_e32 v11, v93
	v_mul_f32_e32 v12, v101, v12
	v_fma_mix_f32 v11, v53, v11, -v12 op_sel_hi:[1,0,0]
	v_fmac_f32_e32 v33, v14, v11
	v_dot4_i32_i8 v11, v10, v6, 0
	v_dot4_i32_i8 v11, v74, v7, v11
	;; [unrolled: 1-line block ×6, first 2 shown]
	v_mul_lo_u32 v13, v11, v1
	v_dot4_i32_i8 v11, v65, v2, 0
	v_dot4_i32_i8 v12, v75, v8, v12
	;; [unrolled: 1-line block ×8, first 2 shown]
	v_mad_u64_u32 v[93:94], s[16:17], v11, v72, v[13:14]
	v_dot4_i32_i8 v12, v92, v4, v12
	v_dot4_i32_i8 v12, v92, v5, v12
	v_cvt_f32_i32_e32 v12, v12
	v_cvt_f32_i32_e32 v11, v93
	v_mul_f32_e32 v12, v126, v12
	v_fma_mix_f32 v11, v0, v11, -v12 op_sel_hi:[1,0,0]
	v_fmac_f32_e32 v32, v14, v11
	v_dot4_i32_i8 v11, v79, v6, 0
	v_dot4_i32_i8 v6, v61, v6, 0
	;; [unrolled: 1-line block ×8, first 2 shown]
	v_mul_lo_u32 v6, v7, v71
	v_dot4_i32_i8 v7, v125, v2, 0
	v_dot4_i32_i8 v2, v63, v2, v8
	;; [unrolled: 1-line block ×8, first 2 shown]
	v_mad_u64_u32 v[2:3], s[16:17], v3, v37, v[6:7]
	v_cvt_f32_i32_e32 v3, v4
	v_cvt_f32_i32_e32 v2, v2
	v_mul_f32_e32 v3, v121, v3
	v_fma_mix_f32 v2, v120, v2, -v3 op_sel_hi:[1,0,0]
	v_fmac_f32_e32 v31, v14, v2
	ds_read2_b32 v[13:14], v119 offset0:128 offset1:160
	ds_read_b128 v[6:9], v118 offset:4096
	ds_read_b128 v[2:5], v118 offset:4112
	s_waitcnt lgkmcnt(1)
	v_dot4_i32_i8 v11, v50, v6, 0
	v_dot4_i32_i8 v11, v100, v7, v11
	;; [unrolled: 1-line block ×6, first 2 shown]
	v_mul_lo_u32 v93, v11, v81
	s_waitcnt lgkmcnt(0)
	v_dot4_i32_i8 v11, v49, v2, 0
	v_dot4_i32_i8 v12, v78, v8, v12
	;; [unrolled: 1-line block ×8, first 2 shown]
	v_mad_u64_u32 v[93:94], s[16:17], v11, v77, v[93:94]
	v_dot4_i32_i8 v12, v80, v4, v12
	v_dot4_i32_i8 v12, v80, v5, v12
	v_cvt_f32_i32_e32 v12, v12
	v_cvt_f32_i32_e32 v11, v93
	v_mul_f32_e32 v12, v82, v12
	v_fma_mix_f32 v11, v99, v11, -v12 op_sel_hi:[1,0,0]
	v_fmac_f32_e32 v30, v13, v11
	v_dot4_i32_i8 v11, v51, v6, 0
	v_dot4_i32_i8 v11, v52, v7, v11
	;; [unrolled: 1-line block ×6, first 2 shown]
	v_mul_lo_u32 v93, v11, v86
	v_dot4_i32_i8 v11, v57, v2, 0
	v_dot4_i32_i8 v12, v84, v8, v12
	;; [unrolled: 1-line block ×8, first 2 shown]
	v_mad_u64_u32 v[93:94], s[16:17], v11, v83, v[93:94]
	v_dot4_i32_i8 v12, v85, v4, v12
	v_dot4_i32_i8 v12, v85, v5, v12
	v_cvt_f32_i32_e32 v12, v12
	v_cvt_f32_i32_e32 v11, v93
	v_mul_f32_e32 v12, v101, v12
	v_fma_mix_f32 v11, v53, v11, -v12 op_sel_hi:[1,0,0]
	v_fmac_f32_e32 v29, v13, v11
	v_dot4_i32_i8 v11, v10, v6, 0
	v_dot4_i32_i8 v11, v74, v7, v11
	;; [unrolled: 1-line block ×6, first 2 shown]
	v_mul_lo_u32 v93, v11, v1
	v_dot4_i32_i8 v11, v65, v2, 0
	v_dot4_i32_i8 v12, v75, v8, v12
	;; [unrolled: 1-line block ×8, first 2 shown]
	v_mad_u64_u32 v[93:94], s[16:17], v11, v72, v[93:94]
	v_dot4_i32_i8 v12, v92, v4, v12
	v_dot4_i32_i8 v12, v92, v5, v12
	v_cvt_f32_i32_e32 v12, v12
	v_cvt_f32_i32_e32 v11, v93
	v_mul_f32_e32 v12, v126, v12
	v_fma_mix_f32 v11, v0, v11, -v12 op_sel_hi:[1,0,0]
	v_fmac_f32_e32 v28, v13, v11
	v_dot4_i32_i8 v11, v79, v6, 0
	v_dot4_i32_i8 v6, v61, v6, 0
	;; [unrolled: 1-line block ×8, first 2 shown]
	v_mul_lo_u32 v6, v7, v71
	v_dot4_i32_i8 v7, v125, v2, 0
	v_dot4_i32_i8 v2, v63, v2, v8
	;; [unrolled: 1-line block ×8, first 2 shown]
	v_mad_u64_u32 v[2:3], s[16:17], v3, v37, v[6:7]
	v_cvt_f32_i32_e32 v3, v4
	v_cvt_f32_i32_e32 v2, v2
	v_mul_f32_e32 v3, v121, v3
	v_fma_mix_f32 v2, v120, v2, -v3 op_sel_hi:[1,0,0]
	v_fmac_f32_e32 v27, v13, v2
	ds_read_b128 v[6:9], v118 offset:5120
	ds_read_b128 v[2:5], v118 offset:5136
	s_waitcnt lgkmcnt(1)
	v_dot4_i32_i8 v11, v50, v6, 0
	v_dot4_i32_i8 v11, v100, v7, v11
	;; [unrolled: 1-line block ×6, first 2 shown]
	v_mul_lo_u32 v13, v11, v81
	s_waitcnt lgkmcnt(0)
	v_dot4_i32_i8 v11, v49, v2, 0
	v_dot4_i32_i8 v12, v78, v8, v12
	;; [unrolled: 1-line block ×8, first 2 shown]
	v_mad_u64_u32 v[93:94], s[16:17], v11, v77, v[13:14]
	v_dot4_i32_i8 v12, v80, v4, v12
	v_dot4_i32_i8 v12, v80, v5, v12
	v_cvt_f32_i32_e32 v12, v12
	v_cvt_f32_i32_e32 v11, v93
	v_mul_f32_e32 v12, v82, v12
	v_fma_mix_f32 v11, v99, v11, -v12 op_sel_hi:[1,0,0]
	v_fmac_f32_e32 v26, v14, v11
	v_dot4_i32_i8 v11, v51, v6, 0
	v_dot4_i32_i8 v11, v52, v7, v11
	;; [unrolled: 1-line block ×6, first 2 shown]
	v_mul_lo_u32 v13, v11, v86
	v_dot4_i32_i8 v11, v57, v2, 0
	v_dot4_i32_i8 v12, v84, v8, v12
	;; [unrolled: 1-line block ×8, first 2 shown]
	v_mad_u64_u32 v[93:94], s[16:17], v11, v83, v[13:14]
	v_dot4_i32_i8 v12, v85, v4, v12
	v_dot4_i32_i8 v12, v85, v5, v12
	v_cvt_f32_i32_e32 v12, v12
	v_cvt_f32_i32_e32 v11, v93
	v_mul_f32_e32 v12, v101, v12
	v_fma_mix_f32 v11, v53, v11, -v12 op_sel_hi:[1,0,0]
	v_fmac_f32_e32 v25, v14, v11
	v_dot4_i32_i8 v11, v10, v6, 0
	v_dot4_i32_i8 v11, v74, v7, v11
	v_dot4_i32_i8 v11, v62, v8, v11
	v_dot4_i32_i8 v12, v75, v6, 0
	v_dot4_i32_i8 v11, v64, v9, v11
	v_dot4_i32_i8 v12, v75, v7, v12
	v_mul_lo_u32 v13, v11, v1
	v_dot4_i32_i8 v11, v65, v2, 0
	v_dot4_i32_i8 v12, v75, v8, v12
	;; [unrolled: 1-line block ×8, first 2 shown]
	v_mad_u64_u32 v[93:94], s[16:17], v11, v72, v[13:14]
	v_dot4_i32_i8 v12, v92, v4, v12
	v_dot4_i32_i8 v12, v92, v5, v12
	v_cvt_f32_i32_e32 v12, v12
	v_cvt_f32_i32_e32 v11, v93
	v_mul_f32_e32 v12, v126, v12
	v_fma_mix_f32 v11, v0, v11, -v12 op_sel_hi:[1,0,0]
	v_fmac_f32_e32 v24, v14, v11
	v_dot4_i32_i8 v11, v79, v6, 0
	v_dot4_i32_i8 v6, v61, v6, 0
	;; [unrolled: 1-line block ×8, first 2 shown]
	v_mul_lo_u32 v6, v7, v71
	v_dot4_i32_i8 v7, v125, v2, 0
	v_dot4_i32_i8 v2, v63, v2, v8
	;; [unrolled: 1-line block ×8, first 2 shown]
	v_mad_u64_u32 v[2:3], s[16:17], v3, v37, v[6:7]
	v_cvt_f32_i32_e32 v3, v4
	v_cvt_f32_i32_e32 v2, v2
	v_mul_f32_e32 v3, v121, v3
	v_fma_mix_f32 v2, v120, v2, -v3 op_sel_hi:[1,0,0]
	v_fmac_f32_e32 v23, v14, v2
	ds_read2_b32 v[13:14], v119 offset0:192 offset1:224
	ds_read_b128 v[6:9], v118 offset:6144
	ds_read_b128 v[2:5], v118 offset:6160
	v_add_u32_e32 v119, 4, v119
	s_waitcnt lgkmcnt(1)
	v_dot4_i32_i8 v11, v50, v6, 0
	v_dot4_i32_i8 v11, v100, v7, v11
	;; [unrolled: 1-line block ×6, first 2 shown]
	v_mul_lo_u32 v93, v11, v81
	s_waitcnt lgkmcnt(0)
	v_dot4_i32_i8 v11, v49, v2, 0
	v_dot4_i32_i8 v12, v78, v8, v12
	;; [unrolled: 1-line block ×8, first 2 shown]
	v_mad_u64_u32 v[93:94], s[16:17], v11, v77, v[93:94]
	v_dot4_i32_i8 v12, v80, v4, v12
	v_dot4_i32_i8 v12, v80, v5, v12
	v_cvt_f32_i32_e32 v12, v12
	v_cvt_f32_i32_e32 v11, v93
	v_mul_f32_e32 v12, v82, v12
	v_fma_mix_f32 v11, v99, v11, -v12 op_sel_hi:[1,0,0]
	v_fmac_f32_e32 v22, v13, v11
	v_dot4_i32_i8 v11, v51, v6, 0
	v_dot4_i32_i8 v11, v52, v7, v11
	;; [unrolled: 1-line block ×6, first 2 shown]
	v_mul_lo_u32 v93, v11, v86
	v_dot4_i32_i8 v11, v57, v2, 0
	v_dot4_i32_i8 v12, v84, v8, v12
	;; [unrolled: 1-line block ×8, first 2 shown]
	v_mad_u64_u32 v[93:94], s[16:17], v11, v83, v[93:94]
	v_dot4_i32_i8 v12, v85, v4, v12
	v_dot4_i32_i8 v12, v85, v5, v12
	v_cvt_f32_i32_e32 v12, v12
	v_cvt_f32_i32_e32 v11, v93
	v_mul_f32_e32 v12, v101, v12
	v_fma_mix_f32 v11, v53, v11, -v12 op_sel_hi:[1,0,0]
	v_fmac_f32_e32 v21, v13, v11
	v_dot4_i32_i8 v11, v10, v6, 0
	v_dot4_i32_i8 v11, v74, v7, v11
	;; [unrolled: 1-line block ×6, first 2 shown]
	v_mul_lo_u32 v93, v11, v1
	v_dot4_i32_i8 v11, v65, v2, 0
	v_dot4_i32_i8 v12, v75, v8, v12
	;; [unrolled: 1-line block ×8, first 2 shown]
	v_mad_u64_u32 v[93:94], s[16:17], v11, v72, v[93:94]
	v_dot4_i32_i8 v12, v92, v4, v12
	v_dot4_i32_i8 v12, v92, v5, v12
	v_cvt_f32_i32_e32 v12, v12
	v_cvt_f32_i32_e32 v11, v93
	v_mov_b32_e32 v93, v117
	v_mul_f32_e32 v12, v126, v12
	v_fma_mix_f32 v11, v0, v11, -v12 op_sel_hi:[1,0,0]
	v_fmac_f32_e32 v20, v13, v11
	v_dot4_i32_i8 v11, v79, v6, 0
	v_dot4_i32_i8 v6, v61, v6, 0
	v_dot4_i32_i8 v11, v89, v7, v11
	v_dot4_i32_i8 v6, v61, v7, v6
	v_dot4_i32_i8 v7, v88, v8, v11
	v_dot4_i32_i8 v6, v61, v8, v6
	v_dot4_i32_i8 v7, v66, v9, v7
	v_dot4_i32_i8 v8, v61, v9, v6
	v_mul_lo_u32 v6, v7, v71
	v_dot4_i32_i8 v7, v125, v2, 0
	v_dot4_i32_i8 v2, v63, v2, v8
	;; [unrolled: 1-line block ×8, first 2 shown]
	v_mad_u64_u32 v[2:3], s[16:17], v3, v37, v[6:7]
	v_cvt_f32_i32_e32 v3, v4
	v_cvt_f32_i32_e32 v2, v2
	v_mul_f32_e32 v3, v121, v3
	v_fma_mix_f32 v2, v120, v2, -v3 op_sel_hi:[1,0,0]
	v_fmac_f32_e32 v19, v13, v2
	ds_read_b128 v[6:9], v118 offset:7168
	ds_read_b128 v[2:5], v118 offset:7184
	v_add_u32_e32 v118, 32, v118
	s_waitcnt lgkmcnt(1)
	v_dot4_i32_i8 v11, v50, v6, 0
	v_dot4_i32_i8 v11, v100, v7, v11
	;; [unrolled: 1-line block ×6, first 2 shown]
	v_mul_lo_u32 v13, v11, v81
	s_waitcnt lgkmcnt(0)
	v_dot4_i32_i8 v11, v49, v2, 0
	v_dot4_i32_i8 v12, v78, v8, v12
	;; [unrolled: 1-line block ×8, first 2 shown]
	v_mad_u64_u32 v[47:48], s[16:17], v11, v77, v[13:14]
	v_dot4_i32_i8 v12, v80, v4, v12
	v_dot4_i32_i8 v12, v80, v5, v12
	v_cvt_f32_i32_e32 v12, v12
	v_cvt_f32_i32_e32 v11, v47
	v_dot4_i32_i8 v10, v10, v6, 0
	v_dot4_i32_i8 v10, v74, v7, v10
	v_mul_f32_e32 v12, v82, v12
	v_fma_mix_f32 v11, v99, v11, -v12 op_sel_hi:[1,0,0]
	v_fmac_f32_e32 v18, v14, v11
	v_dot4_i32_i8 v11, v51, v6, 0
	v_dot4_i32_i8 v11, v52, v7, v11
	;; [unrolled: 1-line block ×6, first 2 shown]
	v_mul_lo_u32 v13, v11, v86
	v_dot4_i32_i8 v11, v57, v2, 0
	v_dot4_i32_i8 v12, v84, v8, v12
	;; [unrolled: 1-line block ×8, first 2 shown]
	v_mad_u64_u32 v[47:48], s[16:17], v11, v83, v[13:14]
	v_dot4_i32_i8 v12, v85, v4, v12
	v_dot4_i32_i8 v12, v85, v5, v12
	v_cvt_f32_i32_e32 v12, v12
	v_cvt_f32_i32_e32 v11, v47
	v_dot4_i32_i8 v10, v62, v8, v10
	v_dot4_i32_i8 v10, v64, v9, v10
	v_mul_f32_e32 v12, v101, v12
	v_fma_mix_f32 v11, v53, v11, -v12 op_sel_hi:[1,0,0]
	v_fmac_f32_e32 v17, v14, v11
	v_dot4_i32_i8 v11, v75, v6, 0
	v_dot4_i32_i8 v11, v75, v7, v11
	v_mul_lo_u32 v1, v10, v1
	v_dot4_i32_i8 v10, v65, v2, 0
	v_dot4_i32_i8 v11, v75, v8, v11
	;; [unrolled: 1-line block ×8, first 2 shown]
	v_mad_u64_u32 v[47:48], s[16:17], v10, v72, v[1:2]
	v_dot4_i32_i8 v11, v92, v4, v11
	v_dot4_i32_i8 v11, v92, v5, v11
	v_cvt_f32_i32_e32 v10, v11
	v_cvt_f32_i32_e32 v1, v47
	v_mov_b32_e32 v78, v112
	v_mov_b32_e32 v81, v108
	v_mul_f32_e32 v10, v126, v10
	v_fma_mix_f32 v0, v0, v1, -v10 op_sel_hi:[1,0,0]
	v_fmac_f32_e32 v16, v14, v0
	v_dot4_i32_i8 v0, v79, v6, 0
	v_dot4_i32_i8 v1, v61, v6, 0
	;; [unrolled: 1-line block ×12, first 2 shown]
	buffer_load_dword v63, off, s[20:23], 0 ; 4-byte Folded Reload
	v_mul_lo_u32 v6, v6, v71
	v_dot4_i32_i8 v1, v125, v2, 0
	v_dot4_i32_i8 v1, v124, v3, v1
	;; [unrolled: 1-line block ×4, first 2 shown]
	v_mad_u64_u32 v[1:2], s[16:17], v1, v37, v[6:7]
	v_cvt_f32_i32_e32 v0, v0
	v_mov_b32_e32 v84, v113
	v_cvt_f32_i32_e32 v1, v1
	v_mov_b32_e32 v86, v114
	v_mul_f32_e32 v0, v121, v0
	v_mov_b32_e32 v62, v46
	v_fma_mix_f32 v0, v120, v1, -v0 op_sel_hi:[1,0,0]
	v_mov_b32_e32 v64, v111
	v_mov_b32_e32 v12, v44
	;; [unrolled: 1-line block ×4, first 2 shown]
	v_fmac_f32_e32 v15, v14, v0
	s_cbranch_scc1 .LBB167_15
; %bb.16:                               ;   in Loop: Header=BB167_7 Depth=1
	v_mov_b32_e32 v11, v91
	s_waitcnt vmcnt(0)
	s_barrier
	s_branch .LBB167_6
.LBB167_17:
	buffer_load_dword v0, off, s[20:23], 0 offset:256 ; 4-byte Folded Reload
	buffer_load_dword v43, off, s[20:23], 0 offset:252 ; 4-byte Folded Reload
.LBB167_18:
	s_waitcnt vmcnt(1)
	v_cmp_gt_u32_e32 vcc, s8, v0
	s_and_saveexec_b64 s[0:1], vcc
	s_cbranch_execz .LBB167_69
; %bb.19:
	v_mul_lo_u32 v4, v0, s10
	s_waitcnt vmcnt(0)
	v_add_u32_e32 v0, s6, v43
	v_cmp_gt_u32_e64 s[0:1], s10, v0
	s_and_saveexec_b64 s[2:3], s[0:1]
	s_cbranch_execz .LBB167_21
; %bb.20:
	v_bfe_u32 v1, v39, 16, 1
	s_movk_i32 s4, 0x7fff
	v_add3_u32 v1, v39, v1, s4
	v_cmp_o_f32_e32 vcc, v39, v39
	v_mov_b32_e32 v2, 0x7fc0
	v_cndmask_b32_sdwa v3, v2, v1, vcc dst_sel:DWORD dst_unused:UNUSED_PAD src0_sel:DWORD src1_sel:WORD_1
	v_add_u32_e32 v1, v0, v4
	v_mov_b32_e32 v2, 0
	v_lshlrev_b64 v[1:2], 1, v[1:2]
	s_waitcnt lgkmcnt(0)
	v_mov_b32_e32 v5, s13
	v_add_co_u32_e32 v1, vcc, s12, v1
	v_addc_co_u32_e32 v2, vcc, v5, v2, vcc
	global_store_short v[1:2], v3, off
.LBB167_21:
	s_or_b64 exec, exec, s[2:3]
	v_add_u32_e32 v1, 32, v0
	v_cmp_gt_u32_e64 s[2:3], s10, v1
	s_and_saveexec_b64 s[4:5], s[2:3]
	s_cbranch_execz .LBB167_23
; %bb.22:
	v_bfe_u32 v2, v76, 16, 1
	s_movk_i32 s6, 0x7fff
	v_add3_u32 v2, v76, v2, s6
	v_cmp_o_f32_e32 vcc, v76, v76
	v_mov_b32_e32 v3, 0x7fc0
	v_cndmask_b32_sdwa v5, v3, v2, vcc dst_sel:DWORD dst_unused:UNUSED_PAD src0_sel:DWORD src1_sel:WORD_1
	v_add_u32_e32 v2, v1, v4
	v_mov_b32_e32 v3, 0
	v_lshlrev_b64 v[2:3], 1, v[2:3]
	s_waitcnt lgkmcnt(0)
	v_mov_b32_e32 v6, s13
	v_add_co_u32_e32 v2, vcc, s12, v2
	v_addc_co_u32_e32 v3, vcc, v6, v3, vcc
	global_store_short v[2:3], v5, off
.LBB167_23:
	s_or_b64 exec, exec, s[4:5]
	;; [unrolled: 21-line block ×4, first 2 shown]
	v_add3_u32 v4, v37, s11, 8
	v_cmp_gt_u32_e32 vcc, s8, v4
	s_and_b64 exec, exec, vcc
	s_cbranch_execz .LBB167_69
; %bb.28:
	v_mul_lo_u32 v4, v4, s10
	s_and_saveexec_b64 s[14:15], s[0:1]
	s_cbranch_execnz .LBB167_70
; %bb.29:
	s_or_b64 exec, exec, s[14:15]
	s_and_saveexec_b64 s[14:15], s[2:3]
	s_cbranch_execnz .LBB167_71
.LBB167_30:
	s_or_b64 exec, exec, s[14:15]
	s_and_saveexec_b64 s[14:15], s[4:5]
	s_cbranch_execnz .LBB167_72
.LBB167_31:
	s_or_b64 exec, exec, s[14:15]
	s_and_saveexec_b64 s[14:15], s[6:7]
	s_cbranch_execz .LBB167_33
.LBB167_32:
	v_bfe_u32 v5, v41, 16, 1
	s_movk_i32 s9, 0x7fff
	v_add3_u32 v5, v41, v5, s9
	v_cmp_o_f32_e32 vcc, v41, v41
	v_mov_b32_e32 v6, 0x7fc0
	v_cndmask_b32_sdwa v6, v6, v5, vcc dst_sel:DWORD dst_unused:UNUSED_PAD src0_sel:DWORD src1_sel:WORD_1
	v_add_u32_e32 v4, v4, v3
	v_mov_b32_e32 v5, 0
	v_lshlrev_b64 v[4:5], 1, v[4:5]
	s_waitcnt lgkmcnt(0)
	v_mov_b32_e32 v7, s13
	v_add_co_u32_e32 v4, vcc, s12, v4
	v_addc_co_u32_e32 v5, vcc, v7, v5, vcc
	global_store_short v[4:5], v6, off
.LBB167_33:
	s_or_b64 exec, exec, s[14:15]
	v_add3_u32 v4, v37, s11, 16
	v_cmp_gt_u32_e32 vcc, s8, v4
	s_and_b64 exec, exec, vcc
	s_cbranch_execz .LBB167_69
; %bb.34:
	v_mul_lo_u32 v4, v4, s10
	s_and_saveexec_b64 s[14:15], s[0:1]
	s_cbranch_execnz .LBB167_73
; %bb.35:
	s_or_b64 exec, exec, s[14:15]
	s_and_saveexec_b64 s[14:15], s[2:3]
	s_cbranch_execnz .LBB167_74
.LBB167_36:
	s_or_b64 exec, exec, s[14:15]
	s_and_saveexec_b64 s[14:15], s[4:5]
	s_cbranch_execnz .LBB167_75
.LBB167_37:
	s_or_b64 exec, exec, s[14:15]
	s_and_saveexec_b64 s[14:15], s[6:7]
	s_cbranch_execz .LBB167_39
.LBB167_38:
	v_bfe_u32 v5, v35, 16, 1
	s_movk_i32 s9, 0x7fff
	v_add3_u32 v5, v35, v5, s9
	v_cmp_o_f32_e32 vcc, v35, v35
	v_mov_b32_e32 v6, 0x7fc0
	v_cndmask_b32_sdwa v6, v6, v5, vcc dst_sel:DWORD dst_unused:UNUSED_PAD src0_sel:DWORD src1_sel:WORD_1
	v_add_u32_e32 v4, v4, v3
	v_mov_b32_e32 v5, 0
	v_lshlrev_b64 v[4:5], 1, v[4:5]
	s_waitcnt lgkmcnt(0)
	v_mov_b32_e32 v7, s13
	v_add_co_u32_e32 v4, vcc, s12, v4
	v_addc_co_u32_e32 v5, vcc, v7, v5, vcc
	global_store_short v[4:5], v6, off
.LBB167_39:
	s_or_b64 exec, exec, s[14:15]
	v_add3_u32 v4, v37, s11, 24
	v_cmp_gt_u32_e32 vcc, s8, v4
	s_and_b64 exec, exec, vcc
	s_cbranch_execz .LBB167_69
; %bb.40:
	v_mul_lo_u32 v4, v4, s10
	s_and_saveexec_b64 s[14:15], s[0:1]
	s_cbranch_execnz .LBB167_76
; %bb.41:
	s_or_b64 exec, exec, s[14:15]
	s_and_saveexec_b64 s[14:15], s[2:3]
	s_cbranch_execnz .LBB167_77
.LBB167_42:
	s_or_b64 exec, exec, s[14:15]
	s_and_saveexec_b64 s[14:15], s[4:5]
	s_cbranch_execnz .LBB167_78
.LBB167_43:
	s_or_b64 exec, exec, s[14:15]
	s_and_saveexec_b64 s[14:15], s[6:7]
	s_cbranch_execz .LBB167_45
.LBB167_44:
	v_bfe_u32 v5, v31, 16, 1
	s_movk_i32 s9, 0x7fff
	v_add3_u32 v5, v31, v5, s9
	v_cmp_o_f32_e32 vcc, v31, v31
	v_mov_b32_e32 v6, 0x7fc0
	v_cndmask_b32_sdwa v6, v6, v5, vcc dst_sel:DWORD dst_unused:UNUSED_PAD src0_sel:DWORD src1_sel:WORD_1
	v_add_u32_e32 v4, v4, v3
	v_mov_b32_e32 v5, 0
	v_lshlrev_b64 v[4:5], 1, v[4:5]
	s_waitcnt lgkmcnt(0)
	v_mov_b32_e32 v7, s13
	v_add_co_u32_e32 v4, vcc, s12, v4
	v_addc_co_u32_e32 v5, vcc, v7, v5, vcc
	global_store_short v[4:5], v6, off
.LBB167_45:
	s_or_b64 exec, exec, s[14:15]
	v_add3_u32 v4, v37, s11, 32
	v_cmp_gt_u32_e32 vcc, s8, v4
	s_and_b64 exec, exec, vcc
	s_cbranch_execz .LBB167_69
; %bb.46:
	v_mul_lo_u32 v4, v4, s10
	s_and_saveexec_b64 s[14:15], s[0:1]
	s_cbranch_execnz .LBB167_79
; %bb.47:
	s_or_b64 exec, exec, s[14:15]
	s_and_saveexec_b64 s[14:15], s[2:3]
	s_cbranch_execnz .LBB167_80
.LBB167_48:
	s_or_b64 exec, exec, s[14:15]
	s_and_saveexec_b64 s[14:15], s[4:5]
	s_cbranch_execnz .LBB167_81
.LBB167_49:
	s_or_b64 exec, exec, s[14:15]
	s_and_saveexec_b64 s[14:15], s[6:7]
	s_cbranch_execz .LBB167_51
.LBB167_50:
	v_bfe_u32 v5, v27, 16, 1
	s_movk_i32 s9, 0x7fff
	v_add3_u32 v5, v27, v5, s9
	v_cmp_o_f32_e32 vcc, v27, v27
	v_mov_b32_e32 v6, 0x7fc0
	v_cndmask_b32_sdwa v6, v6, v5, vcc dst_sel:DWORD dst_unused:UNUSED_PAD src0_sel:DWORD src1_sel:WORD_1
	v_add_u32_e32 v4, v4, v3
	v_mov_b32_e32 v5, 0
	v_lshlrev_b64 v[4:5], 1, v[4:5]
	s_waitcnt lgkmcnt(0)
	v_mov_b32_e32 v7, s13
	v_add_co_u32_e32 v4, vcc, s12, v4
	v_addc_co_u32_e32 v5, vcc, v7, v5, vcc
	global_store_short v[4:5], v6, off
.LBB167_51:
	s_or_b64 exec, exec, s[14:15]
	v_add3_u32 v4, v37, s11, 40
	v_cmp_gt_u32_e32 vcc, s8, v4
	s_and_b64 exec, exec, vcc
	s_cbranch_execz .LBB167_69
; %bb.52:
	v_mul_lo_u32 v4, v4, s10
	s_and_saveexec_b64 s[14:15], s[0:1]
	s_cbranch_execnz .LBB167_82
; %bb.53:
	s_or_b64 exec, exec, s[14:15]
	s_and_saveexec_b64 s[14:15], s[2:3]
	s_cbranch_execnz .LBB167_83
.LBB167_54:
	s_or_b64 exec, exec, s[14:15]
	s_and_saveexec_b64 s[14:15], s[4:5]
	s_cbranch_execnz .LBB167_84
.LBB167_55:
	s_or_b64 exec, exec, s[14:15]
	s_and_saveexec_b64 s[14:15], s[6:7]
	s_cbranch_execz .LBB167_57
.LBB167_56:
	v_bfe_u32 v5, v23, 16, 1
	s_movk_i32 s9, 0x7fff
	v_add3_u32 v5, v23, v5, s9
	v_cmp_o_f32_e32 vcc, v23, v23
	v_mov_b32_e32 v6, 0x7fc0
	v_cndmask_b32_sdwa v6, v6, v5, vcc dst_sel:DWORD dst_unused:UNUSED_PAD src0_sel:DWORD src1_sel:WORD_1
	v_add_u32_e32 v4, v4, v3
	v_mov_b32_e32 v5, 0
	v_lshlrev_b64 v[4:5], 1, v[4:5]
	s_waitcnt lgkmcnt(0)
	v_mov_b32_e32 v7, s13
	v_add_co_u32_e32 v4, vcc, s12, v4
	v_addc_co_u32_e32 v5, vcc, v7, v5, vcc
	global_store_short v[4:5], v6, off
.LBB167_57:
	s_or_b64 exec, exec, s[14:15]
	v_add3_u32 v4, v37, s11, 48
	v_cmp_gt_u32_e32 vcc, s8, v4
	s_and_b64 exec, exec, vcc
	s_cbranch_execz .LBB167_69
; %bb.58:
	v_mul_lo_u32 v4, v4, s10
	s_and_saveexec_b64 s[14:15], s[0:1]
	s_cbranch_execnz .LBB167_85
; %bb.59:
	s_or_b64 exec, exec, s[14:15]
	s_and_saveexec_b64 s[14:15], s[2:3]
	s_cbranch_execnz .LBB167_86
.LBB167_60:
	s_or_b64 exec, exec, s[14:15]
	s_and_saveexec_b64 s[14:15], s[4:5]
	s_cbranch_execnz .LBB167_87
.LBB167_61:
	s_or_b64 exec, exec, s[14:15]
	s_and_saveexec_b64 s[14:15], s[6:7]
	s_cbranch_execz .LBB167_63
.LBB167_62:
	v_bfe_u32 v5, v19, 16, 1
	s_movk_i32 s9, 0x7fff
	v_add3_u32 v5, v19, v5, s9
	v_cmp_o_f32_e32 vcc, v19, v19
	v_mov_b32_e32 v6, 0x7fc0
	v_cndmask_b32_sdwa v6, v6, v5, vcc dst_sel:DWORD dst_unused:UNUSED_PAD src0_sel:DWORD src1_sel:WORD_1
	v_add_u32_e32 v4, v4, v3
	v_mov_b32_e32 v5, 0
	v_lshlrev_b64 v[4:5], 1, v[4:5]
	s_waitcnt lgkmcnt(0)
	v_mov_b32_e32 v7, s13
	v_add_co_u32_e32 v4, vcc, s12, v4
	v_addc_co_u32_e32 v5, vcc, v7, v5, vcc
	global_store_short v[4:5], v6, off
.LBB167_63:
	s_or_b64 exec, exec, s[14:15]
	v_add3_u32 v4, v37, s11, 56
	v_cmp_gt_u32_e32 vcc, s8, v4
	s_and_b64 exec, exec, vcc
	s_cbranch_execz .LBB167_69
; %bb.64:
	v_mul_lo_u32 v4, v4, s10
	s_and_saveexec_b64 s[8:9], s[0:1]
	s_cbranch_execnz .LBB167_88
; %bb.65:
	s_or_b64 exec, exec, s[8:9]
	s_and_saveexec_b64 s[0:1], s[2:3]
	s_cbranch_execnz .LBB167_89
.LBB167_66:
	s_or_b64 exec, exec, s[0:1]
	s_and_saveexec_b64 s[0:1], s[4:5]
	s_cbranch_execnz .LBB167_90
.LBB167_67:
	s_or_b64 exec, exec, s[0:1]
	s_and_b64 exec, exec, s[6:7]
	s_cbranch_execz .LBB167_69
.LBB167_68:
	v_bfe_u32 v0, v15, 16, 1
	s_movk_i32 s0, 0x7fff
	v_add3_u32 v0, v15, v0, s0
	v_cmp_o_f32_e32 vcc, v15, v15
	v_mov_b32_e32 v1, 0x7fc0
	v_cndmask_b32_sdwa v2, v1, v0, vcc dst_sel:DWORD dst_unused:UNUSED_PAD src0_sel:DWORD src1_sel:WORD_1
	v_add_u32_e32 v0, v4, v3
	v_mov_b32_e32 v1, 0
	v_lshlrev_b64 v[0:1], 1, v[0:1]
	s_waitcnt lgkmcnt(0)
	v_mov_b32_e32 v3, s13
	v_add_co_u32_e32 v0, vcc, s12, v0
	v_addc_co_u32_e32 v1, vcc, v3, v1, vcc
	global_store_short v[0:1], v2, off
.LBB167_69:
	s_endpgm
.LBB167_70:
	v_bfe_u32 v5, v55, 16, 1
	s_movk_i32 s9, 0x7fff
	v_add3_u32 v5, v55, v5, s9
	v_cmp_o_f32_e32 vcc, v55, v55
	v_mov_b32_e32 v6, 0x7fc0
	v_cndmask_b32_sdwa v7, v6, v5, vcc dst_sel:DWORD dst_unused:UNUSED_PAD src0_sel:DWORD src1_sel:WORD_1
	v_add_u32_e32 v5, v4, v0
	v_mov_b32_e32 v6, 0
	v_lshlrev_b64 v[5:6], 1, v[5:6]
	s_waitcnt lgkmcnt(0)
	v_mov_b32_e32 v8, s13
	v_add_co_u32_e32 v5, vcc, s12, v5
	v_addc_co_u32_e32 v6, vcc, v8, v6, vcc
	global_store_short v[5:6], v7, off
	s_or_b64 exec, exec, s[14:15]
	s_and_saveexec_b64 s[14:15], s[2:3]
	s_cbranch_execz .LBB167_30
.LBB167_71:
	v_bfe_u32 v5, v45, 16, 1
	s_movk_i32 s9, 0x7fff
	v_add3_u32 v5, v45, v5, s9
	v_cmp_o_f32_e32 vcc, v45, v45
	v_mov_b32_e32 v6, 0x7fc0
	v_cndmask_b32_sdwa v7, v6, v5, vcc dst_sel:DWORD dst_unused:UNUSED_PAD src0_sel:DWORD src1_sel:WORD_1
	v_add_u32_e32 v5, v4, v1
	v_mov_b32_e32 v6, 0
	v_lshlrev_b64 v[5:6], 1, v[5:6]
	s_waitcnt lgkmcnt(0)
	v_mov_b32_e32 v8, s13
	v_add_co_u32_e32 v5, vcc, s12, v5
	v_addc_co_u32_e32 v6, vcc, v8, v6, vcc
	global_store_short v[5:6], v7, off
	s_or_b64 exec, exec, s[14:15]
	s_and_saveexec_b64 s[14:15], s[4:5]
	s_cbranch_execz .LBB167_31
.LBB167_72:
	v_bfe_u32 v5, v42, 16, 1
	s_movk_i32 s9, 0x7fff
	v_add3_u32 v5, v42, v5, s9
	v_cmp_o_f32_e32 vcc, v42, v42
	v_mov_b32_e32 v6, 0x7fc0
	v_cndmask_b32_sdwa v7, v6, v5, vcc dst_sel:DWORD dst_unused:UNUSED_PAD src0_sel:DWORD src1_sel:WORD_1
	v_add_u32_e32 v5, v4, v2
	v_mov_b32_e32 v6, 0
	v_lshlrev_b64 v[5:6], 1, v[5:6]
	s_waitcnt lgkmcnt(0)
	v_mov_b32_e32 v8, s13
	v_add_co_u32_e32 v5, vcc, s12, v5
	v_addc_co_u32_e32 v6, vcc, v8, v6, vcc
	global_store_short v[5:6], v7, off
	s_or_b64 exec, exec, s[14:15]
	s_and_saveexec_b64 s[14:15], s[6:7]
	s_cbranch_execnz .LBB167_32
	s_branch .LBB167_33
.LBB167_73:
	v_bfe_u32 v5, v40, 16, 1
	s_movk_i32 s9, 0x7fff
	v_add3_u32 v5, v40, v5, s9
	v_cmp_o_f32_e32 vcc, v40, v40
	v_mov_b32_e32 v6, 0x7fc0
	v_cndmask_b32_sdwa v7, v6, v5, vcc dst_sel:DWORD dst_unused:UNUSED_PAD src0_sel:DWORD src1_sel:WORD_1
	v_add_u32_e32 v5, v4, v0
	v_mov_b32_e32 v6, 0
	v_lshlrev_b64 v[5:6], 1, v[5:6]
	s_waitcnt lgkmcnt(0)
	v_mov_b32_e32 v8, s13
	v_add_co_u32_e32 v5, vcc, s12, v5
	v_addc_co_u32_e32 v6, vcc, v8, v6, vcc
	global_store_short v[5:6], v7, off
	s_or_b64 exec, exec, s[14:15]
	s_and_saveexec_b64 s[14:15], s[2:3]
	s_cbranch_execz .LBB167_36
.LBB167_74:
	v_bfe_u32 v5, v38, 16, 1
	s_movk_i32 s9, 0x7fff
	v_add3_u32 v5, v38, v5, s9
	v_cmp_o_f32_e32 vcc, v38, v38
	v_mov_b32_e32 v6, 0x7fc0
	v_cndmask_b32_sdwa v7, v6, v5, vcc dst_sel:DWORD dst_unused:UNUSED_PAD src0_sel:DWORD src1_sel:WORD_1
	v_add_u32_e32 v5, v4, v1
	v_mov_b32_e32 v6, 0
	v_lshlrev_b64 v[5:6], 1, v[5:6]
	s_waitcnt lgkmcnt(0)
	v_mov_b32_e32 v8, s13
	v_add_co_u32_e32 v5, vcc, s12, v5
	v_addc_co_u32_e32 v6, vcc, v8, v6, vcc
	global_store_short v[5:6], v7, off
	s_or_b64 exec, exec, s[14:15]
	s_and_saveexec_b64 s[14:15], s[4:5]
	s_cbranch_execz .LBB167_37
.LBB167_75:
	v_bfe_u32 v5, v36, 16, 1
	s_movk_i32 s9, 0x7fff
	v_add3_u32 v5, v36, v5, s9
	v_cmp_o_f32_e32 vcc, v36, v36
	v_mov_b32_e32 v6, 0x7fc0
	v_cndmask_b32_sdwa v7, v6, v5, vcc dst_sel:DWORD dst_unused:UNUSED_PAD src0_sel:DWORD src1_sel:WORD_1
	v_add_u32_e32 v5, v4, v2
	v_mov_b32_e32 v6, 0
	v_lshlrev_b64 v[5:6], 1, v[5:6]
	s_waitcnt lgkmcnt(0)
	v_mov_b32_e32 v8, s13
	v_add_co_u32_e32 v5, vcc, s12, v5
	v_addc_co_u32_e32 v6, vcc, v8, v6, vcc
	global_store_short v[5:6], v7, off
	s_or_b64 exec, exec, s[14:15]
	s_and_saveexec_b64 s[14:15], s[6:7]
	s_cbranch_execnz .LBB167_38
	s_branch .LBB167_39
.LBB167_76:
	v_bfe_u32 v5, v34, 16, 1
	s_movk_i32 s9, 0x7fff
	v_add3_u32 v5, v34, v5, s9
	v_cmp_o_f32_e32 vcc, v34, v34
	v_mov_b32_e32 v6, 0x7fc0
	v_cndmask_b32_sdwa v7, v6, v5, vcc dst_sel:DWORD dst_unused:UNUSED_PAD src0_sel:DWORD src1_sel:WORD_1
	v_add_u32_e32 v5, v4, v0
	v_mov_b32_e32 v6, 0
	v_lshlrev_b64 v[5:6], 1, v[5:6]
	s_waitcnt lgkmcnt(0)
	v_mov_b32_e32 v8, s13
	v_add_co_u32_e32 v5, vcc, s12, v5
	v_addc_co_u32_e32 v6, vcc, v8, v6, vcc
	global_store_short v[5:6], v7, off
	s_or_b64 exec, exec, s[14:15]
	s_and_saveexec_b64 s[14:15], s[2:3]
	s_cbranch_execz .LBB167_42
.LBB167_77:
	v_bfe_u32 v5, v33, 16, 1
	s_movk_i32 s9, 0x7fff
	v_add3_u32 v5, v33, v5, s9
	v_cmp_o_f32_e32 vcc, v33, v33
	v_mov_b32_e32 v6, 0x7fc0
	v_cndmask_b32_sdwa v7, v6, v5, vcc dst_sel:DWORD dst_unused:UNUSED_PAD src0_sel:DWORD src1_sel:WORD_1
	v_add_u32_e32 v5, v4, v1
	v_mov_b32_e32 v6, 0
	v_lshlrev_b64 v[5:6], 1, v[5:6]
	s_waitcnt lgkmcnt(0)
	v_mov_b32_e32 v8, s13
	v_add_co_u32_e32 v5, vcc, s12, v5
	v_addc_co_u32_e32 v6, vcc, v8, v6, vcc
	global_store_short v[5:6], v7, off
	s_or_b64 exec, exec, s[14:15]
	s_and_saveexec_b64 s[14:15], s[4:5]
	s_cbranch_execz .LBB167_43
.LBB167_78:
	v_bfe_u32 v5, v32, 16, 1
	s_movk_i32 s9, 0x7fff
	v_add3_u32 v5, v32, v5, s9
	v_cmp_o_f32_e32 vcc, v32, v32
	v_mov_b32_e32 v6, 0x7fc0
	v_cndmask_b32_sdwa v7, v6, v5, vcc dst_sel:DWORD dst_unused:UNUSED_PAD src0_sel:DWORD src1_sel:WORD_1
	v_add_u32_e32 v5, v4, v2
	v_mov_b32_e32 v6, 0
	v_lshlrev_b64 v[5:6], 1, v[5:6]
	s_waitcnt lgkmcnt(0)
	v_mov_b32_e32 v8, s13
	v_add_co_u32_e32 v5, vcc, s12, v5
	v_addc_co_u32_e32 v6, vcc, v8, v6, vcc
	global_store_short v[5:6], v7, off
	s_or_b64 exec, exec, s[14:15]
	s_and_saveexec_b64 s[14:15], s[6:7]
	s_cbranch_execnz .LBB167_44
	s_branch .LBB167_45
.LBB167_79:
	v_bfe_u32 v5, v30, 16, 1
	s_movk_i32 s9, 0x7fff
	v_add3_u32 v5, v30, v5, s9
	v_cmp_o_f32_e32 vcc, v30, v30
	v_mov_b32_e32 v6, 0x7fc0
	v_cndmask_b32_sdwa v7, v6, v5, vcc dst_sel:DWORD dst_unused:UNUSED_PAD src0_sel:DWORD src1_sel:WORD_1
	v_add_u32_e32 v5, v4, v0
	v_mov_b32_e32 v6, 0
	v_lshlrev_b64 v[5:6], 1, v[5:6]
	s_waitcnt lgkmcnt(0)
	v_mov_b32_e32 v8, s13
	v_add_co_u32_e32 v5, vcc, s12, v5
	v_addc_co_u32_e32 v6, vcc, v8, v6, vcc
	global_store_short v[5:6], v7, off
	s_or_b64 exec, exec, s[14:15]
	s_and_saveexec_b64 s[14:15], s[2:3]
	s_cbranch_execz .LBB167_48
.LBB167_80:
	v_bfe_u32 v5, v29, 16, 1
	s_movk_i32 s9, 0x7fff
	v_add3_u32 v5, v29, v5, s9
	v_cmp_o_f32_e32 vcc, v29, v29
	v_mov_b32_e32 v6, 0x7fc0
	v_cndmask_b32_sdwa v7, v6, v5, vcc dst_sel:DWORD dst_unused:UNUSED_PAD src0_sel:DWORD src1_sel:WORD_1
	v_add_u32_e32 v5, v4, v1
	v_mov_b32_e32 v6, 0
	v_lshlrev_b64 v[5:6], 1, v[5:6]
	s_waitcnt lgkmcnt(0)
	v_mov_b32_e32 v8, s13
	v_add_co_u32_e32 v5, vcc, s12, v5
	v_addc_co_u32_e32 v6, vcc, v8, v6, vcc
	global_store_short v[5:6], v7, off
	s_or_b64 exec, exec, s[14:15]
	s_and_saveexec_b64 s[14:15], s[4:5]
	s_cbranch_execz .LBB167_49
.LBB167_81:
	v_bfe_u32 v5, v28, 16, 1
	s_movk_i32 s9, 0x7fff
	v_add3_u32 v5, v28, v5, s9
	v_cmp_o_f32_e32 vcc, v28, v28
	v_mov_b32_e32 v6, 0x7fc0
	v_cndmask_b32_sdwa v7, v6, v5, vcc dst_sel:DWORD dst_unused:UNUSED_PAD src0_sel:DWORD src1_sel:WORD_1
	v_add_u32_e32 v5, v4, v2
	v_mov_b32_e32 v6, 0
	v_lshlrev_b64 v[5:6], 1, v[5:6]
	s_waitcnt lgkmcnt(0)
	v_mov_b32_e32 v8, s13
	v_add_co_u32_e32 v5, vcc, s12, v5
	v_addc_co_u32_e32 v6, vcc, v8, v6, vcc
	global_store_short v[5:6], v7, off
	s_or_b64 exec, exec, s[14:15]
	s_and_saveexec_b64 s[14:15], s[6:7]
	s_cbranch_execnz .LBB167_50
	s_branch .LBB167_51
.LBB167_82:
	v_bfe_u32 v5, v26, 16, 1
	s_movk_i32 s9, 0x7fff
	v_add3_u32 v5, v26, v5, s9
	v_cmp_o_f32_e32 vcc, v26, v26
	v_mov_b32_e32 v6, 0x7fc0
	v_cndmask_b32_sdwa v7, v6, v5, vcc dst_sel:DWORD dst_unused:UNUSED_PAD src0_sel:DWORD src1_sel:WORD_1
	v_add_u32_e32 v5, v4, v0
	v_mov_b32_e32 v6, 0
	v_lshlrev_b64 v[5:6], 1, v[5:6]
	s_waitcnt lgkmcnt(0)
	v_mov_b32_e32 v8, s13
	v_add_co_u32_e32 v5, vcc, s12, v5
	v_addc_co_u32_e32 v6, vcc, v8, v6, vcc
	global_store_short v[5:6], v7, off
	s_or_b64 exec, exec, s[14:15]
	s_and_saveexec_b64 s[14:15], s[2:3]
	s_cbranch_execz .LBB167_54
.LBB167_83:
	v_bfe_u32 v5, v25, 16, 1
	s_movk_i32 s9, 0x7fff
	v_add3_u32 v5, v25, v5, s9
	v_cmp_o_f32_e32 vcc, v25, v25
	v_mov_b32_e32 v6, 0x7fc0
	v_cndmask_b32_sdwa v7, v6, v5, vcc dst_sel:DWORD dst_unused:UNUSED_PAD src0_sel:DWORD src1_sel:WORD_1
	v_add_u32_e32 v5, v4, v1
	v_mov_b32_e32 v6, 0
	v_lshlrev_b64 v[5:6], 1, v[5:6]
	s_waitcnt lgkmcnt(0)
	v_mov_b32_e32 v8, s13
	v_add_co_u32_e32 v5, vcc, s12, v5
	v_addc_co_u32_e32 v6, vcc, v8, v6, vcc
	global_store_short v[5:6], v7, off
	s_or_b64 exec, exec, s[14:15]
	s_and_saveexec_b64 s[14:15], s[4:5]
	s_cbranch_execz .LBB167_55
.LBB167_84:
	v_bfe_u32 v5, v24, 16, 1
	s_movk_i32 s9, 0x7fff
	v_add3_u32 v5, v24, v5, s9
	v_cmp_o_f32_e32 vcc, v24, v24
	v_mov_b32_e32 v6, 0x7fc0
	v_cndmask_b32_sdwa v7, v6, v5, vcc dst_sel:DWORD dst_unused:UNUSED_PAD src0_sel:DWORD src1_sel:WORD_1
	v_add_u32_e32 v5, v4, v2
	v_mov_b32_e32 v6, 0
	v_lshlrev_b64 v[5:6], 1, v[5:6]
	s_waitcnt lgkmcnt(0)
	v_mov_b32_e32 v8, s13
	v_add_co_u32_e32 v5, vcc, s12, v5
	v_addc_co_u32_e32 v6, vcc, v8, v6, vcc
	global_store_short v[5:6], v7, off
	s_or_b64 exec, exec, s[14:15]
	s_and_saveexec_b64 s[14:15], s[6:7]
	s_cbranch_execnz .LBB167_56
	s_branch .LBB167_57
.LBB167_85:
	v_bfe_u32 v5, v22, 16, 1
	s_movk_i32 s9, 0x7fff
	v_add3_u32 v5, v22, v5, s9
	v_cmp_o_f32_e32 vcc, v22, v22
	v_mov_b32_e32 v6, 0x7fc0
	v_cndmask_b32_sdwa v7, v6, v5, vcc dst_sel:DWORD dst_unused:UNUSED_PAD src0_sel:DWORD src1_sel:WORD_1
	v_add_u32_e32 v5, v4, v0
	v_mov_b32_e32 v6, 0
	v_lshlrev_b64 v[5:6], 1, v[5:6]
	s_waitcnt lgkmcnt(0)
	v_mov_b32_e32 v8, s13
	v_add_co_u32_e32 v5, vcc, s12, v5
	v_addc_co_u32_e32 v6, vcc, v8, v6, vcc
	global_store_short v[5:6], v7, off
	s_or_b64 exec, exec, s[14:15]
	s_and_saveexec_b64 s[14:15], s[2:3]
	s_cbranch_execz .LBB167_60
.LBB167_86:
	v_bfe_u32 v5, v21, 16, 1
	s_movk_i32 s9, 0x7fff
	v_add3_u32 v5, v21, v5, s9
	v_cmp_o_f32_e32 vcc, v21, v21
	v_mov_b32_e32 v6, 0x7fc0
	v_cndmask_b32_sdwa v7, v6, v5, vcc dst_sel:DWORD dst_unused:UNUSED_PAD src0_sel:DWORD src1_sel:WORD_1
	v_add_u32_e32 v5, v4, v1
	v_mov_b32_e32 v6, 0
	v_lshlrev_b64 v[5:6], 1, v[5:6]
	s_waitcnt lgkmcnt(0)
	v_mov_b32_e32 v8, s13
	v_add_co_u32_e32 v5, vcc, s12, v5
	v_addc_co_u32_e32 v6, vcc, v8, v6, vcc
	global_store_short v[5:6], v7, off
	s_or_b64 exec, exec, s[14:15]
	s_and_saveexec_b64 s[14:15], s[4:5]
	s_cbranch_execz .LBB167_61
.LBB167_87:
	v_bfe_u32 v5, v20, 16, 1
	s_movk_i32 s9, 0x7fff
	v_add3_u32 v5, v20, v5, s9
	v_cmp_o_f32_e32 vcc, v20, v20
	v_mov_b32_e32 v6, 0x7fc0
	v_cndmask_b32_sdwa v7, v6, v5, vcc dst_sel:DWORD dst_unused:UNUSED_PAD src0_sel:DWORD src1_sel:WORD_1
	v_add_u32_e32 v5, v4, v2
	v_mov_b32_e32 v6, 0
	v_lshlrev_b64 v[5:6], 1, v[5:6]
	s_waitcnt lgkmcnt(0)
	v_mov_b32_e32 v8, s13
	v_add_co_u32_e32 v5, vcc, s12, v5
	v_addc_co_u32_e32 v6, vcc, v8, v6, vcc
	global_store_short v[5:6], v7, off
	s_or_b64 exec, exec, s[14:15]
	s_and_saveexec_b64 s[14:15], s[6:7]
	s_cbranch_execnz .LBB167_62
	s_branch .LBB167_63
.LBB167_88:
	v_bfe_u32 v5, v18, 16, 1
	s_movk_i32 s0, 0x7fff
	v_add3_u32 v5, v18, v5, s0
	v_cmp_o_f32_e32 vcc, v18, v18
	v_mov_b32_e32 v6, 0x7fc0
	v_cndmask_b32_sdwa v7, v6, v5, vcc dst_sel:DWORD dst_unused:UNUSED_PAD src0_sel:DWORD src1_sel:WORD_1
	v_add_u32_e32 v5, v4, v0
	v_mov_b32_e32 v6, 0
	v_lshlrev_b64 v[5:6], 1, v[5:6]
	s_waitcnt lgkmcnt(0)
	v_mov_b32_e32 v0, s13
	v_add_co_u32_e32 v5, vcc, s12, v5
	v_addc_co_u32_e32 v6, vcc, v0, v6, vcc
	global_store_short v[5:6], v7, off
	s_or_b64 exec, exec, s[8:9]
	s_and_saveexec_b64 s[0:1], s[2:3]
	s_cbranch_execz .LBB167_66
.LBB167_89:
	v_bfe_u32 v0, v17, 16, 1
	s_movk_i32 s2, 0x7fff
	v_add3_u32 v0, v17, v0, s2
	v_cmp_o_f32_e32 vcc, v17, v17
	v_mov_b32_e32 v5, 0x7fc0
	v_cndmask_b32_sdwa v5, v5, v0, vcc dst_sel:DWORD dst_unused:UNUSED_PAD src0_sel:DWORD src1_sel:WORD_1
	v_add_u32_e32 v0, v4, v1
	v_mov_b32_e32 v1, 0
	v_lshlrev_b64 v[0:1], 1, v[0:1]
	s_waitcnt lgkmcnt(0)
	v_mov_b32_e32 v6, s13
	v_add_co_u32_e32 v0, vcc, s12, v0
	v_addc_co_u32_e32 v1, vcc, v6, v1, vcc
	global_store_short v[0:1], v5, off
	s_or_b64 exec, exec, s[0:1]
	s_and_saveexec_b64 s[0:1], s[4:5]
	s_cbranch_execz .LBB167_67
.LBB167_90:
	v_bfe_u32 v0, v16, 16, 1
	s_movk_i32 s2, 0x7fff
	v_add3_u32 v0, v16, v0, s2
	v_cmp_o_f32_e32 vcc, v16, v16
	v_mov_b32_e32 v1, 0x7fc0
	v_cndmask_b32_sdwa v5, v1, v0, vcc dst_sel:DWORD dst_unused:UNUSED_PAD src0_sel:DWORD src1_sel:WORD_1
	v_add_u32_e32 v0, v4, v2
	v_mov_b32_e32 v1, 0
	v_lshlrev_b64 v[0:1], 1, v[0:1]
	s_waitcnt lgkmcnt(0)
	v_mov_b32_e32 v2, s13
	v_add_co_u32_e32 v0, vcc, s12, v0
	v_addc_co_u32_e32 v1, vcc, v2, v1, vcc
	global_store_short v[0:1], v5, off
	s_or_b64 exec, exec, s[0:1]
	s_and_b64 exec, exec, s[6:7]
	s_cbranch_execnz .LBB167_68
	s_branch .LBB167_69
	.section	.rodata,"a",@progbits
	.p2align	6, 0x0
	.amdhsa_kernel _ZL12mul_mat_q2_KIN3c108BFloat16ELb0EEvPKvS3_PT_iiiii
		.amdhsa_group_segment_fixed_size 31392
		.amdhsa_private_segment_fixed_size 264
		.amdhsa_kernarg_size 44
		.amdhsa_user_sgpr_count 6
		.amdhsa_user_sgpr_private_segment_buffer 1
		.amdhsa_user_sgpr_dispatch_ptr 0
		.amdhsa_user_sgpr_queue_ptr 0
		.amdhsa_user_sgpr_kernarg_segment_ptr 1
		.amdhsa_user_sgpr_dispatch_id 0
		.amdhsa_user_sgpr_flat_scratch_init 0
		.amdhsa_user_sgpr_private_segment_size 0
		.amdhsa_uses_dynamic_stack 0
		.amdhsa_system_sgpr_private_segment_wavefront_offset 1
		.amdhsa_system_sgpr_workgroup_id_x 1
		.amdhsa_system_sgpr_workgroup_id_y 1
		.amdhsa_system_sgpr_workgroup_id_z 0
		.amdhsa_system_sgpr_workgroup_info 0
		.amdhsa_system_vgpr_workitem_id 1
		.amdhsa_next_free_vgpr 128
		.amdhsa_next_free_sgpr 98
		.amdhsa_reserve_vcc 1
		.amdhsa_reserve_flat_scratch 0
		.amdhsa_float_round_mode_32 0
		.amdhsa_float_round_mode_16_64 0
		.amdhsa_float_denorm_mode_32 3
		.amdhsa_float_denorm_mode_16_64 3
		.amdhsa_dx10_clamp 1
		.amdhsa_ieee_mode 1
		.amdhsa_fp16_overflow 0
		.amdhsa_exception_fp_ieee_invalid_op 0
		.amdhsa_exception_fp_denorm_src 0
		.amdhsa_exception_fp_ieee_div_zero 0
		.amdhsa_exception_fp_ieee_overflow 0
		.amdhsa_exception_fp_ieee_underflow 0
		.amdhsa_exception_fp_ieee_inexact 0
		.amdhsa_exception_int_div_zero 0
	.end_amdhsa_kernel
	.section	.text._ZL12mul_mat_q2_KIN3c108BFloat16ELb0EEvPKvS3_PT_iiiii,"axG",@progbits,_ZL12mul_mat_q2_KIN3c108BFloat16ELb0EEvPKvS3_PT_iiiii,comdat
.Lfunc_end167:
	.size	_ZL12mul_mat_q2_KIN3c108BFloat16ELb0EEvPKvS3_PT_iiiii, .Lfunc_end167-_ZL12mul_mat_q2_KIN3c108BFloat16ELb0EEvPKvS3_PT_iiiii
                                        ; -- End function
	.set _ZL12mul_mat_q2_KIN3c108BFloat16ELb0EEvPKvS3_PT_iiiii.num_vgpr, 128
	.set _ZL12mul_mat_q2_KIN3c108BFloat16ELb0EEvPKvS3_PT_iiiii.num_agpr, 0
	.set _ZL12mul_mat_q2_KIN3c108BFloat16ELb0EEvPKvS3_PT_iiiii.numbered_sgpr, 24
	.set _ZL12mul_mat_q2_KIN3c108BFloat16ELb0EEvPKvS3_PT_iiiii.num_named_barrier, 0
	.set _ZL12mul_mat_q2_KIN3c108BFloat16ELb0EEvPKvS3_PT_iiiii.private_seg_size, 264
	.set _ZL12mul_mat_q2_KIN3c108BFloat16ELb0EEvPKvS3_PT_iiiii.uses_vcc, 1
	.set _ZL12mul_mat_q2_KIN3c108BFloat16ELb0EEvPKvS3_PT_iiiii.uses_flat_scratch, 0
	.set _ZL12mul_mat_q2_KIN3c108BFloat16ELb0EEvPKvS3_PT_iiiii.has_dyn_sized_stack, 0
	.set _ZL12mul_mat_q2_KIN3c108BFloat16ELb0EEvPKvS3_PT_iiiii.has_recursion, 0
	.set _ZL12mul_mat_q2_KIN3c108BFloat16ELb0EEvPKvS3_PT_iiiii.has_indirect_call, 0
	.section	.AMDGPU.csdata,"",@progbits
; Kernel info:
; codeLenInByte = 36268
; TotalNumSgprs: 28
; NumVgprs: 128
; ScratchSize: 264
; MemoryBound: 0
; FloatMode: 240
; IeeeMode: 1
; LDSByteSize: 31392 bytes/workgroup (compile time only)
; SGPRBlocks: 12
; VGPRBlocks: 31
; NumSGPRsForWavesPerEU: 102
; NumVGPRsForWavesPerEU: 128
; Occupancy: 2
; WaveLimiterHint : 0
; COMPUTE_PGM_RSRC2:SCRATCH_EN: 1
; COMPUTE_PGM_RSRC2:USER_SGPR: 6
; COMPUTE_PGM_RSRC2:TRAP_HANDLER: 0
; COMPUTE_PGM_RSRC2:TGID_X_EN: 1
; COMPUTE_PGM_RSRC2:TGID_Y_EN: 1
; COMPUTE_PGM_RSRC2:TGID_Z_EN: 0
; COMPUTE_PGM_RSRC2:TIDIG_COMP_CNT: 1
	.section	.text._ZL12mul_mat_q2_KIN3c108BFloat16ELb1EEvPKvS3_PT_iiiii,"axG",@progbits,_ZL12mul_mat_q2_KIN3c108BFloat16ELb1EEvPKvS3_PT_iiiii,comdat
	.globl	_ZL12mul_mat_q2_KIN3c108BFloat16ELb1EEvPKvS3_PT_iiiii ; -- Begin function _ZL12mul_mat_q2_KIN3c108BFloat16ELb1EEvPKvS3_PT_iiiii
	.p2align	8
	.type	_ZL12mul_mat_q2_KIN3c108BFloat16ELb1EEvPKvS3_PT_iiiii,@function
_ZL12mul_mat_q2_KIN3c108BFloat16ELb1EEvPKvS3_PT_iiiii: ; @_ZL12mul_mat_q2_KIN3c108BFloat16ELb1EEvPKvS3_PT_iiiii
; %bb.0:
	s_mov_b64 s[22:23], s[2:3]
	s_mov_b64 s[20:21], s[0:1]
	s_add_u32 s20, s20, s8
	s_load_dwordx4 s[8:11], s[4:5], 0x18
	s_load_dword s14, s[4:5], 0x28
	s_addc_u32 s21, s21, 0
	v_mov_b32_e32 v51, v1
	s_lshl_b32 s15, s7, 6
	v_mov_b32_e32 v57, v0
	s_waitcnt lgkmcnt(0)
	s_cmpk_gt_i32 s8, 0xff
	v_add_u32_e32 v59, s15, v51
	s_cbranch_scc1 .LBB168_2
; %bb.1:
	v_add_u32_e32 v0, s15, v51
	s_mov_b64 s[0:1], 0
	s_branch .LBB168_3
.LBB168_2:
	s_mov_b64 s[0:1], -1
                                        ; implicit-def: $vgpr0
.LBB168_3:
	s_load_dwordx2 s[12:13], s[4:5], 0x10
	s_lshl_b32 s6, s6, 7
	v_mov_b32_e32 v31, 0
	s_andn2_b64 vcc, exec, s[0:1]
	v_mov_b32_e32 v35, 0
	v_mov_b32_e32 v39, 0
	;; [unrolled: 1-line block ×31, first 2 shown]
	s_cbranch_vccnz .LBB168_17
; %bb.4:
	s_load_dwordx4 s[0:3], s[4:5], 0x0
	s_ashr_i32 s4, s8, 31
	s_lshr_b32 s4, s4, 24
	s_add_i32 s4, s8, s4
	s_ashr_i32 s5, s11, 31
	s_ashr_i32 s4, s4, 8
	s_lshr_b32 s5, s5, 27
	s_add_i32 s5, s11, s5
	s_mul_i32 s7, s4, s6
	s_ashr_i32 s8, s5, 5
	s_mul_hi_i32 s11, s7, 0x54
	s_mulk_i32 s7, 0x54
	s_waitcnt lgkmcnt(0)
	s_add_u32 s0, s0, s7
	s_addc_u32 s1, s1, s11
	s_not_b32 s7, s6
	v_lshlrev_b32_e32 v0, 2, v57
	s_add_i32 s9, s9, s7
	v_and_b32_e32 v1, 60, v0
	buffer_store_dword v1, off, s[20:23], 0 offset:96 ; 4-byte Folded Spill
	v_min_i32_e32 v1, s9, v51
	v_mul_lo_u32 v2, v1, s4
	s_movk_i32 s11, 0x84
	v_add_u32_e32 v9, 8, v51
	v_add_u32_e32 v10, 16, v51
	buffer_store_dword v2, off, s[20:23], 0 offset:100 ; 4-byte Folded Spill
	v_mad_u64_u32 v[1:2], s[16:17], v1, s11, v[0:1]
	buffer_store_dword v1, off, s[20:23], 0 offset:104 ; 4-byte Folded Spill
	s_nop 0
	buffer_store_dword v2, off, s[20:23], 0 offset:108 ; 4-byte Folded Spill
	v_min_i32_e32 v1, s9, v9
	v_mul_lo_u32 v2, v1, s4
	v_add_u32_e32 v13, 24, v51
	v_add_u32_e32 v14, 32, v51
	;; [unrolled: 1-line block ×3, first 2 shown]
	buffer_store_dword v2, off, s[20:23], 0 offset:112 ; 4-byte Folded Spill
	v_mad_u64_u32 v[1:2], s[16:17], v1, s11, v[0:1]
	buffer_store_dword v1, off, s[20:23], 0 offset:116 ; 4-byte Folded Spill
	s_nop 0
	buffer_store_dword v2, off, s[20:23], 0 offset:120 ; 4-byte Folded Spill
	v_min_i32_e32 v1, s9, v10
	v_mul_lo_u32 v2, v1, s4
	v_add_u32_e32 v16, 48, v51
	v_add_u32_e32 v17, 56, v51
	v_lshlrev_b32_e32 v18, 4, v51
	buffer_store_dword v2, off, s[20:23], 0 offset:124 ; 4-byte Folded Spill
	v_mad_u64_u32 v[1:2], s[16:17], v1, s11, v[0:1]
	buffer_store_dword v1, off, s[20:23], 0 offset:128 ; 4-byte Folded Spill
	s_nop 0
	buffer_store_dword v2, off, s[20:23], 0 offset:132 ; 4-byte Folded Spill
	v_min_i32_e32 v1, s9, v13
	v_mul_lo_u32 v2, v1, s4
	v_and_b32_e32 v3, 1, v57
	v_and_b32_e32 v27, 28, v0
	v_add_u32_e32 v5, 8, v59
	buffer_store_dword v2, off, s[20:23], 0 offset:136 ; 4-byte Folded Spill
	v_mad_u64_u32 v[1:2], s[16:17], v1, s11, v[0:1]
	buffer_store_dword v1, off, s[20:23], 0 offset:140 ; 4-byte Folded Spill
	s_nop 0
	buffer_store_dword v2, off, s[20:23], 0 offset:144 ; 4-byte Folded Spill
	v_min_i32_e32 v1, s9, v14
	v_mul_lo_u32 v2, v1, s4
	v_cvt_f64_u32_e32 v[5:6], v5
	v_add_u32_e32 v7, 16, v59
	v_cvt_f64_u32_e32 v[7:8], v7
	buffer_store_dword v2, off, s[20:23], 0 offset:148 ; 4-byte Folded Spill
	v_mad_u64_u32 v[1:2], s[16:17], v1, s11, v[0:1]
	buffer_store_dword v1, off, s[20:23], 0 offset:152 ; 4-byte Folded Spill
	s_nop 0
	buffer_store_dword v2, off, s[20:23], 0 offset:156 ; 4-byte Folded Spill
	v_min_i32_e32 v1, s9, v15
	v_mul_lo_u32 v2, v1, s4
	v_lshlrev_b32_e32 v34, 7, v51
	s_movk_i32 s5, 0x54
	v_lshrrev_b32_e32 v105, 4, v57
	buffer_store_dword v2, off, s[20:23], 0 offset:160 ; 4-byte Folded Spill
	v_mad_u64_u32 v[1:2], s[16:17], v1, s11, v[0:1]
	buffer_store_dword v1, off, s[20:23], 0 offset:164 ; 4-byte Folded Spill
	s_nop 0
	buffer_store_dword v2, off, s[20:23], 0 offset:168 ; 4-byte Folded Spill
	v_min_i32_e32 v1, s9, v16
	v_mul_lo_u32 v2, v1, s4
	s_mov_b32 s7, 0
	v_mov_b32_e32 v53, 0
	v_mov_b32_e32 v94, 15
	buffer_store_dword v2, off, s[20:23], 0 offset:172 ; 4-byte Folded Spill
	v_mad_u64_u32 v[1:2], s[16:17], v1, s11, v[0:1]
	buffer_store_dword v1, off, s[20:23], 0 offset:176 ; 4-byte Folded Spill
	s_nop 0
	buffer_store_dword v2, off, s[20:23], 0 offset:180 ; 4-byte Folded Spill
	v_min_i32_e32 v1, s9, v17
	v_mul_lo_u32 v2, v1, s4
	v_mov_b32_e32 v103, 4
	v_mov_b32_e32 v77, 0
	v_mov_b32_e32 v56, 0
	buffer_store_dword v2, off, s[20:23], 0 offset:184 ; 4-byte Folded Spill
	v_mad_u64_u32 v[1:2], s[16:17], v1, s11, v[0:1]
	buffer_store_dword v1, off, s[20:23], 0 offset:188 ; 4-byte Folded Spill
	s_nop 0
	buffer_store_dword v2, off, s[20:23], 0 offset:192 ; 4-byte Folded Spill
	v_add_u32_e32 v1, 64, v51
	v_min_i32_e32 v1, s9, v1
	v_mul_lo_u32 v2, v1, s4
	v_mov_b32_e32 v50, 0
	v_mov_b32_e32 v46, 0
	v_mov_b32_e32 v42, 0
	buffer_store_dword v2, off, s[20:23], 0 offset:196 ; 4-byte Folded Spill
	v_mad_u64_u32 v[1:2], s[16:17], v1, s11, v[0:1]
	buffer_store_dword v1, off, s[20:23], 0 offset:200 ; 4-byte Folded Spill
	s_nop 0
	buffer_store_dword v2, off, s[20:23], 0 offset:204 ; 4-byte Folded Spill
	v_add_u32_e32 v1, 0x48, v51
	v_min_i32_e32 v1, s9, v1
	v_mul_lo_u32 v2, v1, s4
	v_mov_b32_e32 v38, 0
	v_mov_b32_e32 v91, 0
	v_mov_b32_e32 v71, 0
	buffer_store_dword v2, off, s[20:23], 0 offset:208 ; 4-byte Folded Spill
	v_mad_u64_u32 v[1:2], s[16:17], v1, s11, v[0:1]
	buffer_store_dword v1, off, s[20:23], 0 offset:212 ; 4-byte Folded Spill
	s_nop 0
	buffer_store_dword v2, off, s[20:23], 0 offset:216 ; 4-byte Folded Spill
	v_add_u32_e32 v1, 0x50, v51
	v_min_i32_e32 v1, s9, v1
	v_mul_lo_u32 v2, v1, s4
	v_mov_b32_e32 v55, 0
	v_mov_b32_e32 v49, 0
	v_mov_b32_e32 v45, 0
	buffer_store_dword v2, off, s[20:23], 0 offset:220 ; 4-byte Folded Spill
	v_mad_u64_u32 v[1:2], s[16:17], v1, s11, v[0:1]
	buffer_store_dword v1, off, s[20:23], 0 offset:224 ; 4-byte Folded Spill
	s_nop 0
	buffer_store_dword v2, off, s[20:23], 0 offset:228 ; 4-byte Folded Spill
	v_add_u32_e32 v1, 0x58, v51
	v_min_i32_e32 v1, s9, v1
	v_mul_lo_u32 v2, v1, s4
	v_mov_b32_e32 v41, 0
	v_mov_b32_e32 v37, 0
	v_mov_b32_e32 v89, 0
	buffer_store_dword v2, off, s[20:23], 0 offset:232 ; 4-byte Folded Spill
	v_mad_u64_u32 v[1:2], s[16:17], v1, s11, v[0:1]
	buffer_store_dword v1, off, s[20:23], 0 offset:236 ; 4-byte Folded Spill
	s_nop 0
	buffer_store_dword v2, off, s[20:23], 0 offset:240 ; 4-byte Folded Spill
	v_add_u32_e32 v1, 0x60, v51
	v_min_i32_e32 v1, s9, v1
	v_mul_lo_u32 v2, v1, s4
	v_mov_b32_e32 v64, 0
	v_mov_b32_e32 v54, 0
	v_mov_b32_e32 v48, 0
	buffer_store_dword v2, off, s[20:23], 0 offset:244 ; 4-byte Folded Spill
	v_mad_u64_u32 v[1:2], s[16:17], v1, s11, v[0:1]
	buffer_store_dword v1, off, s[20:23], 0 offset:248 ; 4-byte Folded Spill
	s_nop 0
	buffer_store_dword v2, off, s[20:23], 0 offset:252 ; 4-byte Folded Spill
	v_add_u32_e32 v1, 0x68, v51
	v_min_i32_e32 v1, s9, v1
	v_mul_lo_u32 v2, v1, s4
	v_mov_b32_e32 v44, 0
	v_mov_b32_e32 v40, 0
	v_mov_b32_e32 v85, 0
	buffer_store_dword v2, off, s[20:23], 0 offset:256 ; 4-byte Folded Spill
	v_mad_u64_u32 v[1:2], s[16:17], v1, s11, v[0:1]
	buffer_store_dword v1, off, s[20:23], 0 offset:260 ; 4-byte Folded Spill
	s_nop 0
	buffer_store_dword v2, off, s[20:23], 0 offset:264 ; 4-byte Folded Spill
	v_add_u32_e32 v1, 0x70, v51
	v_min_i32_e32 v1, s9, v1
	v_mul_lo_u32 v2, v1, s4
	v_mov_b32_e32 v58, 0
	v_mov_b32_e32 v52, 0
	v_mov_b32_e32 v47, 0
	buffer_store_dword v2, off, s[20:23], 0 offset:268 ; 4-byte Folded Spill
	v_mad_u64_u32 v[1:2], s[16:17], v1, s11, v[0:1]
	buffer_store_dword v1, off, s[20:23], 0 offset:272 ; 4-byte Folded Spill
	s_nop 0
	buffer_store_dword v2, off, s[20:23], 0 offset:276 ; 4-byte Folded Spill
	v_add_u32_e32 v1, 0x78, v51
	v_min_i32_e32 v1, s9, v1
	v_mul_lo_u32 v2, v1, s4
	v_mov_b32_e32 v43, 0
	v_mov_b32_e32 v39, 0
	buffer_store_dword v2, off, s[20:23], 0 offset:280 ; 4-byte Folded Spill
	v_mad_u64_u32 v[1:2], s[16:17], v1, s11, v[0:1]
	buffer_store_dword v1, off, s[20:23], 0 offset:284 ; 4-byte Folded Spill
	s_nop 0
	buffer_store_dword v2, off, s[20:23], 0 offset:288 ; 4-byte Folded Spill
	v_lshrrev_b32_e32 v1, 1, v57
	v_add_u32_e32 v1, v1, v18
	v_and_b32_e32 v1, 0x7f, v1
	v_min_i32_e32 v1, s9, v1
	v_mul_lo_u32 v2, v1, s4
	buffer_store_dword v3, off, s[20:23], 0 offset:292 ; 4-byte Folded Spill
	v_lshlrev_b32_e32 v3, 2, v3
	s_movk_i32 s11, 0x7280
	buffer_store_dword v2, off, s[20:23], 0 offset:296 ; 4-byte Folded Spill
	v_ashrrev_i32_e32 v2, 31, v1
	v_lshrrev_b32_e32 v2, 28, v2
	v_add_u32_e32 v2, v1, v2
	v_ashrrev_i32_e32 v2, 4, v2
	v_lshlrev_b32_e32 v2, 2, v2
	v_add3_u32 v19, v2, v3, s11
	v_and_b32_e32 v2, 7, v57
	v_cmp_lt_u32_e32 vcc, 3, v2
	v_lshlrev_b32_e32 v20, 3, v1
	v_lshrrev_b32_e32 v1, 3, v57
	v_cndmask_b32_e64 v3, 0, 1, vcc
	buffer_store_dword v1, off, s[20:23], 0 offset:300 ; 4-byte Folded Spill
	v_lshl_add_u32 v1, v51, 2, v1
	buffer_store_dword v3, off, s[20:23], 0 offset:304 ; 4-byte Folded Spill
	v_and_b32_e32 v3, 12, v0
	buffer_store_dword v3, off, s[20:23], 0 offset:308 ; 4-byte Folded Spill
	v_min_i32_e32 v3, s9, v1
	v_mul_lo_u32 v4, v3, s4
	v_lshlrev_b32_e32 v22, 5, v3
	v_lshlrev_b32_e32 v2, 2, v2
	s_movk_i32 s11, 0x6200
	buffer_store_dword v4, off, s[20:23], 0 offset:312 ; 4-byte Folded Spill
	v_ashrrev_i32_e32 v4, 31, v3
	v_lshrrev_b32_e32 v4, 30, v4
	v_add_u32_e32 v4, v3, v4
	v_add_u32_e32 v3, 32, v1
	v_and_b32_e32 v4, -4, v4
	v_min_i32_e32 v3, s9, v3
	v_add3_u32 v21, v4, v2, s11
	v_mul_lo_u32 v4, v3, s4
	v_lshlrev_b32_e32 v24, 5, v3
	v_mov_b32_e32 v0, 0x4200
	v_add_co_u32_e32 v35, vcc, s2, v27
	buffer_store_dword v4, off, s[20:23], 0 offset:316 ; 4-byte Folded Spill
	v_ashrrev_i32_e32 v4, 31, v3
	v_lshrrev_b32_e32 v4, 30, v4
	v_add_u32_e32 v4, v3, v4
	v_add_u32_e32 v3, 64, v1
	v_and_b32_e32 v4, -4, v4
	v_min_i32_e32 v3, s9, v3
	v_add3_u32 v23, v4, v2, s11
	v_mul_lo_u32 v4, v3, s4
	v_add_u32_e32 v1, 0x60, v1
	v_min_i32_e32 v1, s9, v1
	v_lshlrev_b32_e32 v26, 5, v3
	buffer_store_dword v4, off, s[20:23], 0 offset:320 ; 4-byte Folded Spill
	v_ashrrev_i32_e32 v4, 31, v3
	v_lshrrev_b32_e32 v4, 30, v4
	v_add_u32_e32 v4, v3, v4
	v_mul_lo_u32 v3, v1, s4
	v_and_b32_e32 v4, -4, v4
	s_add_i32 s9, s10, -1
	v_add3_u32 v25, v4, v2, s11
	buffer_store_dword v3, off, s[20:23], 0 offset:324 ; 4-byte Folded Spill
	v_ashrrev_i32_e32 v3, 31, v1
	v_lshrrev_b32_e32 v3, 30, v3
	v_add_u32_e32 v3, v1, v3
	v_and_b32_e32 v3, -4, v3
	v_add3_u32 v28, v3, v2, s11
	v_and_b32_e32 v3, 31, v57
	v_lshlrev_b32_e32 v29, 5, v1
	v_cvt_f64_i32_e32 v[1:2], s9
	v_lshl_or_b32 v33, v3, 2, v0
	v_cvt_f64_u32_e32 v[3:4], v59
	v_lshrrev_b32_e32 v0, 2, v57
	v_lshl_add_u32 v0, v51, 3, v0
	v_min_f64 v[5:6], v[5:6], v[1:2]
	v_min_f64 v[3:4], v[3:4], v[1:2]
	v_and_b32_e32 v11, 63, v0
	v_or_b32_e32 v12, s15, v11
	v_and_b32_e32 v0, 3, v57
	v_min_i32_e32 v12, s9, v12
	v_min_f64 v[7:8], v[7:8], v[1:2]
	v_mad_u64_u32 v[30:31], s[16:17], v12, s8, v[0:1]
	v_cvt_i32_f64_e32 v3, v[3:4]
	v_lshlrev_b32_e32 v0, 2, v0
	v_lshl_or_b32 v0, v11, 4, v0
	v_add_u32_e32 v0, 0x76a0, v0
	buffer_store_dword v30, off, s[20:23], 0 offset:332 ; 4-byte Folded Spill
	s_nop 0
	buffer_store_dword v31, off, s[20:23], 0 offset:336 ; 4-byte Folded Spill
	buffer_store_dword v0, off, s[20:23], 0 offset:4 ; 4-byte Folded Spill
	v_cvt_i32_f64_e32 v0, v[5:6]
	v_mul_lo_u32 v3, s8, v3
	v_lshlrev_b32_e32 v30, 7, v9
	v_lshlrev_b32_e32 v31, 7, v10
	v_mul_lo_u32 v0, s8, v0
	buffer_store_dword v3, off, s[20:23], 0 offset:8 ; 4-byte Folded Spill
	v_cvt_i32_f64_e32 v3, v[7:8]
	buffer_store_dword v51, off, s[20:23], 0 offset:420 ; 4-byte Folded Spill
	buffer_store_dword v0, off, s[20:23], 0 offset:12 ; 4-byte Folded Spill
	;; [unrolled: 1-line block ×3, first 2 shown]
	v_mul_lo_u32 v0, s8, v3
	buffer_store_dword v0, off, s[20:23], 0 offset:16 ; 4-byte Folded Spill
	v_add_u32_e32 v0, 24, v59
	v_cvt_f64_u32_e32 v[3:4], v0
	v_add_u32_e32 v0, 32, v59
	v_cvt_f64_u32_e32 v[5:6], v0
	v_add_u32_e32 v0, 40, v59
	v_min_f64 v[3:4], v[3:4], v[1:2]
	v_cvt_f64_u32_e32 v[7:8], v0
	v_add_u32_e32 v0, 48, v59
	v_cvt_f64_u32_e32 v[9:10], v0
	v_add_u32_e32 v0, 56, v59
	v_min_f64 v[5:6], v[5:6], v[1:2]
	v_cvt_f64_u32_e32 v[11:12], v0
	v_min_f64 v[7:8], v[7:8], v[1:2]
	v_cvt_i32_f64_e32 v32, v[3:4]
	v_min_f64 v[3:4], v[9:10], v[1:2]
	v_min_f64 v[0:1], v[11:12], v[1:2]
	v_add_u32_e32 v11, 64, v57
	v_mul_lo_u32 v2, s8, v32
	v_cvt_i32_f64_e32 v5, v[5:6]
	v_lshlrev_b32_e32 v12, 1, v11
	v_cvt_i32_f64_e32 v6, v[7:8]
	v_add_u32_e32 v7, 32, v57
	v_mul_lo_u32 v5, s8, v5
	v_cvt_i32_f64_e32 v3, v[3:4]
	v_cvt_i32_f64_e32 v0, v[0:1]
	v_mul_lo_u32 v4, s8, v6
	v_lshrrev_b32_e32 v10, 3, v7
	buffer_store_dword v5, off, s[20:23], 0 offset:24 ; 4-byte Folded Spill
	v_lshlrev_b32_e32 v5, 7, v14
	v_mul_lo_u32 v3, s8, v3
	v_mul_lo_u32 v0, s8, v0
	v_add_u32_e32 v14, 0x60, v57
	buffer_store_dword v10, off, s[20:23], 0 offset:344 ; 4-byte Folded Spill
	v_lshrrev_b32_e32 v10, 3, v11
	buffer_store_dword v10, off, s[20:23], 0 offset:412 ; 4-byte Folded Spill
	v_lshrrev_b32_e32 v10, 3, v14
	buffer_store_dword v4, off, s[20:23], 0 offset:28 ; 4-byte Folded Spill
	v_mul_u32_u24_e32 v4, 33, v57
	buffer_store_dword v10, off, s[20:23], 0 offset:416 ; 4-byte Folded Spill
	v_mov_b32_e32 v10, s3
	v_addc_co_u32_e32 v36, vcc, 0, v10, vcc
	v_lshlrev_b32_e32 v4, 2, v4
	buffer_store_dword v2, off, s[20:23], 0 offset:20 ; 4-byte Folded Spill
	buffer_store_dword v3, off, s[20:23], 0 offset:32 ; 4-byte Folded Spill
	;; [unrolled: 1-line block ×4, first 2 shown]
	s_nop 0
	buffer_store_dword v36, off, s[20:23], 0 offset:44 ; 4-byte Folded Spill
	buffer_store_dword v4, off, s[20:23], 0 offset:348 ; 4-byte Folded Spill
	v_add_u32_e32 v4, 0x76a0, v18
	buffer_store_dword v4, off, s[20:23], 0 offset:48 ; 4-byte Folded Spill
	buffer_store_dword v34, off, s[20:23], 0 offset:340 ; 4-byte Folded Spill
	v_add_u32_e32 v4, 0x4200, v34
	v_lshlrev_b32_e32 v8, 1, v7
	v_lshrrev_b32_e32 v9, 4, v7
	buffer_store_dword v4, off, s[20:23], 0 offset:52 ; 4-byte Folded Spill
	v_lshlrev_b32_e32 v4, 5, v57
	v_and_b32_e32 v7, 0x1fc, v7
	v_add_u32_e32 v7, v4, v7
	buffer_store_dword v7, off, s[20:23], 0 offset:356 ; 4-byte Folded Spill
	v_and_b32_e32 v7, 0x1fc, v11
	v_add_u32_e32 v7, v4, v7
	v_and_b32_e32 v10, 0xfc, v57
	buffer_store_dword v7, off, s[20:23], 0 offset:360 ; 4-byte Folded Spill
	v_and_b32_e32 v7, 0x1fc, v14
	v_add_u32_e32 v10, v4, v10
	v_add_u32_e32 v4, v4, v7
	buffer_store_dword v4, off, s[20:23], 0 offset:364 ; 4-byte Folded Spill
	v_add_u32_e32 v4, v19, v20
	buffer_store_dword v4, off, s[20:23], 0 offset:368 ; 4-byte Folded Spill
	v_add_u32_e32 v4, v21, v22
	buffer_store_dword v4, off, s[20:23], 0 offset:372 ; 4-byte Folded Spill
	v_add_u32_e32 v4, v23, v24
	buffer_store_dword v4, off, s[20:23], 0 offset:376 ; 4-byte Folded Spill
	v_add_u32_e32 v4, v25, v26
	v_lshlrev_b32_e32 v2, 7, v13
	v_lshlrev_b32_e32 v1, 7, v15
	buffer_store_dword v4, off, s[20:23], 0 offset:380 ; 4-byte Folded Spill
	v_add_u32_e32 v4, v28, v29
	v_lshlrev_b32_e32 v3, 7, v16
	buffer_store_dword v4, off, s[20:23], 0 offset:384 ; 4-byte Folded Spill
	v_add_u32_e32 v4, v33, v30
	v_add_u32_e32 v2, v33, v2
	;; [unrolled: 1-line block ×3, first 2 shown]
	buffer_store_dword v4, off, s[20:23], 0 offset:56 ; 4-byte Folded Spill
	v_add_u32_e32 v4, v33, v31
	buffer_store_dword v2, off, s[20:23], 0 offset:64 ; 4-byte Folded Spill
	v_add_u32_e32 v2, v33, v5
	buffer_store_dword v1, off, s[20:23], 0 offset:72 ; 4-byte Folded Spill
	v_add_u32_e32 v1, v33, v3
	buffer_store_dword v57, off, s[20:23], 0 offset:424 ; 4-byte Folded Spill
	buffer_store_dword v10, off, s[20:23], 0 offset:352 ; 4-byte Folded Spill
	;; [unrolled: 1-line block ×6, first 2 shown]
	buffer_load_dword v10, off, s[20:23], 0 offset:352 ; 4-byte Folded Reload
	v_lshlrev_b32_e32 v0, 7, v17
	v_lshlrev_b32_e32 v6, 1, v57
	v_add_u32_e32 v0, v33, v0
	buffer_store_dword v0, off, s[20:23], 0 offset:80 ; 4-byte Folded Spill
	v_lshlrev_b32_e32 v0, 2, v6
	buffer_store_dword v0, off, s[20:23], 0 offset:388 ; 4-byte Folded Spill
	v_lshlrev_b32_e32 v0, 2, v9
	v_lshrrev_b32_e32 v13, 4, v11
	buffer_store_dword v0, off, s[20:23], 0 offset:392 ; 4-byte Folded Spill
	v_lshlrev_b32_e32 v0, 2, v8
	buffer_store_dword v0, off, s[20:23], 0 offset:396 ; 4-byte Folded Spill
	v_lshlrev_b32_e32 v0, 2, v13
	v_lshrrev_b32_e32 v16, 4, v14
	buffer_store_dword v0, off, s[20:23], 0 offset:400 ; 4-byte Folded Spill
	v_lshlrev_b32_e32 v0, 2, v12
	v_lshlrev_b32_e32 v15, 1, v14
	buffer_store_dword v0, off, s[20:23], 0 offset:404 ; 4-byte Folded Spill
	v_lshlrev_b32_e32 v0, 2, v16
	s_mov_b32 s8, 0x1010101
	buffer_store_dword v0, off, s[20:23], 0 offset:408 ; 4-byte Folded Spill
	v_lshlrev_b32_e32 v0, 2, v15
	v_mov_b32_e32 v34, 0
	v_mov_b32_e32 v33, 0
	;; [unrolled: 1-line block ×6, first 2 shown]
	buffer_store_dword v0, off, s[20:23], 0 ; 4-byte Folded Spill
	buffer_store_dword v105, off, s[20:23], 0 offset:92 ; 4-byte Folded Spill
	s_branch .LBB168_6
.LBB168_5:                              ;   in Loop: Header=BB168_6 Depth=1
	buffer_load_dword v105, off, s[20:23], 0 offset:92 ; 4-byte Folded Reload
	s_add_i32 s7, s7, 2
	s_cmp_ge_i32 s7, s4
	s_cbranch_scc1 .LBB168_16
.LBB168_6:                              ; =>This Loop Header: Depth=1
                                        ;     Child Loop BB168_7 Depth 2
                                        ;     Child Loop BB168_9 Depth 2
	;; [unrolled: 1-line block ×4, first 2 shown]
	buffer_load_dword v0, off, s[20:23], 0 offset:100 ; 4-byte Folded Reload
	buffer_load_dword v6, off, s[20:23], 0 offset:96 ; 4-byte Folded Reload
	s_mul_i32 s11, s7, 0x54
	s_mul_hi_u32 s9, s7, 0x54
	s_add_u32 s16, s0, s11
	s_addc_u32 s17, s1, s9
	v_mov_b32_e32 v2, s16
	v_mov_b32_e32 v3, s17
	s_waitcnt vmcnt(2)
	v_mad_u64_u32 v[4:5], s[16:17], v105, s5, v[2:3]
	s_lshl_b32 s9, s7, 3
	s_mov_b32 s11, 0
	s_waitcnt vmcnt(1)
	v_mad_i64_i32 v[0:1], s[16:17], v0, s5, v[4:5]
	s_waitcnt vmcnt(0)
	v_add_co_u32_e32 v0, vcc, v0, v6
	v_addc_co_u32_e32 v1, vcc, 0, v1, vcc
	global_load_dword v0, v[0:1], off offset:16
	s_nop 0
	buffer_load_dword v7, off, s[20:23], 0 offset:104 ; 4-byte Folded Reload
	buffer_load_dword v8, off, s[20:23], 0 offset:108 ; 4-byte Folded Reload
	s_waitcnt vmcnt(1)
	ds_write_b32 v7, v0
	buffer_load_dword v0, off, s[20:23], 0 offset:112 ; 4-byte Folded Reload
	s_waitcnt vmcnt(0)
	v_mad_i64_i32 v[0:1], s[16:17], v0, s5, v[4:5]
	v_add_co_u32_e32 v0, vcc, v0, v6
	v_addc_co_u32_e32 v1, vcc, 0, v1, vcc
	global_load_dword v0, v[0:1], off offset:16
	s_nop 0
	buffer_load_dword v7, off, s[20:23], 0 offset:116 ; 4-byte Folded Reload
	buffer_load_dword v8, off, s[20:23], 0 offset:120 ; 4-byte Folded Reload
	s_waitcnt vmcnt(1)
	ds_write_b32 v7, v0
	buffer_load_dword v0, off, s[20:23], 0 offset:124 ; 4-byte Folded Reload
	s_waitcnt vmcnt(0)
	v_mad_i64_i32 v[0:1], s[16:17], v0, s5, v[4:5]
	;; [unrolled: 11-line block ×15, first 2 shown]
	v_add_co_u32_e32 v0, vcc, v0, v6
	v_addc_co_u32_e32 v1, vcc, 0, v1, vcc
	global_load_dword v0, v[0:1], off offset:16
	s_nop 0
	buffer_load_dword v4, off, s[20:23], 0 offset:284 ; 4-byte Folded Reload
	buffer_load_dword v5, off, s[20:23], 0 offset:288 ; 4-byte Folded Reload
	s_waitcnt vmcnt(1)
	ds_write_b32 v4, v0
	buffer_load_dword v0, off, s[20:23], 0 offset:296 ; 4-byte Folded Reload
	buffer_load_dword v4, off, s[20:23], 0 offset:292 ; 4-byte Folded Reload
	s_waitcnt vmcnt(1)
	v_mad_i64_i32 v[0:1], s[16:17], v0, s5, v[2:3]
	s_waitcnt vmcnt(0)
	v_mad_u64_u32 v[0:1], s[16:17], v4, s5, v[0:1]
	global_load_dword v0, v[0:1], off offset:80
	s_nop 0
	buffer_load_dword v1, off, s[20:23], 0 offset:368 ; 4-byte Folded Reload
	s_waitcnt vmcnt(0)
	ds_write_b32 v1, v0
	buffer_load_dword v0, off, s[20:23], 0 offset:304 ; 4-byte Folded Reload
	s_waitcnt vmcnt(0)
	v_mad_u64_u32 v[0:1], s[16:17], v0, s5, v[2:3]
	buffer_load_dword v2, off, s[20:23], 0 offset:308 ; 4-byte Folded Reload
	s_waitcnt vmcnt(0)
	v_add_co_u32_e32 v0, vcc, v0, v2
	buffer_load_dword v2, off, s[20:23], 0 offset:312 ; 4-byte Folded Reload
	v_addc_co_u32_e32 v1, vcc, 0, v1, vcc
	s_waitcnt vmcnt(0)
	v_mad_i64_i32 v[2:3], s[16:17], v2, s5, v[0:1]
	global_load_dword v2, v[2:3], off
	s_nop 0
	buffer_load_dword v3, off, s[20:23], 0 offset:372 ; 4-byte Folded Reload
	s_waitcnt vmcnt(0)
	ds_write_b32 v3, v2
	buffer_load_dword v2, off, s[20:23], 0 offset:316 ; 4-byte Folded Reload
	s_waitcnt vmcnt(0)
	v_mad_i64_i32 v[2:3], s[16:17], v2, s5, v[0:1]
	global_load_dword v2, v[2:3], off
	s_nop 0
	buffer_load_dword v3, off, s[20:23], 0 offset:376 ; 4-byte Folded Reload
	s_waitcnt vmcnt(0)
	ds_write_b32 v3, v2
	buffer_load_dword v2, off, s[20:23], 0 offset:320 ; 4-byte Folded Reload
	;; [unrolled: 8-line block ×4, first 2 shown]
	buffer_load_dword v1, off, s[20:23], 0 offset:336 ; 4-byte Folded Reload
	s_waitcnt vmcnt(1)
	v_add_u32_e32 v6, s9, v0
	buffer_load_dword v0, off, s[20:23], 0 offset:300 ; 4-byte Folded Reload
	s_waitcnt vmcnt(0)
	v_add_u32_e32 v2, s9, v0
	buffer_load_dword v0, off, s[20:23], 0 offset:8 ; 4-byte Folded Reload
	buffer_load_dword v4, off, s[20:23], 0 offset:40 ; 4-byte Folded Reload
	;; [unrolled: 1-line block ×3, first 2 shown]
	s_waitcnt vmcnt(2)
	v_add_u32_e32 v0, v2, v0
	s_waitcnt vmcnt(0)
	v_mad_i64_i32 v[0:1], s[16:17], v0, 36, v[4:5]
	global_load_dword v0, v[0:1], off offset:4
	s_nop 0
	buffer_load_dword v1, off, s[20:23], 0 offset:328 ; 4-byte Folded Reload
	buffer_load_dword v3, off, s[20:23], 0 offset:340 ; 4-byte Folded Reload
	s_waitcnt vmcnt(0)
	v_add_u32_e32 v1, v1, v3
	ds_write_b32 v1, v0
	buffer_load_dword v0, off, s[20:23], 0 offset:12 ; 4-byte Folded Reload
	s_waitcnt vmcnt(0)
	v_add_u32_e32 v0, v2, v0
	buffer_store_dword v1, off, s[20:23], 0 offset:88 ; 4-byte Folded Spill
	v_mad_i64_i32 v[0:1], s[16:17], v0, 36, v[4:5]
	buffer_store_dword v6, off, s[20:23], 0 offset:84 ; 4-byte Folded Spill
	global_load_dword v0, v[0:1], off offset:4
	s_nop 0
	buffer_load_dword v1, off, s[20:23], 0 offset:56 ; 4-byte Folded Reload
	s_waitcnt vmcnt(0)
	ds_write_b32 v1, v0
	buffer_load_dword v0, off, s[20:23], 0 offset:16 ; 4-byte Folded Reload
	s_waitcnt vmcnt(0)
	v_add_u32_e32 v0, v2, v0
	v_mad_i64_i32 v[0:1], s[16:17], v0, 36, v[4:5]
	global_load_dword v0, v[0:1], off offset:4
	s_nop 0
	buffer_load_dword v1, off, s[20:23], 0 offset:60 ; 4-byte Folded Reload
	s_waitcnt vmcnt(0)
	ds_write_b32 v1, v0
	buffer_load_dword v0, off, s[20:23], 0 offset:20 ; 4-byte Folded Reload
	s_waitcnt vmcnt(0)
	v_add_u32_e32 v0, v2, v0
	v_mad_i64_i32 v[0:1], s[16:17], v0, 36, v[4:5]
	;; [unrolled: 9-line block ×6, first 2 shown]
	global_load_dword v0, v[0:1], off offset:4
	s_nop 0
	buffer_load_dword v1, off, s[20:23], 0 offset:80 ; 4-byte Folded Reload
	s_waitcnt vmcnt(0)
	ds_write_b32 v1, v0
	v_mad_u64_u32 v[0:1], s[16:17], v6, 36, s[2:3]
	global_load_dword v0, v[0:1], off
	s_nop 0
	buffer_load_dword v1, off, s[20:23], 0 offset:4 ; 4-byte Folded Reload
	s_waitcnt vmcnt(1)
	v_cvt_f32_f16_e32 v0, v0
	s_waitcnt vmcnt(0)
	ds_write_b32 v1, v0
	s_waitcnt lgkmcnt(0)
	s_barrier
	buffer_load_dword v107, off, s[20:23], 0 offset:52 ; 4-byte Folded Reload
	buffer_load_dword v106, off, s[20:23], 0 offset:48 ; 4-byte Folded Reload
	;; [unrolled: 1-line block ×12, first 2 shown]
.LBB168_7:                              ;   Parent Loop BB168_6 Depth=1
                                        ; =>  This Inner Loop Header: Depth=2
	s_and_b32 s17, s11, 0x3ffffff8
	s_waitcnt vmcnt(9)
	v_lshl_add_u32 v28, s17, 2, v59
	ds_read2_b32 v[29:30], v106 offset1:32
	ds_read_b128 v[6:9], v107
	ds_read_b128 v[2:5], v107 offset:16
	ds_read2_b32 v[0:1], v28 offset1:1
	s_lshr_b32 s17, s11, 2
	s_and_b32 s17, s17, 0x3ffffffc
	s_addk_i32 s17, 0x7280
	v_lshlrev_b32_e32 v104, 2, v105
	s_waitcnt lgkmcnt(0)
	v_ashrrev_i32_e32 v0, s11, v0
	v_and_b32_e32 v78, 0x3030303, v0
	v_ashrrev_i32_e32 v0, s11, v1
	v_and_b32_e32 v24, 0x3030303, v0
	ds_read2_b32 v[0:1], v28 offset0:2 offset1:3
	v_add_u32_e32 v12, 0x1080, v28
	s_and_b32 s16, s11, -16
	s_add_i32 s16, s11, s16
	ds_read2_b32 v[12:13], v12 offset1:1
	s_waitcnt lgkmcnt(1)
	v_ashrrev_i32_e32 v0, s11, v0
	v_and_b32_e32 v21, 0x3030303, v0
	v_ashrrev_i32_e32 v0, s11, v1
	v_and_b32_e32 v74, 0x3030303, v0
	ds_read2_b32 v[0:1], v28 offset0:4 offset1:5
	s_waitcnt lgkmcnt(1)
	v_ashrrev_i32_e32 v12, s11, v12
	v_and_b32_e32 v26, 0x3030303, v12
	v_ashrrev_i32_e32 v12, s11, v13
	v_and_b32_e32 v80, 0x3030303, v12
	s_waitcnt lgkmcnt(0)
	v_ashrrev_i32_e32 v0, s11, v0
	v_and_b32_e32 v22, 0x3030303, v0
	v_ashrrev_i32_e32 v0, s11, v1
	v_and_b32_e32 v75, 0x3030303, v0
	ds_read2_b32 v[0:1], v28 offset0:6 offset1:7
	v_add_u32_e32 v12, 0x1088, v28
	ds_read2_b32 v[12:13], v12 offset1:1
	s_waitcnt lgkmcnt(1)
	v_ashrrev_i32_e32 v0, s11, v0
	v_and_b32_e32 v23, 0x3030303, v0
	v_ashrrev_i32_e32 v0, s11, v1
	s_waitcnt vmcnt(5)
	v_add3_u32 v1, s17, v104, v125
	ds_read_b32 v25, v1
	v_and_b32_e32 v76, 0x3030303, v0
	v_add_u32_e32 v0, 0x6200, v10
	v_add_u32_e32 v0, s16, v0
	s_waitcnt lgkmcnt(1)
	v_ashrrev_i32_e32 v12, s11, v12
	v_and_b32_e32 v82, 0x3030303, v12
	v_ashrrev_i32_e32 v12, s11, v13
	v_and_b32_e32 v83, 0x3030303, v12
	v_add_u32_e32 v12, 0x1090, v28
	ds_read2_b32 v[12:13], v12 offset1:1
	v_dot4_i32_i8 v1, v78, v6, 0
	v_dot4_i32_i8 v1, v24, v7, v1
	v_dot4_i32_i8 v1, v21, v8, v1
	v_dot4_i32_i8 v11, v74, v9, v1
	s_waitcnt lgkmcnt(0)
	v_ashrrev_i32_e32 v12, s11, v12
	v_and_b32_e32 v84, 0x3030303, v12
	v_ashrrev_i32_e32 v12, s11, v13
	v_and_b32_e32 v86, 0x3030303, v12
	v_add_u32_e32 v12, 0x1098, v28
	ds_read2_b32 v[12:13], v12 offset1:1
	v_dot4_i32_i8 v1, v22, v2, 0
	v_dot4_i32_i8 v1, v75, v3, v1
	;; [unrolled: 1-line block ×4, first 2 shown]
	s_waitcnt lgkmcnt(0)
	v_ashrrev_i32_e32 v12, s11, v12
	v_and_b32_e32 v87, 0x3030303, v12
	v_ashrrev_i32_e32 v12, s11, v13
	v_and_b32_e32 v88, 0x3030303, v12
	v_add_u32_e32 v12, 0x6600, v57
	v_add_u32_e32 v90, s16, v12
	s_waitcnt vmcnt(3)
	v_add3_u32 v12, s17, v126, v127
	ds_read_b32 v102, v12
	v_dot4_i32_i8 v12, v26, v6, 0
	v_dot4_i32_i8 v12, v80, v7, v12
	;; [unrolled: 1-line block ×8, first 2 shown]
	v_add_u32_e32 v12, 0x2100, v28
	ds_read2_b32 v[12:13], v12 offset1:1
	s_waitcnt lgkmcnt(0)
	v_ashrrev_i32_e32 v12, s11, v12
	v_and_b32_e32 v72, 0x3030303, v12
	v_ashrrev_i32_e32 v12, s11, v13
	v_and_b32_e32 v70, 0x3030303, v12
	v_add_u32_e32 v12, 0x2108, v28
	ds_read2_b32 v[12:13], v12 offset1:1
	s_waitcnt lgkmcnt(0)
	v_ashrrev_i32_e32 v12, s11, v12
	v_and_b32_e32 v19, 0x3030303, v12
	v_ashrrev_i32_e32 v12, s11, v13
	v_and_b32_e32 v20, 0x3030303, v12
	;; [unrolled: 7-line block ×4, first 2 shown]
	v_add_u32_e32 v12, 0x6a00, v27
	v_add_u32_e32 v114, s16, v12
	s_waitcnt vmcnt(1)
	v_add3_u32 v12, s17, v51, v79
	ds_read_b32 v73, v12
	v_dot4_i32_i8 v12, v72, v6, 0
	v_dot4_i32_i8 v12, v70, v7, v12
	;; [unrolled: 1-line block ×8, first 2 shown]
	v_add_u32_e32 v12, 0x3180, v28
	ds_read2_b32 v[12:13], v12 offset1:1
	s_waitcnt lgkmcnt(0)
	v_ashrrev_i32_e32 v12, s11, v12
	v_and_b32_e32 v18, 0x3030303, v12
	v_ashrrev_i32_e32 v12, s11, v13
	v_and_b32_e32 v17, 0x3030303, v12
	v_add_u32_e32 v12, 0x3188, v28
	ds_read2_b32 v[12:13], v12 offset1:1
	s_waitcnt lgkmcnt(0)
	v_ashrrev_i32_e32 v12, s11, v12
	v_and_b32_e32 v16, 0x3030303, v12
	v_ashrrev_i32_e32 v12, s11, v13
	v_and_b32_e32 v15, 0x3030303, v12
	;; [unrolled: 7-line block ×3, first 2 shown]
	v_add_u32_e32 v12, 0x3198, v28
	v_add_u32_e32 v28, 0x6e00, v124
	;; [unrolled: 1-line block ×3, first 2 shown]
	buffer_load_dword v28, off, s[20:23], 0 ; 4-byte Folded Reload
	ds_read2_b32 v[92:93], v12 offset1:1
	s_waitcnt vmcnt(0)
	v_add3_u32 v28, s17, v81, v28
	ds_read_b32 v61, v28
	ds_read_b128 v[120:123], v107 offset:1024
	ds_read_b128 v[108:111], v107 offset:1040
	s_waitcnt lgkmcnt(3)
	v_ashrrev_i32_e32 v12, s11, v92
	v_and_b32_e32 v13, 0x3030303, v12
	v_ashrrev_i32_e32 v12, s11, v93
	ds_read_u16 v93, v0
	ds_read_u16 v90, v90
	s_waitcnt lgkmcnt(2)
	v_dot4_i32_i8 v92, v22, v108, 0
	v_dot4_i32_i8 v92, v75, v109, v92
	;; [unrolled: 1-line block ×3, first 2 shown]
	s_waitcnt lgkmcnt(1)
	v_bfe_u32 v0, v93, 4, 4
	v_dot4_i32_i8 v98, v76, v111, v92
	v_mul_lo_u32 v92, v0, s8
	v_and_b32_e32 v95, 15, v93
	v_and_b32_e32 v95, 0xffff, v95
	v_mul_lo_u32 v11, v95, v11
	v_dot4_i32_i8 v0, v92, v6, 0
	v_dot4_i32_i8 v0, v92, v7, v0
	;; [unrolled: 1-line block ×4, first 2 shown]
	v_and_b32_sdwa v0, v93, v94 dst_sel:DWORD dst_unused:UNUSED_PAD src0_sel:BYTE_1 src1_sel:DWORD
	v_lshrrev_b32_sdwa v93, v103, v93 dst_sel:DWORD dst_unused:UNUSED_PAD src0_sel:DWORD src1_sel:BYTE_1
	v_mul_lo_u32 v93, v93, s8
	v_dot4_i32_i8 v28, v18, v6, 0
	v_dot4_i32_i8 v28, v17, v7, v28
	v_and_b32_e32 v12, 0x3030303, v12
	v_dot4_i32_i8 v96, v93, v2, v96
	v_dot4_i32_i8 v96, v93, v3, v96
	;; [unrolled: 1-line block ×3, first 2 shown]
	v_and_b32_e32 v0, 0xffff, v0
	v_dot4_i32_i8 v96, v93, v4, v96
	v_dot4_i32_i8 v118, v15, v9, v28
	;; [unrolled: 1-line block ×4, first 2 shown]
	v_mad_u64_u32 v[96:97], s[16:17], v0, v1, v[11:12]
	v_dot4_i32_i8 v1, v92, v120, 0
	v_dot4_i32_i8 v28, v62, v3, v28
	;; [unrolled: 1-line block ×15, first 2 shown]
	v_mul_lo_u32 v1, v28, v95
	v_cvt_f32_i32_e32 v11, v96
	v_cvt_f32_i32_e32 v99, v99
	v_cvt_f32_f16_sdwa v96, v25 dst_sel:DWORD dst_unused:UNUSED_PAD src0_sel:WORD_1
	v_mad_u64_u32 v[97:98], s[16:17], v98, v0, v[1:2]
	v_mul_f32_e32 v1, v96, v99
	v_fma_mix_f32 v1, v25, v11, -v1 op_sel_hi:[1,0,0]
	v_cvt_f32_i32_e32 v11, v100
	v_fmac_f32_e32 v53, v29, v1
	v_cvt_f32_i32_e32 v1, v97
	s_waitcnt lgkmcnt(0)
	v_and_b32_sdwa v97, v90, v94 dst_sel:DWORD dst_unused:UNUSED_PAD src0_sel:BYTE_1 src1_sel:DWORD
	v_mul_f32_e32 v11, v96, v11
	v_and_b32_e32 v97, 0xffff, v97
	v_fma_mix_f32 v1, v25, v1, -v11 op_sel_hi:[1,0,0]
	v_fmac_f32_e32 v77, v30, v1
	v_dot4_i32_i8 v1, v26, v120, 0
	v_dot4_i32_i8 v1, v80, v121, v1
	;; [unrolled: 1-line block ×8, first 2 shown]
	v_bfe_u32 v1, v90, 4, 4
	v_mul_lo_u32 v98, v1, s8
	v_dot4_i32_i8 v1, v98, v6, 0
	v_dot4_i32_i8 v1, v98, v7, v1
	;; [unrolled: 1-line block ×4, first 2 shown]
	v_and_b32_e32 v1, 15, v90
	v_and_b32_e32 v100, 0xffff, v1
	v_mul_lo_u32 v1, v100, v65
	v_lshrrev_b32_sdwa v65, v103, v90 dst_sel:DWORD dst_unused:UNUSED_PAD src0_sel:DWORD src1_sel:BYTE_1
	v_mul_lo_u32 v99, v65, s8
	v_mad_u64_u32 v[115:116], s[16:17], v97, v14, v[1:2]
	v_dot4_i32_i8 v1, v98, v120, 0
	v_dot4_i32_i8 v1, v98, v121, v1
	v_dot4_i32_i8 v1, v98, v122, v1
	v_dot4_i32_i8 v1, v98, v123, v1
	v_dot4_i32_i8 v1, v99, v108, v1
	v_dot4_i32_i8 v65, v99, v2, v101
	v_dot4_i32_i8 v1, v99, v109, v1
	v_dot4_i32_i8 v65, v99, v3, v65
	v_dot4_i32_i8 v1, v99, v110, v1
	v_dot4_i32_i8 v65, v99, v4, v65
	v_dot4_i32_i8 v90, v99, v111, v1
	v_mul_lo_u32 v1, v11, v100
	v_dot4_i32_i8 v65, v99, v5, v65
	v_cvt_f32_i32_e32 v65, v65
	v_cvt_f32_f16_sdwa v101, v102 dst_sel:DWORD dst_unused:UNUSED_PAD src0_sel:WORD_1
	v_cvt_f32_i32_e32 v14, v115
	v_mad_u64_u32 v[115:116], s[16:17], v28, v97, v[1:2]
	v_mul_f32_e32 v1, v101, v65
	v_fma_mix_f32 v1, v102, v14, -v1 op_sel_hi:[1,0,0]
	v_cvt_f32_i32_e32 v11, v90
	v_fmac_f32_e32 v91, v29, v1
	v_cvt_f32_i32_e32 v1, v115
	ds_read_u16 v28, v114
	v_mul_f32_e32 v11, v101, v11
	v_fma_mix_f32 v1, v102, v1, -v11 op_sel_hi:[1,0,0]
	v_fmac_f32_e32 v71, v30, v1
	v_dot4_i32_i8 v1, v72, v120, 0
	v_dot4_i32_i8 v1, v70, v121, v1
	;; [unrolled: 1-line block ×8, first 2 shown]
	s_waitcnt lgkmcnt(0)
	v_bfe_u32 v1, v28, 4, 4
	v_mul_lo_u32 v115, v1, s8
	v_and_b32_sdwa v90, v28, v94 dst_sel:DWORD dst_unused:UNUSED_PAD src0_sel:BYTE_1 src1_sel:DWORD
	v_and_b32_e32 v114, 0xffff, v90
	v_dot4_i32_i8 v1, v115, v6, 0
	v_dot4_i32_i8 v1, v115, v7, v1
	v_dot4_i32_i8 v1, v115, v8, v1
	v_dot4_i32_i8 v65, v115, v9, v1
	v_and_b32_e32 v1, 15, v28
	v_and_b32_e32 v90, 0xffff, v1
	v_mul_lo_u32 v1, v90, v113
	v_lshrrev_b32_sdwa v28, v103, v28 dst_sel:DWORD dst_unused:UNUSED_PAD src0_sel:DWORD src1_sel:BYTE_1
	v_mul_lo_u32 v116, v28, s8
	v_mad_u64_u32 v[112:113], s[16:17], v114, v112, v[1:2]
	v_dot4_i32_i8 v1, v115, v120, 0
	v_dot4_i32_i8 v1, v115, v121, v1
	;; [unrolled: 1-line block ×9, first 2 shown]
	v_mul_lo_u32 v1, v11, v90
	v_dot4_i32_i8 v28, v116, v3, v28
	v_dot4_i32_i8 v28, v116, v4, v28
	;; [unrolled: 1-line block ×3, first 2 shown]
	v_cvt_f32_i32_e32 v65, v112
	v_cvt_f32_i32_e32 v28, v28
	v_mad_u64_u32 v[112:113], s[16:17], v14, v114, v[1:2]
	v_cvt_f32_f16_sdwa v1, v73 dst_sel:DWORD dst_unused:UNUSED_PAD src0_sel:WORD_1
	v_cvt_f32_i32_e32 v14, v60
	v_mul_f32_e32 v11, v1, v28
	v_fma_mix_f32 v11, v73, v65, -v11 op_sel_hi:[1,0,0]
	v_fmac_f32_e32 v89, v29, v11
	v_cvt_f32_i32_e32 v11, v112
	v_mul_f32_e32 v14, v1, v14
	v_fma_mix_f32 v11, v73, v11, -v14 op_sel_hi:[1,0,0]
	v_dot4_i32_i8 v14, v63, v108, 0
	v_dot4_i32_i8 v14, v62, v109, v14
	;; [unrolled: 1-line block ×4, first 2 shown]
	ds_read_u16 v14, v119
	v_fmac_f32_e32 v64, v30, v11
	v_dot4_i32_i8 v11, v18, v120, 0
	v_dot4_i32_i8 v11, v17, v121, v11
	;; [unrolled: 1-line block ×3, first 2 shown]
	s_waitcnt lgkmcnt(0)
	v_bfe_u32 v60, v14, 4, 4
	v_mul_lo_u32 v112, v60, s8
	v_dot4_i32_i8 v11, v15, v123, v11
	v_dot4_i32_i8 v6, v112, v6, 0
	;; [unrolled: 1-line block ×4, first 2 shown]
	v_and_b32_sdwa v8, v14, v94 dst_sel:DWORD dst_unused:UNUSED_PAD src0_sel:BYTE_1 src1_sel:DWORD
	v_and_b32_e32 v65, 0xffff, v8
	v_lshrrev_b32_sdwa v8, v103, v14 dst_sel:DWORD dst_unused:UNUSED_PAD src0_sel:DWORD src1_sel:BYTE_1
	v_dot4_i32_i8 v7, v112, v9, v6
	v_and_b32_e32 v6, 15, v14
	v_mul_lo_u32 v14, v8, s8
	v_and_b32_e32 v113, 0xffff, v6
	v_mul_lo_u32 v6, v113, v118
	v_dot4_i32_i8 v2, v14, v2, v7
	v_dot4_i32_i8 v2, v14, v3, v2
	;; [unrolled: 1-line block ×4, first 2 shown]
	v_mad_u64_u32 v[2:3], s[16:17], v65, v117, v[6:7]
	v_cvt_f32_i32_e32 v4, v4
                                        ; kill: def $vgpr3 killed $sgpr0 killed $exec
	v_cvt_f32_i32_e32 v5, v2
	v_dot4_i32_i8 v2, v112, v120, 0
	v_dot4_i32_i8 v2, v112, v121, v2
	;; [unrolled: 1-line block ×8, first 2 shown]
	v_mul_lo_u32 v2, v11, v113
	v_cvt_f32_f16_sdwa v11, v61 dst_sel:DWORD dst_unused:UNUSED_PAD src0_sel:WORD_1
	v_mad_u64_u32 v[2:3], s[16:17], v28, v65, v[2:3]
	v_mul_f32_e32 v3, v11, v4
	v_fma_mix_f32 v3, v61, v5, -v3 op_sel_hi:[1,0,0]
	v_fmac_f32_e32 v85, v29, v3
	v_cvt_f32_i32_e32 v3, v6
	v_cvt_f32_i32_e32 v2, v2
	v_mul_f32_e32 v3, v11, v3
	v_fma_mix_f32 v2, v61, v2, -v3 op_sel_hi:[1,0,0]
	v_fmac_f32_e32 v58, v30, v2
	ds_read2_b32 v[29:30], v106 offset0:64 offset1:96
	ds_read_b128 v[6:9], v107 offset:2048
	ds_read_b128 v[2:5], v107 offset:2064
	s_waitcnt lgkmcnt(1)
	v_dot4_i32_i8 v28, v78, v6, 0
	v_dot4_i32_i8 v28, v24, v7, v28
	;; [unrolled: 1-line block ×6, first 2 shown]
	v_mul_lo_u32 v28, v28, v95
	s_waitcnt lgkmcnt(0)
	v_dot4_i32_i8 v108, v22, v2, 0
	v_dot4_i32_i8 v60, v92, v8, v60
	;; [unrolled: 1-line block ×8, first 2 shown]
	v_mad_u64_u32 v[108:109], s[16:17], v108, v0, v[28:29]
	v_dot4_i32_i8 v60, v93, v4, v60
	v_dot4_i32_i8 v60, v93, v5, v60
	v_cvt_f32_i32_e32 v60, v60
	v_cvt_f32_i32_e32 v28, v108
	v_dot4_i32_i8 v108, v84, v2, 0
	v_dot4_i32_i8 v108, v86, v3, v108
	v_mul_f32_e32 v60, v96, v60
	v_fma_mix_f32 v28, v25, v28, -v60 op_sel_hi:[1,0,0]
	v_fmac_f32_e32 v56, v29, v28
	v_dot4_i32_i8 v28, v26, v6, 0
	v_dot4_i32_i8 v28, v80, v7, v28
	;; [unrolled: 1-line block ×6, first 2 shown]
	v_mul_lo_u32 v28, v28, v100
	v_dot4_i32_i8 v60, v98, v8, v60
	v_dot4_i32_i8 v60, v98, v9, v60
	;; [unrolled: 1-line block ×6, first 2 shown]
	v_mad_u64_u32 v[108:109], s[16:17], v108, v97, v[28:29]
	v_dot4_i32_i8 v60, v99, v4, v60
	v_dot4_i32_i8 v60, v99, v5, v60
	v_cvt_f32_i32_e32 v60, v60
	v_cvt_f32_i32_e32 v28, v108
	v_dot4_i32_i8 v108, v66, v2, 0
	v_dot4_i32_i8 v108, v67, v3, v108
	v_mul_f32_e32 v60, v101, v60
	v_fma_mix_f32 v28, v102, v28, -v60 op_sel_hi:[1,0,0]
	v_fmac_f32_e32 v55, v29, v28
	v_dot4_i32_i8 v28, v72, v6, 0
	v_dot4_i32_i8 v28, v70, v7, v28
	;; [unrolled: 1-line block ×6, first 2 shown]
	v_mul_lo_u32 v28, v28, v90
	v_dot4_i32_i8 v60, v115, v8, v60
	v_dot4_i32_i8 v60, v115, v9, v60
	;; [unrolled: 1-line block ×6, first 2 shown]
	v_mad_u64_u32 v[108:109], s[16:17], v108, v114, v[28:29]
	v_dot4_i32_i8 v60, v116, v4, v60
	v_dot4_i32_i8 v60, v116, v5, v60
	v_cvt_f32_i32_e32 v60, v60
	v_cvt_f32_i32_e32 v28, v108
	v_mul_f32_e32 v60, v1, v60
	v_fma_mix_f32 v28, v73, v28, -v60 op_sel_hi:[1,0,0]
	v_fmac_f32_e32 v54, v29, v28
	v_dot4_i32_i8 v28, v18, v6, 0
	v_dot4_i32_i8 v6, v112, v6, 0
	;; [unrolled: 1-line block ×8, first 2 shown]
	v_mul_lo_u32 v6, v7, v113
	v_dot4_i32_i8 v7, v63, v2, 0
	v_dot4_i32_i8 v2, v14, v2, v8
	;; [unrolled: 1-line block ×8, first 2 shown]
	v_mad_u64_u32 v[2:3], s[16:17], v3, v65, v[6:7]
	v_cvt_f32_i32_e32 v3, v4
	v_cvt_f32_i32_e32 v2, v2
	v_mul_f32_e32 v3, v11, v3
	v_fma_mix_f32 v2, v61, v2, -v3 op_sel_hi:[1,0,0]
	v_fmac_f32_e32 v52, v29, v2
	ds_read_b128 v[6:9], v107 offset:3072
	ds_read_b128 v[2:5], v107 offset:3088
	s_waitcnt lgkmcnt(1)
	v_dot4_i32_i8 v28, v78, v6, 0
	v_dot4_i32_i8 v29, v92, v6, 0
	;; [unrolled: 1-line block ×8, first 2 shown]
	v_mul_lo_u32 v28, v28, v95
	s_waitcnt lgkmcnt(0)
	v_dot4_i32_i8 v60, v22, v2, 0
	v_dot4_i32_i8 v29, v93, v2, v29
	;; [unrolled: 1-line block ×8, first 2 shown]
                                        ; kill: def $vgpr29 killed $sgpr0 killed $exec
	v_mad_u64_u32 v[28:29], s[16:17], v60, v0, v[28:29]
	v_cvt_f32_i32_e32 v29, v108
	v_dot4_i32_i8 v60, v84, v2, 0
	v_cvt_f32_i32_e32 v28, v28
	v_dot4_i32_i8 v60, v86, v3, v60
	v_mul_f32_e32 v29, v96, v29
	v_dot4_i32_i8 v60, v87, v4, v60
	v_fma_mix_f32 v28, v25, v28, -v29 op_sel_hi:[1,0,0]
	v_fmac_f32_e32 v50, v30, v28
	v_dot4_i32_i8 v28, v26, v6, 0
	v_dot4_i32_i8 v29, v98, v6, 0
	v_dot4_i32_i8 v28, v80, v7, v28
	v_dot4_i32_i8 v29, v98, v7, v29
	v_dot4_i32_i8 v28, v82, v8, v28
	v_dot4_i32_i8 v29, v98, v8, v29
	v_dot4_i32_i8 v28, v83, v9, v28
	v_dot4_i32_i8 v29, v98, v9, v29
	v_mul_lo_u32 v28, v28, v100
	v_dot4_i32_i8 v29, v99, v2, v29
	v_dot4_i32_i8 v29, v99, v3, v29
	;; [unrolled: 1-line block ×5, first 2 shown]
                                        ; kill: def $vgpr29 killed $sgpr0 killed $exec
	v_mad_u64_u32 v[28:29], s[16:17], v60, v97, v[28:29]
	v_cvt_f32_i32_e32 v29, v108
	v_dot4_i32_i8 v60, v66, v2, 0
	v_cvt_f32_i32_e32 v28, v28
	v_dot4_i32_i8 v60, v67, v3, v60
	v_mul_f32_e32 v29, v101, v29
	v_dot4_i32_i8 v60, v68, v4, v60
	v_fma_mix_f32 v28, v102, v28, -v29 op_sel_hi:[1,0,0]
	v_fmac_f32_e32 v49, v30, v28
	v_dot4_i32_i8 v28, v72, v6, 0
	v_dot4_i32_i8 v29, v115, v6, 0
	;; [unrolled: 1-line block ×8, first 2 shown]
	v_mul_lo_u32 v28, v28, v90
	v_dot4_i32_i8 v29, v116, v2, v29
	v_dot4_i32_i8 v29, v116, v3, v29
	;; [unrolled: 1-line block ×5, first 2 shown]
                                        ; kill: def $vgpr29 killed $sgpr0 killed $exec
	v_mad_u64_u32 v[28:29], s[16:17], v60, v114, v[28:29]
	v_cvt_f32_i32_e32 v29, v108
	v_cvt_f32_i32_e32 v28, v28
	v_mul_f32_e32 v29, v1, v29
	v_fma_mix_f32 v28, v73, v28, -v29 op_sel_hi:[1,0,0]
	v_fmac_f32_e32 v48, v30, v28
	v_dot4_i32_i8 v28, v18, v6, 0
	v_dot4_i32_i8 v6, v112, v6, 0
	;; [unrolled: 1-line block ×8, first 2 shown]
	v_mul_lo_u32 v6, v7, v113
	v_dot4_i32_i8 v7, v63, v2, 0
	v_dot4_i32_i8 v2, v14, v2, v8
	;; [unrolled: 1-line block ×8, first 2 shown]
	v_mad_u64_u32 v[2:3], s[16:17], v3, v65, v[6:7]
	v_cvt_f32_i32_e32 v3, v4
	v_cvt_f32_i32_e32 v2, v2
	v_mul_f32_e32 v3, v11, v3
	v_fma_mix_f32 v2, v61, v2, -v3 op_sel_hi:[1,0,0]
	v_fmac_f32_e32 v47, v30, v2
	ds_read2_b32 v[29:30], v106 offset0:128 offset1:160
	ds_read_b128 v[6:9], v107 offset:4096
	ds_read_b128 v[2:5], v107 offset:4112
	s_waitcnt lgkmcnt(1)
	v_dot4_i32_i8 v28, v78, v6, 0
	v_dot4_i32_i8 v28, v24, v7, v28
	v_dot4_i32_i8 v28, v21, v8, v28
	v_dot4_i32_i8 v60, v92, v6, 0
	v_dot4_i32_i8 v28, v74, v9, v28
	v_dot4_i32_i8 v60, v92, v7, v60
	v_mul_lo_u32 v28, v28, v95
	s_waitcnt lgkmcnt(0)
	v_dot4_i32_i8 v108, v22, v2, 0
	v_dot4_i32_i8 v60, v92, v8, v60
	;; [unrolled: 1-line block ×8, first 2 shown]
	v_mad_u64_u32 v[108:109], s[16:17], v108, v0, v[28:29]
	v_dot4_i32_i8 v60, v93, v4, v60
	v_dot4_i32_i8 v60, v93, v5, v60
	v_cvt_f32_i32_e32 v60, v60
	v_cvt_f32_i32_e32 v28, v108
	v_dot4_i32_i8 v108, v84, v2, 0
	v_dot4_i32_i8 v108, v86, v3, v108
	v_mul_f32_e32 v60, v96, v60
	v_fma_mix_f32 v28, v25, v28, -v60 op_sel_hi:[1,0,0]
	v_fmac_f32_e32 v46, v29, v28
	v_dot4_i32_i8 v28, v26, v6, 0
	v_dot4_i32_i8 v28, v80, v7, v28
	;; [unrolled: 1-line block ×6, first 2 shown]
	v_mul_lo_u32 v28, v28, v100
	v_dot4_i32_i8 v60, v98, v8, v60
	v_dot4_i32_i8 v60, v98, v9, v60
	;; [unrolled: 1-line block ×6, first 2 shown]
	v_mad_u64_u32 v[108:109], s[16:17], v108, v97, v[28:29]
	v_dot4_i32_i8 v60, v99, v4, v60
	v_dot4_i32_i8 v60, v99, v5, v60
	v_cvt_f32_i32_e32 v60, v60
	v_cvt_f32_i32_e32 v28, v108
	v_dot4_i32_i8 v108, v66, v2, 0
	v_dot4_i32_i8 v108, v67, v3, v108
	v_mul_f32_e32 v60, v101, v60
	v_fma_mix_f32 v28, v102, v28, -v60 op_sel_hi:[1,0,0]
	v_fmac_f32_e32 v45, v29, v28
	v_dot4_i32_i8 v28, v72, v6, 0
	v_dot4_i32_i8 v28, v70, v7, v28
	;; [unrolled: 1-line block ×6, first 2 shown]
	v_mul_lo_u32 v28, v28, v90
	v_dot4_i32_i8 v60, v115, v8, v60
	v_dot4_i32_i8 v60, v115, v9, v60
	;; [unrolled: 1-line block ×6, first 2 shown]
	v_mad_u64_u32 v[108:109], s[16:17], v108, v114, v[28:29]
	v_dot4_i32_i8 v60, v116, v4, v60
	v_dot4_i32_i8 v60, v116, v5, v60
	v_cvt_f32_i32_e32 v60, v60
	v_cvt_f32_i32_e32 v28, v108
	v_mul_f32_e32 v60, v1, v60
	v_fma_mix_f32 v28, v73, v28, -v60 op_sel_hi:[1,0,0]
	v_fmac_f32_e32 v44, v29, v28
	v_dot4_i32_i8 v28, v18, v6, 0
	v_dot4_i32_i8 v6, v112, v6, 0
	v_dot4_i32_i8 v28, v17, v7, v28
	v_dot4_i32_i8 v6, v112, v7, v6
	v_dot4_i32_i8 v7, v16, v8, v28
	v_dot4_i32_i8 v6, v112, v8, v6
	v_dot4_i32_i8 v7, v15, v9, v7
	v_dot4_i32_i8 v8, v112, v9, v6
	v_mul_lo_u32 v6, v7, v113
	v_dot4_i32_i8 v7, v63, v2, 0
	v_dot4_i32_i8 v2, v14, v2, v8
	;; [unrolled: 1-line block ×8, first 2 shown]
	v_mad_u64_u32 v[2:3], s[16:17], v3, v65, v[6:7]
	v_cvt_f32_i32_e32 v3, v4
	v_cvt_f32_i32_e32 v2, v2
	v_mul_f32_e32 v3, v11, v3
	v_fma_mix_f32 v2, v61, v2, -v3 op_sel_hi:[1,0,0]
	v_fmac_f32_e32 v43, v29, v2
	ds_read_b128 v[6:9], v107 offset:5120
	ds_read_b128 v[2:5], v107 offset:5136
	s_waitcnt lgkmcnt(1)
	v_dot4_i32_i8 v28, v78, v6, 0
	v_dot4_i32_i8 v29, v92, v6, 0
	;; [unrolled: 1-line block ×8, first 2 shown]
	v_mul_lo_u32 v28, v28, v95
	s_waitcnt lgkmcnt(0)
	v_dot4_i32_i8 v60, v22, v2, 0
	v_dot4_i32_i8 v29, v93, v2, v29
	;; [unrolled: 1-line block ×8, first 2 shown]
                                        ; kill: def $vgpr29 killed $sgpr0 killed $exec
	v_mad_u64_u32 v[28:29], s[16:17], v60, v0, v[28:29]
	v_cvt_f32_i32_e32 v29, v108
	v_dot4_i32_i8 v60, v84, v2, 0
	v_cvt_f32_i32_e32 v28, v28
	v_dot4_i32_i8 v60, v86, v3, v60
	v_mul_f32_e32 v29, v96, v29
	v_dot4_i32_i8 v60, v87, v4, v60
	v_fma_mix_f32 v28, v25, v28, -v29 op_sel_hi:[1,0,0]
	v_fmac_f32_e32 v42, v30, v28
	v_dot4_i32_i8 v28, v26, v6, 0
	v_dot4_i32_i8 v29, v98, v6, 0
	v_dot4_i32_i8 v28, v80, v7, v28
	v_dot4_i32_i8 v29, v98, v7, v29
	v_dot4_i32_i8 v28, v82, v8, v28
	v_dot4_i32_i8 v29, v98, v8, v29
	v_dot4_i32_i8 v28, v83, v9, v28
	v_dot4_i32_i8 v29, v98, v9, v29
	v_mul_lo_u32 v28, v28, v100
	v_dot4_i32_i8 v29, v99, v2, v29
	v_dot4_i32_i8 v29, v99, v3, v29
	;; [unrolled: 1-line block ×5, first 2 shown]
                                        ; kill: def $vgpr29 killed $sgpr0 killed $exec
	v_mad_u64_u32 v[28:29], s[16:17], v60, v97, v[28:29]
	v_cvt_f32_i32_e32 v29, v108
	v_dot4_i32_i8 v60, v66, v2, 0
	v_cvt_f32_i32_e32 v28, v28
	v_dot4_i32_i8 v60, v67, v3, v60
	v_mul_f32_e32 v29, v101, v29
	v_dot4_i32_i8 v60, v68, v4, v60
	v_fma_mix_f32 v28, v102, v28, -v29 op_sel_hi:[1,0,0]
	v_fmac_f32_e32 v41, v30, v28
	v_dot4_i32_i8 v28, v72, v6, 0
	v_dot4_i32_i8 v29, v115, v6, 0
	;; [unrolled: 1-line block ×8, first 2 shown]
	v_mul_lo_u32 v28, v28, v90
	v_dot4_i32_i8 v29, v116, v2, v29
	v_dot4_i32_i8 v29, v116, v3, v29
	;; [unrolled: 1-line block ×5, first 2 shown]
                                        ; kill: def $vgpr29 killed $sgpr0 killed $exec
	v_mad_u64_u32 v[28:29], s[16:17], v60, v114, v[28:29]
	v_cvt_f32_i32_e32 v29, v108
	v_cvt_f32_i32_e32 v28, v28
	v_mul_f32_e32 v29, v1, v29
	v_fma_mix_f32 v28, v73, v28, -v29 op_sel_hi:[1,0,0]
	v_fmac_f32_e32 v40, v30, v28
	v_dot4_i32_i8 v28, v18, v6, 0
	v_dot4_i32_i8 v6, v112, v6, 0
	;; [unrolled: 1-line block ×8, first 2 shown]
	v_mul_lo_u32 v6, v7, v113
	v_dot4_i32_i8 v7, v63, v2, 0
	v_dot4_i32_i8 v2, v14, v2, v8
	;; [unrolled: 1-line block ×8, first 2 shown]
	v_mad_u64_u32 v[2:3], s[16:17], v3, v65, v[6:7]
	v_cvt_f32_i32_e32 v3, v4
	v_cvt_f32_i32_e32 v2, v2
	v_mul_f32_e32 v3, v11, v3
	v_fma_mix_f32 v2, v61, v2, -v3 op_sel_hi:[1,0,0]
	v_fmac_f32_e32 v39, v30, v2
	ds_read2_b32 v[29:30], v106 offset0:192 offset1:224
	ds_read_b128 v[6:9], v107 offset:6144
	ds_read_b128 v[2:5], v107 offset:6160
	v_add_u32_e32 v106, 4, v106
	s_waitcnt lgkmcnt(1)
	v_dot4_i32_i8 v28, v78, v6, 0
	v_dot4_i32_i8 v28, v24, v7, v28
	;; [unrolled: 1-line block ×6, first 2 shown]
	v_mul_lo_u32 v28, v28, v95
	s_waitcnt lgkmcnt(0)
	v_dot4_i32_i8 v108, v22, v2, 0
	v_dot4_i32_i8 v60, v92, v8, v60
	;; [unrolled: 1-line block ×8, first 2 shown]
	v_mad_u64_u32 v[108:109], s[16:17], v108, v0, v[28:29]
	v_dot4_i32_i8 v60, v93, v4, v60
	v_dot4_i32_i8 v60, v93, v5, v60
	v_cvt_f32_i32_e32 v60, v60
	v_cvt_f32_i32_e32 v28, v108
	v_dot4_i32_i8 v108, v84, v2, 0
	v_dot4_i32_i8 v108, v86, v3, v108
	v_mul_f32_e32 v60, v96, v60
	v_fma_mix_f32 v28, v25, v28, -v60 op_sel_hi:[1,0,0]
	v_fmac_f32_e32 v38, v29, v28
	v_dot4_i32_i8 v28, v26, v6, 0
	v_dot4_i32_i8 v28, v80, v7, v28
	;; [unrolled: 1-line block ×6, first 2 shown]
	v_mul_lo_u32 v28, v28, v100
	v_dot4_i32_i8 v60, v98, v8, v60
	v_dot4_i32_i8 v60, v98, v9, v60
	;; [unrolled: 1-line block ×6, first 2 shown]
	v_mad_u64_u32 v[108:109], s[16:17], v108, v97, v[28:29]
	v_dot4_i32_i8 v60, v99, v4, v60
	v_dot4_i32_i8 v60, v99, v5, v60
	v_cvt_f32_i32_e32 v60, v60
	v_cvt_f32_i32_e32 v28, v108
	v_dot4_i32_i8 v108, v66, v2, 0
	v_dot4_i32_i8 v108, v67, v3, v108
	v_mul_f32_e32 v60, v101, v60
	v_fma_mix_f32 v28, v102, v28, -v60 op_sel_hi:[1,0,0]
	v_fmac_f32_e32 v37, v29, v28
	v_dot4_i32_i8 v28, v72, v6, 0
	v_dot4_i32_i8 v28, v70, v7, v28
	;; [unrolled: 1-line block ×6, first 2 shown]
	v_mul_lo_u32 v28, v28, v90
	v_dot4_i32_i8 v60, v115, v8, v60
	v_dot4_i32_i8 v60, v115, v9, v60
	;; [unrolled: 1-line block ×6, first 2 shown]
	v_mad_u64_u32 v[108:109], s[16:17], v108, v114, v[28:29]
	v_dot4_i32_i8 v60, v116, v4, v60
	v_dot4_i32_i8 v60, v116, v5, v60
	v_cvt_f32_i32_e32 v60, v60
	v_cvt_f32_i32_e32 v28, v108
	v_mul_f32_e32 v60, v1, v60
	v_fma_mix_f32 v28, v73, v28, -v60 op_sel_hi:[1,0,0]
	v_fmac_f32_e32 v36, v29, v28
	v_dot4_i32_i8 v28, v18, v6, 0
	v_dot4_i32_i8 v6, v112, v6, 0
	;; [unrolled: 1-line block ×8, first 2 shown]
	v_mul_lo_u32 v6, v7, v113
	v_dot4_i32_i8 v7, v63, v2, 0
	v_dot4_i32_i8 v2, v14, v2, v8
	;; [unrolled: 1-line block ×8, first 2 shown]
	v_mad_u64_u32 v[2:3], s[16:17], v3, v65, v[6:7]
	v_cvt_f32_i32_e32 v3, v4
	v_cvt_f32_i32_e32 v2, v2
	v_mul_f32_e32 v3, v11, v3
	v_fma_mix_f32 v2, v61, v2, -v3 op_sel_hi:[1,0,0]
	v_fmac_f32_e32 v35, v29, v2
	ds_read_b128 v[6:9], v107 offset:7168
	ds_read_b128 v[2:5], v107 offset:7184
	v_add_u32_e32 v107, 32, v107
	s_waitcnt lgkmcnt(1)
	v_dot4_i32_i8 v28, v78, v6, 0
	v_dot4_i32_i8 v24, v24, v7, v28
	;; [unrolled: 1-line block ×5, first 2 shown]
	v_mul_lo_u32 v21, v21, v95
	s_waitcnt lgkmcnt(0)
	v_dot4_i32_i8 v22, v22, v2, 0
	v_dot4_i32_i8 v28, v92, v7, v29
	;; [unrolled: 1-line block ×8, first 2 shown]
	v_mad_u64_u32 v[21:22], s[16:17], v22, v0, v[21:22]
	v_dot4_i32_i8 v24, v93, v3, v24
	v_dot4_i32_i8 v23, v93, v4, v24
	;; [unrolled: 1-line block ×3, first 2 shown]
	v_cvt_f32_i32_e32 v0, v21
	v_cvt_f32_i32_e32 v21, v23
	v_dot4_i32_i8 v22, v84, v2, 0
	v_dot4_i32_i8 v22, v86, v3, v22
	;; [unrolled: 1-line block ×3, first 2 shown]
	v_mul_f32_e32 v21, v96, v21
	v_fma_mix_f32 v0, v25, v0, -v21 op_sel_hi:[1,0,0]
	v_fmac_f32_e32 v34, v30, v0
	v_dot4_i32_i8 v0, v26, v6, 0
	v_dot4_i32_i8 v21, v98, v6, 0
	;; [unrolled: 1-line block ×8, first 2 shown]
	v_mul_lo_u32 v0, v0, v100
	v_dot4_i32_i8 v21, v99, v2, v21
	v_dot4_i32_i8 v21, v99, v3, v21
	;; [unrolled: 1-line block ×5, first 2 shown]
	v_mad_u64_u32 v[21:22], s[16:17], v22, v97, v[0:1]
	v_cvt_f32_i32_e32 v0, v21
	v_cvt_f32_i32_e32 v21, v23
	v_mul_f32_e32 v21, v101, v21
	v_fma_mix_f32 v0, v102, v0, -v21 op_sel_hi:[1,0,0]
	v_fmac_f32_e32 v33, v30, v0
	v_dot4_i32_i8 v0, v72, v6, 0
	v_dot4_i32_i8 v21, v115, v6, 0
	;; [unrolled: 1-line block ×8, first 2 shown]
	v_mul_lo_u32 v0, v0, v90
	v_dot4_i32_i8 v20, v66, v2, 0
	v_dot4_i32_i8 v19, v116, v2, v19
	;; [unrolled: 1-line block ×8, first 2 shown]
	v_mad_u64_u32 v[19:20], s[16:17], v20, v114, v[0:1]
	v_cvt_f32_i32_e32 v0, v19
	v_cvt_f32_i32_e32 v19, v21
	v_mul_f32_e32 v1, v1, v19
	v_fma_mix_f32 v0, v73, v0, -v1 op_sel_hi:[1,0,0]
	v_fmac_f32_e32 v32, v30, v0
	v_dot4_i32_i8 v0, v18, v6, 0
	v_dot4_i32_i8 v1, v112, v6, 0
	;; [unrolled: 1-line block ×8, first 2 shown]
	v_mul_lo_u32 v6, v6, v113
	v_dot4_i32_i8 v1, v63, v2, 0
	v_dot4_i32_i8 v1, v62, v3, v1
	;; [unrolled: 1-line block ×6, first 2 shown]
	v_mad_u64_u32 v[1:2], s[16:17], v1, v65, v[6:7]
	v_dot4_i32_i8 v0, v14, v4, v0
	v_dot4_i32_i8 v0, v14, v5, v0
	v_cvt_f32_i32_e32 v0, v0
	v_cvt_f32_i32_e32 v1, v1
	s_add_i32 s16, s11, 2
	s_cmp_lt_u32 s11, 6
	v_mul_f32_e32 v0, v11, v0
	v_fma_mix_f32 v0, v61, v1, -v0 op_sel_hi:[1,0,0]
	v_fmac_f32_e32 v31, v30, v0
	s_mov_b32 s11, s16
	s_cbranch_scc1 .LBB168_7
; %bb.8:                                ;   in Loop: Header=BB168_6 Depth=1
	s_barrier
	buffer_load_dword v0, off, s[20:23], 0 offset:344 ; 4-byte Folded Reload
	v_mov_b32_e32 v105, v59
	v_mov_b32_e32 v59, v57
	;; [unrolled: 1-line block ×10, first 2 shown]
	s_mov_b32 s11, 8
	s_waitcnt vmcnt(0)
	v_add_u32_e32 v2, s9, v0
	buffer_load_dword v0, off, s[20:23], 0 offset:8 ; 4-byte Folded Reload
	buffer_load_dword v3, off, s[20:23], 0 offset:40 ; 4-byte Folded Reload
	;; [unrolled: 1-line block ×3, first 2 shown]
	s_waitcnt vmcnt(2)
	v_add_u32_e32 v0, v2, v0
	s_waitcnt vmcnt(0)
	v_mad_i64_i32 v[0:1], s[16:17], v0, 36, v[3:4]
	global_load_dword v0, v[0:1], off offset:4
	s_nop 0
	buffer_load_dword v1, off, s[20:23], 0 offset:88 ; 4-byte Folded Reload
	s_waitcnt vmcnt(0)
	ds_write_b32 v1, v0
	buffer_load_dword v0, off, s[20:23], 0 offset:12 ; 4-byte Folded Reload
	s_waitcnt vmcnt(0)
	v_add_u32_e32 v0, v2, v0
	v_mad_i64_i32 v[0:1], s[16:17], v0, 36, v[3:4]
	global_load_dword v0, v[0:1], off offset:4
	s_nop 0
	buffer_load_dword v1, off, s[20:23], 0 offset:56 ; 4-byte Folded Reload
	s_waitcnt vmcnt(0)
	ds_write_b32 v1, v0
	buffer_load_dword v0, off, s[20:23], 0 offset:16 ; 4-byte Folded Reload
	s_waitcnt vmcnt(0)
	v_add_u32_e32 v0, v2, v0
	;; [unrolled: 9-line block ×8, first 2 shown]
	v_mad_u64_u32 v[0:1], s[16:17], v0, 36, s[2:3]
	global_load_dword v0, v[0:1], off
	s_nop 0
	buffer_load_dword v1, off, s[20:23], 0 offset:4 ; 4-byte Folded Reload
	s_waitcnt vmcnt(1)
	v_cvt_f32_f16_e32 v0, v0
	s_waitcnt vmcnt(0)
	ds_write_b32 v1, v0
	s_waitcnt lgkmcnt(0)
	s_barrier
	buffer_load_dword v107, off, s[20:23], 0 offset:52 ; 4-byte Folded Reload
	buffer_load_dword v106, off, s[20:23], 0 offset:48 ; 4-byte Folded Reload
	buffer_load_dword v81, off, s[20:23], 0 ; 4-byte Folded Reload
.LBB168_9:                              ;   Parent Loop BB168_6 Depth=1
                                        ; =>  This Inner Loop Header: Depth=2
	s_and_b32 s17, s11, 0x3ffffff8
	v_lshl_add_u32 v14, s17, 2, v105
	s_waitcnt vmcnt(1)
	ds_read2_b32 v[29:30], v106 offset1:32
	ds_read_b128 v[6:9], v107
	ds_read_b128 v[2:5], v107 offset:16
	ds_read2_b32 v[0:1], v14 offset1:1
	s_add_i32 s18, s11, -8
	s_lshr_b32 s17, s11, 2
	s_and_b32 s17, s17, 0x3ffffffc
	s_addk_i32 s17, 0x7280
	s_waitcnt lgkmcnt(0)
	v_ashrrev_i32_e32 v0, s18, v0
	v_and_b32_e32 v25, 0x3030303, v0
	v_ashrrev_i32_e32 v0, s18, v1
	v_and_b32_e32 v78, 0x3030303, v0
	ds_read2_b32 v[0:1], v14 offset0:2 offset1:3
	s_and_b32 s16, s11, -16
	s_add_i32 s16, s11, s16
	v_add_u32_e32 v97, s16, v59
	v_add_u32_e32 v90, s16, v57
	s_waitcnt lgkmcnt(0)
	v_ashrrev_i32_e32 v0, s18, v0
	v_and_b32_e32 v21, 0x3030303, v0
	v_ashrrev_i32_e32 v0, s18, v1
	v_and_b32_e32 v22, 0x3030303, v0
	ds_read2_b32 v[0:1], v14 offset0:4 offset1:5
	v_add_u32_e32 v65, s16, v27
	s_waitcnt lgkmcnt(0)
	v_ashrrev_i32_e32 v0, s18, v0
	v_and_b32_e32 v23, 0x3030303, v0
	v_ashrrev_i32_e32 v0, s18, v1
	v_and_b32_e32 v24, 0x3030303, v0
	ds_read2_b32 v[0:1], v14 offset0:6 offset1:7
	s_waitcnt lgkmcnt(0)
	v_ashrrev_i32_e32 v0, s18, v0
	v_and_b32_e32 v74, 0x3030303, v0
	v_ashrrev_i32_e32 v0, s18, v1
	v_add3_u32 v1, s17, v104, v124
	ds_read_b32 v76, v1
	v_dot4_i32_i8 v1, v25, v6, 0
	v_dot4_i32_i8 v1, v78, v7, v1
	;; [unrolled: 1-line block ×6, first 2 shown]
	v_and_b32_e32 v75, 0x3030303, v0
	v_dot4_i32_i8 v1, v74, v4, v1
	v_dot4_i32_i8 v96, v75, v5, v1
	v_add_u32_e32 v1, 0x1080, v14
	ds_read2_b32 v[11:12], v1 offset1:1
	v_add_u32_e32 v0, s16, v10
	s_waitcnt lgkmcnt(0)
	v_ashrrev_i32_e32 v1, s18, v11
	v_and_b32_e32 v80, 0x3030303, v1
	v_ashrrev_i32_e32 v1, s18, v12
	v_and_b32_e32 v82, 0x3030303, v1
	v_add_u32_e32 v1, 0x1088, v14
	ds_read2_b32 v[11:12], v1 offset1:1
	s_waitcnt lgkmcnt(0)
	v_ashrrev_i32_e32 v1, s18, v11
	v_and_b32_e32 v84, 0x3030303, v1
	v_ashrrev_i32_e32 v1, s18, v12
	v_and_b32_e32 v86, 0x3030303, v1
	v_add_u32_e32 v1, 0x1090, v14
	ds_read2_b32 v[11:12], v1 offset1:1
	;; [unrolled: 7-line block ×3, first 2 shown]
	s_waitcnt lgkmcnt(0)
	v_ashrrev_i32_e32 v1, s18, v11
	v_and_b32_e32 v26, 0x3030303, v1
	v_ashrrev_i32_e32 v1, s18, v12
	v_and_b32_e32 v102, 0x3030303, v1
	v_add3_u32 v1, s17, v125, v126
	ds_read_b32 v83, v1
	v_dot4_i32_i8 v1, v80, v6, 0
	v_dot4_i32_i8 v1, v82, v7, v1
	;; [unrolled: 1-line block ×8, first 2 shown]
	v_add_u32_e32 v1, 0x2100, v14
	ds_read2_b32 v[11:12], v1 offset1:1
	s_waitcnt lgkmcnt(0)
	v_ashrrev_i32_e32 v1, s18, v11
	v_and_b32_e32 v73, 0x3030303, v1
	v_ashrrev_i32_e32 v1, s18, v12
	v_and_b32_e32 v20, 0x3030303, v1
	v_add_u32_e32 v1, 0x2108, v14
	ds_read2_b32 v[11:12], v1 offset1:1
	s_waitcnt lgkmcnt(0)
	v_ashrrev_i32_e32 v1, s18, v11
	v_and_b32_e32 v17, 0x3030303, v1
	v_ashrrev_i32_e32 v1, s18, v12
	v_and_b32_e32 v69, 0x3030303, v1
	;; [unrolled: 7-line block ×4, first 2 shown]
	v_add3_u32 v1, s17, v127, v51
	v_add_u32_e32 v11, 0x3180, v14
	ds_read_b32 v68, v1
	ds_read2_b32 v[11:12], v11 offset1:1
	v_dot4_i32_i8 v1, v73, v6, 0
	v_dot4_i32_i8 v1, v20, v7, v1
	;; [unrolled: 1-line block ×4, first 2 shown]
	s_waitcnt lgkmcnt(0)
	v_ashrrev_i32_e32 v11, s18, v11
	v_and_b32_e32 v16, 0x3030303, v11
	v_ashrrev_i32_e32 v11, s18, v12
	v_and_b32_e32 v67, 0x3030303, v11
	v_add_u32_e32 v11, 0x3188, v14
	ds_read2_b32 v[11:12], v11 offset1:1
	v_dot4_i32_i8 v1, v18, v2, 0
	v_dot4_i32_i8 v1, v70, v3, v1
	;; [unrolled: 1-line block ×4, first 2 shown]
	s_waitcnt lgkmcnt(0)
	v_ashrrev_i32_e32 v11, s18, v11
	v_and_b32_e32 v15, 0x3030303, v11
	v_ashrrev_i32_e32 v11, s18, v12
	v_and_b32_e32 v66, 0x3030303, v11
	v_add_u32_e32 v11, 0x3190, v14
	ds_read2_b32 v[11:12], v11 offset1:1
	s_waitcnt lgkmcnt(0)
	v_ashrrev_i32_e32 v11, s18, v11
	v_and_b32_e32 v13, 0x3030303, v11
	v_ashrrev_i32_e32 v11, s18, v12
	v_and_b32_e32 v63, 0x3030303, v11
	v_add_u32_e32 v11, 0x3198, v14
	ds_read2_b32 v[61:62], v11 offset1:1
	s_waitcnt lgkmcnt(0)
	v_ashrrev_i32_e32 v11, s18, v61
	v_and_b32_e32 v12, 0x3030303, v11
	v_ashrrev_i32_e32 v11, s18, v62
	v_and_b32_e32 v62, 0x3030303, v11
	s_waitcnt vmcnt(0)
	v_add3_u32 v11, s17, v79, v81
	ds_read_b32 v61, v11
	ds_read_b128 v[108:111], v107 offset:1024
	ds_read_b128 v[117:120], v107 offset:1040
	ds_read_u16 v100, v0 offset:25088
	v_dot4_i32_i8 v11, v16, v6, 0
	v_dot4_i32_i8 v11, v67, v7, v11
	s_waitcnt lgkmcnt(2)
	v_dot4_i32_i8 v28, v25, v108, 0
	v_dot4_i32_i8 v28, v78, v109, v28
	;; [unrolled: 1-line block ×4, first 2 shown]
	s_waitcnt lgkmcnt(1)
	v_dot4_i32_i8 v28, v23, v117, 0
	s_waitcnt lgkmcnt(0)
	v_bfe_u32 v0, v100, 4, 4
	v_dot4_i32_i8 v28, v24, v118, v28
	v_mul_lo_u32 v92, v0, s8
	v_dot4_i32_i8 v28, v74, v119, v28
	v_dot4_i32_i8 v98, v75, v120, v28
	v_and_b32_e32 v28, 15, v100
	v_and_b32_e32 v95, 0xffff, v28
	v_dot4_i32_i8 v0, v92, v6, 0
	v_mul_lo_u32 v28, v95, v93
	v_lshrrev_b32_sdwa v93, v103, v100 dst_sel:DWORD dst_unused:UNUSED_PAD src0_sel:DWORD src1_sel:BYTE_1
	v_dot4_i32_i8 v0, v92, v7, v0
	v_mul_lo_u32 v93, v93, s8
	v_dot4_i32_i8 v0, v92, v8, v0
	v_dot4_i32_i8 v113, v92, v9, v0
	v_and_b32_sdwa v0, v100, v94 dst_sel:DWORD dst_unused:UNUSED_PAD src0_sel:BYTE_1 src1_sel:DWORD
	v_and_b32_e32 v0, 0xffff, v0
	v_dot4_i32_i8 v100, v93, v2, v113
	v_mad_u64_u32 v[113:114], s[16:17], v0, v96, v[28:29]
	v_dot4_i32_i8 v28, v92, v108, 0
	v_dot4_i32_i8 v28, v92, v109, v28
	;; [unrolled: 1-line block ×10, first 2 shown]
	v_mul_lo_u32 v28, v60, v95
	v_dot4_i32_i8 v100, v93, v5, v100
	v_cvt_f32_i32_e32 v100, v100
	v_cvt_f32_f16_sdwa v96, v76 dst_sel:DWORD dst_unused:UNUSED_PAD src0_sel:WORD_1
	v_cvt_f32_i32_e32 v115, v113
	v_mad_u64_u32 v[113:114], s[16:17], v98, v0, v[28:29]
	v_mul_f32_e32 v28, v96, v100
	v_fma_mix_f32 v28, v76, v115, -v28 op_sel_hi:[1,0,0]
	v_cvt_f32_i32_e32 v60, v116
	v_fmac_f32_e32 v53, v29, v28
	v_cvt_f32_i32_e32 v28, v113
	ds_read_u16 v113, v97 offset:26112
	v_mul_f32_e32 v60, v96, v60
	v_dot4_i32_i8 v11, v15, v8, v11
	v_fma_mix_f32 v28, v76, v28, -v60 op_sel_hi:[1,0,0]
	v_fmac_f32_e32 v77, v30, v28
	v_dot4_i32_i8 v28, v80, v108, 0
	v_dot4_i32_i8 v28, v82, v109, v28
	;; [unrolled: 1-line block ×8, first 2 shown]
	s_waitcnt lgkmcnt(0)
	v_bfe_u32 v28, v113, 4, 4
	v_mul_lo_u32 v98, v28, s8
	v_and_b32_sdwa v97, v113, v94 dst_sel:DWORD dst_unused:UNUSED_PAD src0_sel:BYTE_1 src1_sel:DWORD
	v_and_b32_e32 v97, 0xffff, v97
	v_dot4_i32_i8 v14, v66, v9, v11
	v_dot4_i32_i8 v28, v98, v6, 0
	;; [unrolled: 1-line block ×5, first 2 shown]
	v_and_b32_e32 v28, 15, v113
	v_and_b32_e32 v100, 0xffff, v28
	v_mul_lo_u32 v28, v100, v99
	v_lshrrev_b32_sdwa v99, v103, v113 dst_sel:DWORD dst_unused:UNUSED_PAD src0_sel:DWORD src1_sel:BYTE_1
	v_mul_lo_u32 v99, v99, s8
	v_dot4_i32_i8 v11, v13, v2, 0
	v_dot4_i32_i8 v11, v63, v3, v11
	;; [unrolled: 1-line block ×7, first 2 shown]
	v_mad_u64_u32 v[113:114], s[16:17], v97, v101, v[28:29]
	v_dot4_i32_i8 v28, v98, v108, 0
	v_dot4_i32_i8 v28, v98, v109, v28
	;; [unrolled: 1-line block ×8, first 2 shown]
	v_mul_lo_u32 v28, v60, v100
	v_cvt_f32_i32_e32 v116, v116
	v_cvt_f32_f16_sdwa v101, v83 dst_sel:DWORD dst_unused:UNUSED_PAD src0_sel:WORD_1
	v_cvt_f32_i32_e32 v121, v113
	v_mad_u64_u32 v[113:114], s[16:17], v115, v97, v[28:29]
	v_mul_f32_e32 v28, v101, v116
	v_fma_mix_f32 v28, v83, v121, -v28 op_sel_hi:[1,0,0]
	v_cvt_f32_i32_e32 v60, v122
	v_fmac_f32_e32 v91, v29, v28
	v_cvt_f32_i32_e32 v28, v113
	ds_read_u16 v113, v90 offset:27136
	v_mul_f32_e32 v60, v101, v60
	v_dot4_i32_i8 v11, v62, v5, v11
	v_fma_mix_f32 v28, v83, v28, -v60 op_sel_hi:[1,0,0]
	v_fmac_f32_e32 v71, v30, v28
	v_dot4_i32_i8 v28, v73, v108, 0
	v_dot4_i32_i8 v28, v20, v109, v28
	;; [unrolled: 1-line block ×8, first 2 shown]
	s_waitcnt lgkmcnt(0)
	v_bfe_u32 v28, v113, 4, 4
	v_mul_lo_u32 v115, v28, s8
	v_and_b32_sdwa v90, v113, v94 dst_sel:DWORD dst_unused:UNUSED_PAD src0_sel:BYTE_1 src1_sel:DWORD
	v_and_b32_e32 v114, 0xffff, v90
	v_dot4_i32_i8 v28, v115, v6, 0
	v_dot4_i32_i8 v28, v115, v7, v28
	;; [unrolled: 1-line block ×4, first 2 shown]
	v_and_b32_e32 v28, 15, v113
	v_and_b32_e32 v90, 0xffff, v28
	v_mul_lo_u32 v28, v90, v112
	v_lshrrev_b32_sdwa v112, v103, v113 dst_sel:DWORD dst_unused:UNUSED_PAD src0_sel:DWORD src1_sel:BYTE_1
	v_mul_lo_u32 v116, v112, s8
	v_dot4_i32_i8 v112, v116, v2, v122
	v_dot4_i32_i8 v112, v116, v3, v112
	;; [unrolled: 1-line block ×4, first 2 shown]
	v_mad_u64_u32 v[112:113], s[16:17], v114, v1, v[28:29]
	v_dot4_i32_i8 v1, v115, v108, 0
	v_dot4_i32_i8 v1, v115, v109, v1
	;; [unrolled: 1-line block ×8, first 2 shown]
	v_mul_lo_u32 v1, v60, v90
	v_cvt_f32_i32_e32 v28, v112
	v_cvt_f32_i32_e32 v122, v122
	v_mad_u64_u32 v[112:113], s[16:17], v121, v114, v[1:2]
	v_cvt_f32_f16_sdwa v1, v68 dst_sel:DWORD dst_unused:UNUSED_PAD src0_sel:WORD_1
	ds_read_u16 v121, v65 offset:28160
	v_mul_f32_e32 v60, v1, v122
	v_fma_mix_f32 v28, v68, v28, -v60 op_sel_hi:[1,0,0]
	s_waitcnt lgkmcnt(0)
	v_bfe_u32 v65, v121, 4, 4
	v_fmac_f32_e32 v89, v29, v28
	v_cvt_f32_i32_e32 v28, v112
	v_mul_lo_u32 v112, v65, s8
	v_cvt_f32_i32_e32 v60, v123
	v_dot4_i32_i8 v6, v112, v6, 0
	v_dot4_i32_i8 v6, v112, v7, v6
	;; [unrolled: 1-line block ×4, first 2 shown]
	v_and_b32_e32 v6, 15, v121
	v_and_b32_sdwa v8, v121, v94 dst_sel:DWORD dst_unused:UNUSED_PAD src0_sel:BYTE_1 src1_sel:DWORD
	v_and_b32_e32 v65, 0xffff, v8
	v_and_b32_e32 v113, 0xffff, v6
	v_lshrrev_b32_sdwa v8, v103, v121 dst_sel:DWORD dst_unused:UNUSED_PAD src0_sel:DWORD src1_sel:BYTE_1
	v_mul_lo_u32 v6, v113, v14
	v_mul_lo_u32 v14, v8, s8
	v_mul_f32_e32 v60, v1, v60
	v_fma_mix_f32 v28, v68, v28, -v60 op_sel_hi:[1,0,0]
	v_fmac_f32_e32 v64, v30, v28
	v_dot4_i32_i8 v2, v14, v2, v7
	v_dot4_i32_i8 v2, v14, v3, v2
	v_dot4_i32_i8 v2, v14, v4, v2
	v_dot4_i32_i8 v4, v14, v5, v2
	v_mad_u64_u32 v[2:3], s[16:17], v65, v11, v[6:7]
	v_dot4_i32_i8 v28, v16, v108, 0
	v_dot4_i32_i8 v28, v67, v109, v28
	v_cvt_f32_i32_e32 v5, v2
	v_dot4_i32_i8 v2, v112, v108, 0
	v_dot4_i32_i8 v2, v112, v109, v2
	;; [unrolled: 1-line block ×11, first 2 shown]
	v_mul_lo_u32 v2, v28, v113
	v_dot4_i32_i8 v60, v63, v118, v60
	v_cvt_f32_i32_e32 v4, v4
	v_cvt_f32_f16_sdwa v11, v61 dst_sel:DWORD dst_unused:UNUSED_PAD src0_sel:WORD_1
	v_dot4_i32_i8 v60, v12, v119, v60
	v_dot4_i32_i8 v60, v62, v120, v60
                                        ; kill: def $vgpr3 killed $sgpr0 killed $exec
	v_mad_u64_u32 v[2:3], s[16:17], v60, v65, v[2:3]
	v_mul_f32_e32 v3, v11, v4
	v_fma_mix_f32 v3, v61, v5, -v3 op_sel_hi:[1,0,0]
	v_fmac_f32_e32 v85, v29, v3
	v_cvt_f32_i32_e32 v3, v6
	v_cvt_f32_i32_e32 v2, v2
	v_mul_f32_e32 v3, v11, v3
	v_fma_mix_f32 v2, v61, v2, -v3 op_sel_hi:[1,0,0]
	v_fmac_f32_e32 v58, v30, v2
	ds_read2_b32 v[29:30], v106 offset0:64 offset1:96
	ds_read_b128 v[6:9], v107 offset:2048
	ds_read_b128 v[2:5], v107 offset:2064
	s_waitcnt lgkmcnt(1)
	v_dot4_i32_i8 v28, v25, v6, 0
	v_dot4_i32_i8 v28, v78, v7, v28
	;; [unrolled: 1-line block ×6, first 2 shown]
	v_mul_lo_u32 v28, v28, v95
	s_waitcnt lgkmcnt(0)
	v_dot4_i32_i8 v108, v23, v2, 0
	v_dot4_i32_i8 v60, v92, v8, v60
	;; [unrolled: 1-line block ×8, first 2 shown]
	v_mad_u64_u32 v[108:109], s[16:17], v108, v0, v[28:29]
	v_dot4_i32_i8 v60, v93, v4, v60
	v_dot4_i32_i8 v60, v93, v5, v60
	v_cvt_f32_i32_e32 v60, v60
	v_cvt_f32_i32_e32 v28, v108
	v_dot4_i32_i8 v108, v87, v2, 0
	v_dot4_i32_i8 v108, v88, v3, v108
	v_mul_f32_e32 v60, v96, v60
	v_fma_mix_f32 v28, v76, v28, -v60 op_sel_hi:[1,0,0]
	v_fmac_f32_e32 v56, v29, v28
	v_dot4_i32_i8 v28, v80, v6, 0
	v_dot4_i32_i8 v28, v82, v7, v28
	;; [unrolled: 1-line block ×6, first 2 shown]
	v_mul_lo_u32 v28, v28, v100
	v_dot4_i32_i8 v60, v98, v8, v60
	v_dot4_i32_i8 v60, v98, v9, v60
	;; [unrolled: 1-line block ×6, first 2 shown]
	v_mad_u64_u32 v[108:109], s[16:17], v108, v97, v[28:29]
	v_dot4_i32_i8 v60, v99, v4, v60
	v_dot4_i32_i8 v60, v99, v5, v60
	v_cvt_f32_i32_e32 v60, v60
	v_cvt_f32_i32_e32 v28, v108
	v_dot4_i32_i8 v108, v18, v2, 0
	v_dot4_i32_i8 v108, v70, v3, v108
	v_mul_f32_e32 v60, v101, v60
	v_fma_mix_f32 v28, v83, v28, -v60 op_sel_hi:[1,0,0]
	v_fmac_f32_e32 v55, v29, v28
	v_dot4_i32_i8 v28, v73, v6, 0
	v_dot4_i32_i8 v28, v20, v7, v28
	;; [unrolled: 1-line block ×6, first 2 shown]
	v_mul_lo_u32 v28, v28, v90
	v_dot4_i32_i8 v60, v115, v8, v60
	v_dot4_i32_i8 v60, v115, v9, v60
	;; [unrolled: 1-line block ×6, first 2 shown]
	v_mad_u64_u32 v[108:109], s[16:17], v108, v114, v[28:29]
	v_dot4_i32_i8 v60, v116, v4, v60
	v_dot4_i32_i8 v60, v116, v5, v60
	v_cvt_f32_i32_e32 v60, v60
	v_cvt_f32_i32_e32 v28, v108
	v_mul_f32_e32 v60, v1, v60
	v_fma_mix_f32 v28, v68, v28, -v60 op_sel_hi:[1,0,0]
	v_fmac_f32_e32 v54, v29, v28
	v_dot4_i32_i8 v28, v16, v6, 0
	v_dot4_i32_i8 v6, v112, v6, 0
	;; [unrolled: 1-line block ×8, first 2 shown]
	v_mul_lo_u32 v6, v7, v113
	v_dot4_i32_i8 v7, v13, v2, 0
	v_dot4_i32_i8 v2, v14, v2, v8
	;; [unrolled: 1-line block ×8, first 2 shown]
	v_mad_u64_u32 v[2:3], s[16:17], v3, v65, v[6:7]
	v_cvt_f32_i32_e32 v3, v4
	v_cvt_f32_i32_e32 v2, v2
	v_mul_f32_e32 v3, v11, v3
	v_fma_mix_f32 v2, v61, v2, -v3 op_sel_hi:[1,0,0]
	v_fmac_f32_e32 v52, v29, v2
	ds_read_b128 v[6:9], v107 offset:3072
	ds_read_b128 v[2:5], v107 offset:3088
	s_waitcnt lgkmcnt(1)
	v_dot4_i32_i8 v28, v25, v6, 0
	v_dot4_i32_i8 v29, v92, v6, 0
	;; [unrolled: 1-line block ×8, first 2 shown]
	v_mul_lo_u32 v28, v28, v95
	s_waitcnt lgkmcnt(0)
	v_dot4_i32_i8 v60, v23, v2, 0
	v_dot4_i32_i8 v29, v93, v2, v29
	;; [unrolled: 1-line block ×8, first 2 shown]
                                        ; kill: def $vgpr29 killed $sgpr0 killed $exec
	v_mad_u64_u32 v[28:29], s[16:17], v60, v0, v[28:29]
	v_cvt_f32_i32_e32 v29, v108
	v_dot4_i32_i8 v60, v87, v2, 0
	v_cvt_f32_i32_e32 v28, v28
	v_dot4_i32_i8 v60, v88, v3, v60
	v_mul_f32_e32 v29, v96, v29
	v_dot4_i32_i8 v60, v26, v4, v60
	v_fma_mix_f32 v28, v76, v28, -v29 op_sel_hi:[1,0,0]
	v_fmac_f32_e32 v50, v30, v28
	v_dot4_i32_i8 v28, v80, v6, 0
	v_dot4_i32_i8 v29, v98, v6, 0
	;; [unrolled: 1-line block ×8, first 2 shown]
	v_mul_lo_u32 v28, v28, v100
	v_dot4_i32_i8 v29, v99, v2, v29
	v_dot4_i32_i8 v29, v99, v3, v29
	;; [unrolled: 1-line block ×5, first 2 shown]
                                        ; kill: def $vgpr29 killed $sgpr0 killed $exec
	v_mad_u64_u32 v[28:29], s[16:17], v60, v97, v[28:29]
	v_cvt_f32_i32_e32 v29, v108
	v_dot4_i32_i8 v60, v18, v2, 0
	v_cvt_f32_i32_e32 v28, v28
	v_dot4_i32_i8 v60, v70, v3, v60
	v_mul_f32_e32 v29, v101, v29
	v_dot4_i32_i8 v60, v19, v4, v60
	v_fma_mix_f32 v28, v83, v28, -v29 op_sel_hi:[1,0,0]
	v_fmac_f32_e32 v49, v30, v28
	v_dot4_i32_i8 v28, v73, v6, 0
	v_dot4_i32_i8 v29, v115, v6, 0
	;; [unrolled: 1-line block ×8, first 2 shown]
	v_mul_lo_u32 v28, v28, v90
	v_dot4_i32_i8 v29, v116, v2, v29
	v_dot4_i32_i8 v29, v116, v3, v29
	;; [unrolled: 1-line block ×5, first 2 shown]
                                        ; kill: def $vgpr29 killed $sgpr0 killed $exec
	v_mad_u64_u32 v[28:29], s[16:17], v60, v114, v[28:29]
	v_cvt_f32_i32_e32 v29, v108
	v_cvt_f32_i32_e32 v28, v28
	v_mul_f32_e32 v29, v1, v29
	v_fma_mix_f32 v28, v68, v28, -v29 op_sel_hi:[1,0,0]
	v_fmac_f32_e32 v48, v30, v28
	v_dot4_i32_i8 v28, v16, v6, 0
	v_dot4_i32_i8 v6, v112, v6, 0
	v_dot4_i32_i8 v28, v67, v7, v28
	v_dot4_i32_i8 v6, v112, v7, v6
	v_dot4_i32_i8 v7, v15, v8, v28
	v_dot4_i32_i8 v6, v112, v8, v6
	v_dot4_i32_i8 v7, v66, v9, v7
	v_dot4_i32_i8 v8, v112, v9, v6
	v_mul_lo_u32 v6, v7, v113
	v_dot4_i32_i8 v7, v13, v2, 0
	v_dot4_i32_i8 v2, v14, v2, v8
	;; [unrolled: 1-line block ×8, first 2 shown]
	v_mad_u64_u32 v[2:3], s[16:17], v3, v65, v[6:7]
	v_cvt_f32_i32_e32 v3, v4
	v_cvt_f32_i32_e32 v2, v2
	v_mul_f32_e32 v3, v11, v3
	v_fma_mix_f32 v2, v61, v2, -v3 op_sel_hi:[1,0,0]
	v_fmac_f32_e32 v47, v30, v2
	ds_read2_b32 v[29:30], v106 offset0:128 offset1:160
	ds_read_b128 v[6:9], v107 offset:4096
	ds_read_b128 v[2:5], v107 offset:4112
	s_waitcnt lgkmcnt(1)
	v_dot4_i32_i8 v28, v25, v6, 0
	v_dot4_i32_i8 v28, v78, v7, v28
	;; [unrolled: 1-line block ×6, first 2 shown]
	v_mul_lo_u32 v28, v28, v95
	s_waitcnt lgkmcnt(0)
	v_dot4_i32_i8 v108, v23, v2, 0
	v_dot4_i32_i8 v60, v92, v8, v60
	;; [unrolled: 1-line block ×8, first 2 shown]
	v_mad_u64_u32 v[108:109], s[16:17], v108, v0, v[28:29]
	v_dot4_i32_i8 v60, v93, v4, v60
	v_dot4_i32_i8 v60, v93, v5, v60
	v_cvt_f32_i32_e32 v60, v60
	v_cvt_f32_i32_e32 v28, v108
	v_dot4_i32_i8 v108, v87, v2, 0
	v_dot4_i32_i8 v108, v88, v3, v108
	v_mul_f32_e32 v60, v96, v60
	v_fma_mix_f32 v28, v76, v28, -v60 op_sel_hi:[1,0,0]
	v_fmac_f32_e32 v46, v29, v28
	v_dot4_i32_i8 v28, v80, v6, 0
	v_dot4_i32_i8 v28, v82, v7, v28
	;; [unrolled: 1-line block ×6, first 2 shown]
	v_mul_lo_u32 v28, v28, v100
	v_dot4_i32_i8 v60, v98, v8, v60
	v_dot4_i32_i8 v60, v98, v9, v60
	;; [unrolled: 1-line block ×6, first 2 shown]
	v_mad_u64_u32 v[108:109], s[16:17], v108, v97, v[28:29]
	v_dot4_i32_i8 v60, v99, v4, v60
	v_dot4_i32_i8 v60, v99, v5, v60
	v_cvt_f32_i32_e32 v60, v60
	v_cvt_f32_i32_e32 v28, v108
	v_dot4_i32_i8 v108, v18, v2, 0
	v_dot4_i32_i8 v108, v70, v3, v108
	v_mul_f32_e32 v60, v101, v60
	v_fma_mix_f32 v28, v83, v28, -v60 op_sel_hi:[1,0,0]
	v_fmac_f32_e32 v45, v29, v28
	v_dot4_i32_i8 v28, v73, v6, 0
	v_dot4_i32_i8 v28, v20, v7, v28
	;; [unrolled: 1-line block ×6, first 2 shown]
	v_mul_lo_u32 v28, v28, v90
	v_dot4_i32_i8 v60, v115, v8, v60
	v_dot4_i32_i8 v60, v115, v9, v60
	v_dot4_i32_i8 v108, v19, v4, v108
	v_dot4_i32_i8 v60, v116, v2, v60
	v_dot4_i32_i8 v108, v72, v5, v108
	v_dot4_i32_i8 v60, v116, v3, v60
	v_mad_u64_u32 v[108:109], s[16:17], v108, v114, v[28:29]
	v_dot4_i32_i8 v60, v116, v4, v60
	v_dot4_i32_i8 v60, v116, v5, v60
	v_cvt_f32_i32_e32 v60, v60
	v_cvt_f32_i32_e32 v28, v108
	v_mul_f32_e32 v60, v1, v60
	v_fma_mix_f32 v28, v68, v28, -v60 op_sel_hi:[1,0,0]
	v_fmac_f32_e32 v44, v29, v28
	v_dot4_i32_i8 v28, v16, v6, 0
	v_dot4_i32_i8 v6, v112, v6, 0
	;; [unrolled: 1-line block ×8, first 2 shown]
	v_mul_lo_u32 v6, v7, v113
	v_dot4_i32_i8 v7, v13, v2, 0
	v_dot4_i32_i8 v2, v14, v2, v8
	v_dot4_i32_i8 v7, v63, v3, v7
	v_dot4_i32_i8 v2, v14, v3, v2
	v_dot4_i32_i8 v3, v12, v4, v7
	v_dot4_i32_i8 v2, v14, v4, v2
	v_dot4_i32_i8 v3, v62, v5, v3
	v_dot4_i32_i8 v4, v14, v5, v2
	v_mad_u64_u32 v[2:3], s[16:17], v3, v65, v[6:7]
	v_cvt_f32_i32_e32 v3, v4
	v_cvt_f32_i32_e32 v2, v2
	v_mul_f32_e32 v3, v11, v3
	v_fma_mix_f32 v2, v61, v2, -v3 op_sel_hi:[1,0,0]
	v_fmac_f32_e32 v43, v29, v2
	ds_read_b128 v[6:9], v107 offset:5120
	ds_read_b128 v[2:5], v107 offset:5136
	s_waitcnt lgkmcnt(1)
	v_dot4_i32_i8 v28, v25, v6, 0
	v_dot4_i32_i8 v29, v92, v6, 0
	;; [unrolled: 1-line block ×8, first 2 shown]
	v_mul_lo_u32 v28, v28, v95
	s_waitcnt lgkmcnt(0)
	v_dot4_i32_i8 v60, v23, v2, 0
	v_dot4_i32_i8 v29, v93, v2, v29
	;; [unrolled: 1-line block ×8, first 2 shown]
                                        ; kill: def $vgpr29 killed $sgpr0 killed $exec
	v_mad_u64_u32 v[28:29], s[16:17], v60, v0, v[28:29]
	v_cvt_f32_i32_e32 v29, v108
	v_dot4_i32_i8 v60, v87, v2, 0
	v_cvt_f32_i32_e32 v28, v28
	v_dot4_i32_i8 v60, v88, v3, v60
	v_mul_f32_e32 v29, v96, v29
	v_dot4_i32_i8 v60, v26, v4, v60
	v_fma_mix_f32 v28, v76, v28, -v29 op_sel_hi:[1,0,0]
	v_fmac_f32_e32 v42, v30, v28
	v_dot4_i32_i8 v28, v80, v6, 0
	v_dot4_i32_i8 v29, v98, v6, 0
	;; [unrolled: 1-line block ×8, first 2 shown]
	v_mul_lo_u32 v28, v28, v100
	v_dot4_i32_i8 v29, v99, v2, v29
	v_dot4_i32_i8 v29, v99, v3, v29
	;; [unrolled: 1-line block ×5, first 2 shown]
                                        ; kill: def $vgpr29 killed $sgpr0 killed $exec
	v_mad_u64_u32 v[28:29], s[16:17], v60, v97, v[28:29]
	v_cvt_f32_i32_e32 v29, v108
	v_dot4_i32_i8 v60, v18, v2, 0
	v_cvt_f32_i32_e32 v28, v28
	v_dot4_i32_i8 v60, v70, v3, v60
	v_mul_f32_e32 v29, v101, v29
	v_dot4_i32_i8 v60, v19, v4, v60
	v_fma_mix_f32 v28, v83, v28, -v29 op_sel_hi:[1,0,0]
	v_fmac_f32_e32 v41, v30, v28
	v_dot4_i32_i8 v28, v73, v6, 0
	v_dot4_i32_i8 v29, v115, v6, 0
	;; [unrolled: 1-line block ×8, first 2 shown]
	v_mul_lo_u32 v28, v28, v90
	v_dot4_i32_i8 v29, v116, v2, v29
	v_dot4_i32_i8 v29, v116, v3, v29
	;; [unrolled: 1-line block ×5, first 2 shown]
                                        ; kill: def $vgpr29 killed $sgpr0 killed $exec
	v_mad_u64_u32 v[28:29], s[16:17], v60, v114, v[28:29]
	v_cvt_f32_i32_e32 v29, v108
	v_cvt_f32_i32_e32 v28, v28
	v_mul_f32_e32 v29, v1, v29
	v_fma_mix_f32 v28, v68, v28, -v29 op_sel_hi:[1,0,0]
	v_fmac_f32_e32 v40, v30, v28
	v_dot4_i32_i8 v28, v16, v6, 0
	v_dot4_i32_i8 v6, v112, v6, 0
	;; [unrolled: 1-line block ×8, first 2 shown]
	v_mul_lo_u32 v6, v7, v113
	v_dot4_i32_i8 v7, v13, v2, 0
	v_dot4_i32_i8 v2, v14, v2, v8
	;; [unrolled: 1-line block ×8, first 2 shown]
	v_mad_u64_u32 v[2:3], s[16:17], v3, v65, v[6:7]
	v_cvt_f32_i32_e32 v3, v4
	v_cvt_f32_i32_e32 v2, v2
	v_mul_f32_e32 v3, v11, v3
	v_fma_mix_f32 v2, v61, v2, -v3 op_sel_hi:[1,0,0]
	v_fmac_f32_e32 v39, v30, v2
	ds_read2_b32 v[29:30], v106 offset0:192 offset1:224
	ds_read_b128 v[6:9], v107 offset:6144
	ds_read_b128 v[2:5], v107 offset:6160
	v_add_u32_e32 v106, 4, v106
	s_waitcnt lgkmcnt(1)
	v_dot4_i32_i8 v28, v25, v6, 0
	v_dot4_i32_i8 v28, v78, v7, v28
	v_dot4_i32_i8 v28, v21, v8, v28
	v_dot4_i32_i8 v60, v92, v6, 0
	v_dot4_i32_i8 v28, v22, v9, v28
	v_dot4_i32_i8 v60, v92, v7, v60
	v_mul_lo_u32 v28, v28, v95
	s_waitcnt lgkmcnt(0)
	v_dot4_i32_i8 v108, v23, v2, 0
	v_dot4_i32_i8 v60, v92, v8, v60
	;; [unrolled: 1-line block ×8, first 2 shown]
	v_mad_u64_u32 v[108:109], s[16:17], v108, v0, v[28:29]
	v_dot4_i32_i8 v60, v93, v4, v60
	v_dot4_i32_i8 v60, v93, v5, v60
	v_cvt_f32_i32_e32 v60, v60
	v_cvt_f32_i32_e32 v28, v108
	v_dot4_i32_i8 v108, v87, v2, 0
	v_dot4_i32_i8 v108, v88, v3, v108
	v_mul_f32_e32 v60, v96, v60
	v_fma_mix_f32 v28, v76, v28, -v60 op_sel_hi:[1,0,0]
	v_fmac_f32_e32 v38, v29, v28
	v_dot4_i32_i8 v28, v80, v6, 0
	v_dot4_i32_i8 v28, v82, v7, v28
	;; [unrolled: 1-line block ×6, first 2 shown]
	v_mul_lo_u32 v28, v28, v100
	v_dot4_i32_i8 v60, v98, v8, v60
	v_dot4_i32_i8 v60, v98, v9, v60
	;; [unrolled: 1-line block ×6, first 2 shown]
	v_mad_u64_u32 v[108:109], s[16:17], v108, v97, v[28:29]
	v_dot4_i32_i8 v60, v99, v4, v60
	v_dot4_i32_i8 v60, v99, v5, v60
	v_cvt_f32_i32_e32 v60, v60
	v_cvt_f32_i32_e32 v28, v108
	v_dot4_i32_i8 v108, v18, v2, 0
	v_dot4_i32_i8 v108, v70, v3, v108
	v_mul_f32_e32 v60, v101, v60
	v_fma_mix_f32 v28, v83, v28, -v60 op_sel_hi:[1,0,0]
	v_fmac_f32_e32 v37, v29, v28
	v_dot4_i32_i8 v28, v73, v6, 0
	v_dot4_i32_i8 v28, v20, v7, v28
	v_dot4_i32_i8 v28, v17, v8, v28
	v_dot4_i32_i8 v60, v115, v6, 0
	v_dot4_i32_i8 v28, v69, v9, v28
	v_dot4_i32_i8 v60, v115, v7, v60
	v_mul_lo_u32 v28, v28, v90
	v_dot4_i32_i8 v60, v115, v8, v60
	v_dot4_i32_i8 v60, v115, v9, v60
	;; [unrolled: 1-line block ×6, first 2 shown]
	v_mad_u64_u32 v[108:109], s[16:17], v108, v114, v[28:29]
	v_dot4_i32_i8 v60, v116, v4, v60
	v_dot4_i32_i8 v60, v116, v5, v60
	v_cvt_f32_i32_e32 v60, v60
	v_cvt_f32_i32_e32 v28, v108
	v_mul_f32_e32 v60, v1, v60
	v_fma_mix_f32 v28, v68, v28, -v60 op_sel_hi:[1,0,0]
	v_fmac_f32_e32 v36, v29, v28
	v_dot4_i32_i8 v28, v16, v6, 0
	v_dot4_i32_i8 v6, v112, v6, 0
	;; [unrolled: 1-line block ×8, first 2 shown]
	v_mul_lo_u32 v6, v7, v113
	v_dot4_i32_i8 v7, v13, v2, 0
	v_dot4_i32_i8 v2, v14, v2, v8
	;; [unrolled: 1-line block ×8, first 2 shown]
	v_mad_u64_u32 v[2:3], s[16:17], v3, v65, v[6:7]
	v_cvt_f32_i32_e32 v3, v4
	v_cvt_f32_i32_e32 v2, v2
	v_mul_f32_e32 v3, v11, v3
	v_fma_mix_f32 v2, v61, v2, -v3 op_sel_hi:[1,0,0]
	v_fmac_f32_e32 v35, v29, v2
	ds_read_b128 v[6:9], v107 offset:7168
	ds_read_b128 v[2:5], v107 offset:7184
	v_add_u32_e32 v107, 32, v107
	s_waitcnt lgkmcnt(1)
	v_dot4_i32_i8 v25, v25, v6, 0
	v_dot4_i32_i8 v28, v92, v6, 0
	v_dot4_i32_i8 v25, v78, v7, v25
	v_dot4_i32_i8 v28, v92, v7, v28
	v_dot4_i32_i8 v21, v21, v8, v25
	v_dot4_i32_i8 v25, v92, v8, v28
	v_dot4_i32_i8 v21, v22, v9, v21
	v_dot4_i32_i8 v22, v92, v9, v25
	v_mul_lo_u32 v21, v21, v95
	s_waitcnt lgkmcnt(0)
	v_dot4_i32_i8 v23, v23, v2, 0
	v_dot4_i32_i8 v22, v93, v2, v22
	v_dot4_i32_i8 v23, v24, v3, v23
	v_dot4_i32_i8 v22, v93, v3, v22
	v_dot4_i32_i8 v23, v74, v4, v23
	v_dot4_i32_i8 v22, v93, v4, v22
	v_dot4_i32_i8 v23, v75, v5, v23
	v_dot4_i32_i8 v24, v93, v5, v22
                                        ; kill: def $vgpr22 killed $sgpr0 killed $exec
	v_dot4_i32_i8 v18, v18, v2, 0
	v_mad_u64_u32 v[21:22], s[16:17], v23, v0, v[21:22]
	v_dot4_i32_i8 v22, v87, v2, 0
	v_dot4_i32_i8 v22, v88, v3, v22
	v_cvt_f32_i32_e32 v0, v21
	v_cvt_f32_i32_e32 v21, v24
	v_dot4_i32_i8 v22, v26, v4, v22
	v_dot4_i32_i8 v22, v102, v5, v22
	;; [unrolled: 1-line block ×3, first 2 shown]
	v_mul_f32_e32 v21, v96, v21
	v_fma_mix_f32 v0, v76, v0, -v21 op_sel_hi:[1,0,0]
	v_fmac_f32_e32 v34, v30, v0
	v_dot4_i32_i8 v0, v80, v6, 0
	v_dot4_i32_i8 v21, v98, v6, 0
	;; [unrolled: 1-line block ×8, first 2 shown]
	v_mul_lo_u32 v0, v0, v100
	v_dot4_i32_i8 v21, v99, v2, v21
	v_dot4_i32_i8 v21, v99, v3, v21
	;; [unrolled: 1-line block ×4, first 2 shown]
	v_mad_u64_u32 v[21:22], s[16:17], v22, v97, v[0:1]
	v_dot4_i32_i8 v18, v19, v4, v18
	v_dot4_i32_i8 v18, v72, v5, v18
	v_cvt_f32_i32_e32 v0, v21
	v_cvt_f32_i32_e32 v21, v23
	v_mul_f32_e32 v21, v101, v21
	v_fma_mix_f32 v0, v83, v0, -v21 op_sel_hi:[1,0,0]
	v_fmac_f32_e32 v33, v30, v0
	v_dot4_i32_i8 v0, v73, v6, 0
	v_dot4_i32_i8 v21, v115, v6, 0
	;; [unrolled: 1-line block ×8, first 2 shown]
	v_mul_lo_u32 v0, v0, v90
	v_dot4_i32_i8 v17, v116, v2, v17
	v_dot4_i32_i8 v17, v116, v3, v17
	v_dot4_i32_i8 v17, v116, v4, v17
	v_dot4_i32_i8 v19, v116, v5, v17
	v_mad_u64_u32 v[17:18], s[16:17], v18, v114, v[0:1]
	v_cvt_f32_i32_e32 v0, v17
	v_cvt_f32_i32_e32 v17, v19
	v_mul_f32_e32 v1, v1, v17
	v_fma_mix_f32 v0, v68, v0, -v1 op_sel_hi:[1,0,0]
	v_fmac_f32_e32 v32, v30, v0
	v_dot4_i32_i8 v0, v16, v6, 0
	v_dot4_i32_i8 v1, v112, v6, 0
	v_dot4_i32_i8 v0, v67, v7, v0
	v_dot4_i32_i8 v1, v112, v7, v1
	v_dot4_i32_i8 v0, v15, v8, v0
	v_dot4_i32_i8 v1, v112, v8, v1
	v_dot4_i32_i8 v6, v66, v9, v0
	v_dot4_i32_i8 v0, v112, v9, v1
	v_mul_lo_u32 v6, v6, v113
	v_dot4_i32_i8 v1, v13, v2, 0
	v_dot4_i32_i8 v1, v63, v3, v1
	;; [unrolled: 1-line block ×6, first 2 shown]
	v_mad_u64_u32 v[1:2], s[16:17], v1, v65, v[6:7]
	v_dot4_i32_i8 v0, v14, v4, v0
	v_dot4_i32_i8 v0, v14, v5, v0
	v_cvt_f32_i32_e32 v0, v0
	v_cvt_f32_i32_e32 v1, v1
	s_add_i32 s16, s11, 2
	s_cmp_lt_u32 s11, 14
	v_mul_f32_e32 v0, v11, v0
	v_fma_mix_f32 v0, v61, v1, -v0 op_sel_hi:[1,0,0]
	v_fmac_f32_e32 v31, v30, v0
	s_mov_b32 s11, s16
	s_cbranch_scc1 .LBB168_9
; %bb.10:                               ;   in Loop: Header=BB168_6 Depth=1
	s_or_b32 s11, s7, 1
	s_cmp_ge_i32 s11, s4
	s_barrier
	s_cbranch_scc1 .LBB168_5
; %bb.11:                               ;   in Loop: Header=BB168_6 Depth=1
	buffer_load_dword v0, off, s[20:23], 0 offset:412 ; 4-byte Folded Reload
	s_mov_b32 s11, 16
	s_waitcnt vmcnt(0)
	v_add_u32_e32 v2, s9, v0
	buffer_load_dword v0, off, s[20:23], 0 offset:8 ; 4-byte Folded Reload
	buffer_load_dword v3, off, s[20:23], 0 offset:40 ; 4-byte Folded Reload
	buffer_load_dword v4, off, s[20:23], 0 offset:44 ; 4-byte Folded Reload
	s_waitcnt vmcnt(2)
	v_add_u32_e32 v0, v2, v0
	s_waitcnt vmcnt(0)
	v_mad_i64_i32 v[0:1], s[16:17], v0, 36, v[3:4]
	global_load_dword v0, v[0:1], off offset:4
	s_nop 0
	buffer_load_dword v1, off, s[20:23], 0 offset:88 ; 4-byte Folded Reload
	s_waitcnt vmcnt(0)
	ds_write_b32 v1, v0
	buffer_load_dword v0, off, s[20:23], 0 offset:12 ; 4-byte Folded Reload
	s_waitcnt vmcnt(0)
	v_add_u32_e32 v0, v2, v0
	v_mad_i64_i32 v[0:1], s[16:17], v0, 36, v[3:4]
	global_load_dword v0, v[0:1], off offset:4
	s_nop 0
	buffer_load_dword v1, off, s[20:23], 0 offset:56 ; 4-byte Folded Reload
	s_waitcnt vmcnt(0)
	ds_write_b32 v1, v0
	buffer_load_dword v0, off, s[20:23], 0 offset:16 ; 4-byte Folded Reload
	s_waitcnt vmcnt(0)
	v_add_u32_e32 v0, v2, v0
	;; [unrolled: 9-line block ×8, first 2 shown]
	v_mad_u64_u32 v[0:1], s[16:17], v0, 36, s[2:3]
	global_load_dword v0, v[0:1], off
	s_nop 0
	buffer_load_dword v1, off, s[20:23], 0 offset:4 ; 4-byte Folded Reload
	s_waitcnt vmcnt(1)
	v_cvt_f32_f16_e32 v0, v0
	s_waitcnt vmcnt(0)
	ds_write_b32 v1, v0
	s_waitcnt lgkmcnt(0)
	s_barrier
	buffer_load_dword v107, off, s[20:23], 0 offset:52 ; 4-byte Folded Reload
	buffer_load_dword v106, off, s[20:23], 0 offset:48 ; 4-byte Folded Reload
.LBB168_12:                             ;   Parent Loop BB168_6 Depth=1
                                        ; =>  This Inner Loop Header: Depth=2
	s_and_b32 s17, s11, 0x3ffffff8
	v_lshl_add_u32 v14, s17, 2, v105
	s_waitcnt vmcnt(0)
	ds_read2_b32 v[29:30], v106 offset1:32
	ds_read_b128 v[6:9], v107
	ds_read_b128 v[2:5], v107 offset:16
	ds_read2_b32 v[0:1], v14 offset1:1
	s_add_i32 s18, s11, -16
	s_lshr_b32 s17, s11, 2
	s_and_b32 s17, s17, 0x3ffffffc
	s_addk_i32 s17, 0x7280
	s_waitcnt lgkmcnt(0)
	v_ashrrev_i32_e32 v0, s18, v0
	v_and_b32_e32 v25, 0x3030303, v0
	v_ashrrev_i32_e32 v0, s18, v1
	v_and_b32_e32 v78, 0x3030303, v0
	ds_read2_b32 v[0:1], v14 offset0:2 offset1:3
	s_and_b32 s16, s11, -16
	s_add_i32 s16, s11, s16
	v_add_u32_e32 v97, s16, v59
	v_add_u32_e32 v90, s16, v57
	s_waitcnt lgkmcnt(0)
	v_ashrrev_i32_e32 v0, s18, v0
	v_and_b32_e32 v21, 0x3030303, v0
	v_ashrrev_i32_e32 v0, s18, v1
	v_and_b32_e32 v22, 0x3030303, v0
	ds_read2_b32 v[0:1], v14 offset0:4 offset1:5
	v_add_u32_e32 v65, s16, v27
	s_waitcnt lgkmcnt(0)
	v_ashrrev_i32_e32 v0, s18, v0
	v_and_b32_e32 v23, 0x3030303, v0
	v_ashrrev_i32_e32 v0, s18, v1
	v_and_b32_e32 v24, 0x3030303, v0
	ds_read2_b32 v[0:1], v14 offset0:6 offset1:7
	s_waitcnt lgkmcnt(0)
	v_ashrrev_i32_e32 v0, s18, v0
	v_and_b32_e32 v74, 0x3030303, v0
	v_ashrrev_i32_e32 v0, s18, v1
	v_add3_u32 v1, s17, v104, v124
	ds_read_b32 v76, v1
	v_dot4_i32_i8 v1, v25, v6, 0
	v_dot4_i32_i8 v1, v78, v7, v1
	;; [unrolled: 1-line block ×6, first 2 shown]
	v_and_b32_e32 v75, 0x3030303, v0
	v_dot4_i32_i8 v1, v74, v4, v1
	v_dot4_i32_i8 v96, v75, v5, v1
	v_add_u32_e32 v1, 0x1080, v14
	ds_read2_b32 v[11:12], v1 offset1:1
	v_add_u32_e32 v0, s16, v10
	s_waitcnt lgkmcnt(0)
	v_ashrrev_i32_e32 v1, s18, v11
	v_and_b32_e32 v80, 0x3030303, v1
	v_ashrrev_i32_e32 v1, s18, v12
	v_and_b32_e32 v82, 0x3030303, v1
	v_add_u32_e32 v1, 0x1088, v14
	ds_read2_b32 v[11:12], v1 offset1:1
	s_waitcnt lgkmcnt(0)
	v_ashrrev_i32_e32 v1, s18, v11
	v_and_b32_e32 v84, 0x3030303, v1
	v_ashrrev_i32_e32 v1, s18, v12
	v_and_b32_e32 v86, 0x3030303, v1
	v_add_u32_e32 v1, 0x1090, v14
	ds_read2_b32 v[11:12], v1 offset1:1
	;; [unrolled: 7-line block ×3, first 2 shown]
	s_waitcnt lgkmcnt(0)
	v_ashrrev_i32_e32 v1, s18, v11
	v_and_b32_e32 v26, 0x3030303, v1
	v_ashrrev_i32_e32 v1, s18, v12
	v_and_b32_e32 v102, 0x3030303, v1
	v_add3_u32 v1, s17, v125, v126
	ds_read_b32 v83, v1
	v_dot4_i32_i8 v1, v80, v6, 0
	v_dot4_i32_i8 v1, v82, v7, v1
	;; [unrolled: 1-line block ×8, first 2 shown]
	v_add_u32_e32 v1, 0x2100, v14
	ds_read2_b32 v[11:12], v1 offset1:1
	s_waitcnt lgkmcnt(0)
	v_ashrrev_i32_e32 v1, s18, v11
	v_and_b32_e32 v73, 0x3030303, v1
	v_ashrrev_i32_e32 v1, s18, v12
	v_and_b32_e32 v20, 0x3030303, v1
	v_add_u32_e32 v1, 0x2108, v14
	ds_read2_b32 v[11:12], v1 offset1:1
	s_waitcnt lgkmcnt(0)
	v_ashrrev_i32_e32 v1, s18, v11
	v_and_b32_e32 v17, 0x3030303, v1
	v_ashrrev_i32_e32 v1, s18, v12
	v_and_b32_e32 v69, 0x3030303, v1
	;; [unrolled: 7-line block ×4, first 2 shown]
	v_add3_u32 v1, s17, v127, v51
	v_add_u32_e32 v11, 0x3180, v14
	ds_read_b32 v68, v1
	ds_read2_b32 v[11:12], v11 offset1:1
	v_dot4_i32_i8 v1, v73, v6, 0
	v_dot4_i32_i8 v1, v20, v7, v1
	;; [unrolled: 1-line block ×4, first 2 shown]
	s_waitcnt lgkmcnt(0)
	v_ashrrev_i32_e32 v11, s18, v11
	v_and_b32_e32 v16, 0x3030303, v11
	v_ashrrev_i32_e32 v11, s18, v12
	v_and_b32_e32 v67, 0x3030303, v11
	v_add_u32_e32 v11, 0x3188, v14
	ds_read2_b32 v[11:12], v11 offset1:1
	v_dot4_i32_i8 v1, v18, v2, 0
	v_dot4_i32_i8 v1, v70, v3, v1
	;; [unrolled: 1-line block ×4, first 2 shown]
	s_waitcnt lgkmcnt(0)
	v_ashrrev_i32_e32 v11, s18, v11
	v_and_b32_e32 v15, 0x3030303, v11
	v_ashrrev_i32_e32 v11, s18, v12
	v_and_b32_e32 v66, 0x3030303, v11
	v_add_u32_e32 v11, 0x3190, v14
	ds_read2_b32 v[11:12], v11 offset1:1
	s_waitcnt lgkmcnt(0)
	v_ashrrev_i32_e32 v11, s18, v11
	v_and_b32_e32 v13, 0x3030303, v11
	v_ashrrev_i32_e32 v11, s18, v12
	v_and_b32_e32 v63, 0x3030303, v11
	v_add_u32_e32 v11, 0x3198, v14
	ds_read2_b32 v[61:62], v11 offset1:1
	s_waitcnt lgkmcnt(0)
	v_ashrrev_i32_e32 v11, s18, v61
	v_and_b32_e32 v12, 0x3030303, v11
	v_ashrrev_i32_e32 v11, s18, v62
	v_and_b32_e32 v62, 0x3030303, v11
	v_add3_u32 v11, s17, v79, v81
	ds_read_b32 v61, v11
	ds_read_b128 v[108:111], v107 offset:1024
	ds_read_b128 v[117:120], v107 offset:1040
	ds_read_u16 v100, v0 offset:25072
	v_dot4_i32_i8 v11, v16, v6, 0
	v_dot4_i32_i8 v11, v67, v7, v11
	s_waitcnt lgkmcnt(2)
	v_dot4_i32_i8 v28, v25, v108, 0
	v_dot4_i32_i8 v28, v78, v109, v28
	;; [unrolled: 1-line block ×4, first 2 shown]
	s_waitcnt lgkmcnt(1)
	v_dot4_i32_i8 v28, v23, v117, 0
	s_waitcnt lgkmcnt(0)
	v_bfe_u32 v0, v100, 4, 4
	v_dot4_i32_i8 v28, v24, v118, v28
	v_mul_lo_u32 v92, v0, s8
	v_dot4_i32_i8 v28, v74, v119, v28
	v_dot4_i32_i8 v98, v75, v120, v28
	v_and_b32_e32 v28, 15, v100
	v_and_b32_e32 v95, 0xffff, v28
	v_dot4_i32_i8 v0, v92, v6, 0
	v_mul_lo_u32 v28, v95, v93
	v_lshrrev_b32_sdwa v93, v103, v100 dst_sel:DWORD dst_unused:UNUSED_PAD src0_sel:DWORD src1_sel:BYTE_1
	v_dot4_i32_i8 v0, v92, v7, v0
	v_mul_lo_u32 v93, v93, s8
	v_dot4_i32_i8 v0, v92, v8, v0
	v_dot4_i32_i8 v113, v92, v9, v0
	v_and_b32_sdwa v0, v100, v94 dst_sel:DWORD dst_unused:UNUSED_PAD src0_sel:BYTE_1 src1_sel:DWORD
	v_and_b32_e32 v0, 0xffff, v0
	v_dot4_i32_i8 v100, v93, v2, v113
	v_mad_u64_u32 v[113:114], s[16:17], v0, v96, v[28:29]
	v_dot4_i32_i8 v28, v92, v108, 0
	v_dot4_i32_i8 v28, v92, v109, v28
	;; [unrolled: 1-line block ×10, first 2 shown]
	v_mul_lo_u32 v28, v60, v95
	v_dot4_i32_i8 v100, v93, v5, v100
	v_cvt_f32_i32_e32 v100, v100
	v_cvt_f32_f16_sdwa v96, v76 dst_sel:DWORD dst_unused:UNUSED_PAD src0_sel:WORD_1
	v_cvt_f32_i32_e32 v115, v113
	v_mad_u64_u32 v[113:114], s[16:17], v98, v0, v[28:29]
	v_mul_f32_e32 v28, v96, v100
	v_fma_mix_f32 v28, v76, v115, -v28 op_sel_hi:[1,0,0]
	v_cvt_f32_i32_e32 v60, v116
	v_fmac_f32_e32 v53, v29, v28
	v_cvt_f32_i32_e32 v28, v113
	ds_read_u16 v113, v97 offset:26096
	v_mul_f32_e32 v60, v96, v60
	v_dot4_i32_i8 v11, v15, v8, v11
	v_fma_mix_f32 v28, v76, v28, -v60 op_sel_hi:[1,0,0]
	v_fmac_f32_e32 v77, v30, v28
	v_dot4_i32_i8 v28, v80, v108, 0
	v_dot4_i32_i8 v28, v82, v109, v28
	;; [unrolled: 1-line block ×8, first 2 shown]
	s_waitcnt lgkmcnt(0)
	v_bfe_u32 v28, v113, 4, 4
	v_mul_lo_u32 v98, v28, s8
	v_and_b32_sdwa v97, v113, v94 dst_sel:DWORD dst_unused:UNUSED_PAD src0_sel:BYTE_1 src1_sel:DWORD
	v_and_b32_e32 v97, 0xffff, v97
	v_dot4_i32_i8 v14, v66, v9, v11
	v_dot4_i32_i8 v28, v98, v6, 0
	;; [unrolled: 1-line block ×5, first 2 shown]
	v_and_b32_e32 v28, 15, v113
	v_and_b32_e32 v100, 0xffff, v28
	v_mul_lo_u32 v28, v100, v99
	v_lshrrev_b32_sdwa v99, v103, v113 dst_sel:DWORD dst_unused:UNUSED_PAD src0_sel:DWORD src1_sel:BYTE_1
	v_mul_lo_u32 v99, v99, s8
	v_dot4_i32_i8 v11, v13, v2, 0
	v_dot4_i32_i8 v11, v63, v3, v11
	;; [unrolled: 1-line block ×7, first 2 shown]
	v_mad_u64_u32 v[113:114], s[16:17], v97, v101, v[28:29]
	v_dot4_i32_i8 v28, v98, v108, 0
	v_dot4_i32_i8 v28, v98, v109, v28
	;; [unrolled: 1-line block ×8, first 2 shown]
	v_mul_lo_u32 v28, v60, v100
	v_cvt_f32_i32_e32 v116, v116
	v_cvt_f32_f16_sdwa v101, v83 dst_sel:DWORD dst_unused:UNUSED_PAD src0_sel:WORD_1
	v_cvt_f32_i32_e32 v121, v113
	v_mad_u64_u32 v[113:114], s[16:17], v115, v97, v[28:29]
	v_mul_f32_e32 v28, v101, v116
	v_fma_mix_f32 v28, v83, v121, -v28 op_sel_hi:[1,0,0]
	v_cvt_f32_i32_e32 v60, v122
	v_fmac_f32_e32 v91, v29, v28
	v_cvt_f32_i32_e32 v28, v113
	ds_read_u16 v113, v90 offset:27120
	v_mul_f32_e32 v60, v101, v60
	v_dot4_i32_i8 v11, v62, v5, v11
	v_fma_mix_f32 v28, v83, v28, -v60 op_sel_hi:[1,0,0]
	v_fmac_f32_e32 v71, v30, v28
	v_dot4_i32_i8 v28, v73, v108, 0
	v_dot4_i32_i8 v28, v20, v109, v28
	;; [unrolled: 1-line block ×8, first 2 shown]
	s_waitcnt lgkmcnt(0)
	v_bfe_u32 v28, v113, 4, 4
	v_mul_lo_u32 v115, v28, s8
	v_and_b32_sdwa v90, v113, v94 dst_sel:DWORD dst_unused:UNUSED_PAD src0_sel:BYTE_1 src1_sel:DWORD
	v_and_b32_e32 v114, 0xffff, v90
	v_dot4_i32_i8 v28, v115, v6, 0
	v_dot4_i32_i8 v28, v115, v7, v28
	v_dot4_i32_i8 v28, v115, v8, v28
	v_dot4_i32_i8 v122, v115, v9, v28
	v_and_b32_e32 v28, 15, v113
	v_and_b32_e32 v90, 0xffff, v28
	v_mul_lo_u32 v28, v90, v112
	v_lshrrev_b32_sdwa v112, v103, v113 dst_sel:DWORD dst_unused:UNUSED_PAD src0_sel:DWORD src1_sel:BYTE_1
	v_mul_lo_u32 v116, v112, s8
	v_dot4_i32_i8 v112, v116, v2, v122
	v_dot4_i32_i8 v112, v116, v3, v112
	;; [unrolled: 1-line block ×4, first 2 shown]
	v_mad_u64_u32 v[112:113], s[16:17], v114, v1, v[28:29]
	v_dot4_i32_i8 v1, v115, v108, 0
	v_dot4_i32_i8 v1, v115, v109, v1
	v_dot4_i32_i8 v1, v115, v110, v1
	v_dot4_i32_i8 v1, v115, v111, v1
	v_dot4_i32_i8 v1, v116, v117, v1
	v_dot4_i32_i8 v1, v116, v118, v1
	v_dot4_i32_i8 v1, v116, v119, v1
	v_dot4_i32_i8 v123, v116, v120, v1
	v_mul_lo_u32 v1, v60, v90
	v_cvt_f32_i32_e32 v28, v112
	v_cvt_f32_i32_e32 v122, v122
	v_mad_u64_u32 v[112:113], s[16:17], v121, v114, v[1:2]
	v_cvt_f32_f16_sdwa v1, v68 dst_sel:DWORD dst_unused:UNUSED_PAD src0_sel:WORD_1
	ds_read_u16 v121, v65 offset:28144
	v_mul_f32_e32 v60, v1, v122
	v_fma_mix_f32 v28, v68, v28, -v60 op_sel_hi:[1,0,0]
	s_waitcnt lgkmcnt(0)
	v_bfe_u32 v65, v121, 4, 4
	v_fmac_f32_e32 v89, v29, v28
	v_cvt_f32_i32_e32 v28, v112
	v_mul_lo_u32 v112, v65, s8
	v_cvt_f32_i32_e32 v60, v123
	v_dot4_i32_i8 v6, v112, v6, 0
	v_dot4_i32_i8 v6, v112, v7, v6
	;; [unrolled: 1-line block ×4, first 2 shown]
	v_and_b32_e32 v6, 15, v121
	v_and_b32_sdwa v8, v121, v94 dst_sel:DWORD dst_unused:UNUSED_PAD src0_sel:BYTE_1 src1_sel:DWORD
	v_and_b32_e32 v65, 0xffff, v8
	v_and_b32_e32 v113, 0xffff, v6
	v_lshrrev_b32_sdwa v8, v103, v121 dst_sel:DWORD dst_unused:UNUSED_PAD src0_sel:DWORD src1_sel:BYTE_1
	v_mul_lo_u32 v6, v113, v14
	v_mul_lo_u32 v14, v8, s8
	v_mul_f32_e32 v60, v1, v60
	v_fma_mix_f32 v28, v68, v28, -v60 op_sel_hi:[1,0,0]
	v_fmac_f32_e32 v64, v30, v28
	v_dot4_i32_i8 v2, v14, v2, v7
	v_dot4_i32_i8 v2, v14, v3, v2
	;; [unrolled: 1-line block ×4, first 2 shown]
	v_mad_u64_u32 v[2:3], s[16:17], v65, v11, v[6:7]
	v_dot4_i32_i8 v28, v16, v108, 0
	v_dot4_i32_i8 v28, v67, v109, v28
	v_cvt_f32_i32_e32 v5, v2
	v_dot4_i32_i8 v2, v112, v108, 0
	v_dot4_i32_i8 v2, v112, v109, v2
	;; [unrolled: 1-line block ×11, first 2 shown]
	v_mul_lo_u32 v2, v28, v113
	v_dot4_i32_i8 v60, v63, v118, v60
	v_cvt_f32_i32_e32 v4, v4
	v_cvt_f32_f16_sdwa v11, v61 dst_sel:DWORD dst_unused:UNUSED_PAD src0_sel:WORD_1
	v_dot4_i32_i8 v60, v12, v119, v60
	v_dot4_i32_i8 v60, v62, v120, v60
                                        ; kill: def $vgpr3 killed $sgpr0 killed $exec
	v_mad_u64_u32 v[2:3], s[16:17], v60, v65, v[2:3]
	v_mul_f32_e32 v3, v11, v4
	v_fma_mix_f32 v3, v61, v5, -v3 op_sel_hi:[1,0,0]
	v_fmac_f32_e32 v85, v29, v3
	v_cvt_f32_i32_e32 v3, v6
	v_cvt_f32_i32_e32 v2, v2
	v_mul_f32_e32 v3, v11, v3
	v_fma_mix_f32 v2, v61, v2, -v3 op_sel_hi:[1,0,0]
	v_fmac_f32_e32 v58, v30, v2
	ds_read2_b32 v[29:30], v106 offset0:64 offset1:96
	ds_read_b128 v[6:9], v107 offset:2048
	ds_read_b128 v[2:5], v107 offset:2064
	s_waitcnt lgkmcnt(1)
	v_dot4_i32_i8 v28, v25, v6, 0
	v_dot4_i32_i8 v28, v78, v7, v28
	;; [unrolled: 1-line block ×6, first 2 shown]
	v_mul_lo_u32 v28, v28, v95
	s_waitcnt lgkmcnt(0)
	v_dot4_i32_i8 v108, v23, v2, 0
	v_dot4_i32_i8 v60, v92, v8, v60
	v_dot4_i32_i8 v108, v24, v3, v108
	v_dot4_i32_i8 v60, v92, v9, v60
	v_dot4_i32_i8 v108, v74, v4, v108
	v_dot4_i32_i8 v60, v93, v2, v60
	v_dot4_i32_i8 v108, v75, v5, v108
	v_dot4_i32_i8 v60, v93, v3, v60
	v_mad_u64_u32 v[108:109], s[16:17], v108, v0, v[28:29]
	v_dot4_i32_i8 v60, v93, v4, v60
	v_dot4_i32_i8 v60, v93, v5, v60
	v_cvt_f32_i32_e32 v60, v60
	v_cvt_f32_i32_e32 v28, v108
	v_dot4_i32_i8 v108, v87, v2, 0
	v_dot4_i32_i8 v108, v88, v3, v108
	v_mul_f32_e32 v60, v96, v60
	v_fma_mix_f32 v28, v76, v28, -v60 op_sel_hi:[1,0,0]
	v_fmac_f32_e32 v56, v29, v28
	v_dot4_i32_i8 v28, v80, v6, 0
	v_dot4_i32_i8 v28, v82, v7, v28
	;; [unrolled: 1-line block ×6, first 2 shown]
	v_mul_lo_u32 v28, v28, v100
	v_dot4_i32_i8 v60, v98, v8, v60
	v_dot4_i32_i8 v60, v98, v9, v60
	;; [unrolled: 1-line block ×6, first 2 shown]
	v_mad_u64_u32 v[108:109], s[16:17], v108, v97, v[28:29]
	v_dot4_i32_i8 v60, v99, v4, v60
	v_dot4_i32_i8 v60, v99, v5, v60
	v_cvt_f32_i32_e32 v60, v60
	v_cvt_f32_i32_e32 v28, v108
	v_dot4_i32_i8 v108, v18, v2, 0
	v_dot4_i32_i8 v108, v70, v3, v108
	v_mul_f32_e32 v60, v101, v60
	v_fma_mix_f32 v28, v83, v28, -v60 op_sel_hi:[1,0,0]
	v_fmac_f32_e32 v55, v29, v28
	v_dot4_i32_i8 v28, v73, v6, 0
	v_dot4_i32_i8 v28, v20, v7, v28
	;; [unrolled: 1-line block ×6, first 2 shown]
	v_mul_lo_u32 v28, v28, v90
	v_dot4_i32_i8 v60, v115, v8, v60
	v_dot4_i32_i8 v60, v115, v9, v60
	;; [unrolled: 1-line block ×6, first 2 shown]
	v_mad_u64_u32 v[108:109], s[16:17], v108, v114, v[28:29]
	v_dot4_i32_i8 v60, v116, v4, v60
	v_dot4_i32_i8 v60, v116, v5, v60
	v_cvt_f32_i32_e32 v60, v60
	v_cvt_f32_i32_e32 v28, v108
	v_mul_f32_e32 v60, v1, v60
	v_fma_mix_f32 v28, v68, v28, -v60 op_sel_hi:[1,0,0]
	v_fmac_f32_e32 v54, v29, v28
	v_dot4_i32_i8 v28, v16, v6, 0
	v_dot4_i32_i8 v6, v112, v6, 0
	v_dot4_i32_i8 v28, v67, v7, v28
	v_dot4_i32_i8 v6, v112, v7, v6
	v_dot4_i32_i8 v7, v15, v8, v28
	v_dot4_i32_i8 v6, v112, v8, v6
	v_dot4_i32_i8 v7, v66, v9, v7
	v_dot4_i32_i8 v8, v112, v9, v6
	v_mul_lo_u32 v6, v7, v113
	v_dot4_i32_i8 v7, v13, v2, 0
	v_dot4_i32_i8 v2, v14, v2, v8
	;; [unrolled: 1-line block ×8, first 2 shown]
	v_mad_u64_u32 v[2:3], s[16:17], v3, v65, v[6:7]
	v_cvt_f32_i32_e32 v3, v4
	v_cvt_f32_i32_e32 v2, v2
	v_mul_f32_e32 v3, v11, v3
	v_fma_mix_f32 v2, v61, v2, -v3 op_sel_hi:[1,0,0]
	v_fmac_f32_e32 v52, v29, v2
	ds_read_b128 v[6:9], v107 offset:3072
	ds_read_b128 v[2:5], v107 offset:3088
	s_waitcnt lgkmcnt(1)
	v_dot4_i32_i8 v28, v25, v6, 0
	v_dot4_i32_i8 v29, v92, v6, 0
	v_dot4_i32_i8 v28, v78, v7, v28
	v_dot4_i32_i8 v29, v92, v7, v29
	v_dot4_i32_i8 v28, v21, v8, v28
	v_dot4_i32_i8 v29, v92, v8, v29
	v_dot4_i32_i8 v28, v22, v9, v28
	v_dot4_i32_i8 v29, v92, v9, v29
	v_mul_lo_u32 v28, v28, v95
	s_waitcnt lgkmcnt(0)
	v_dot4_i32_i8 v60, v23, v2, 0
	v_dot4_i32_i8 v29, v93, v2, v29
	;; [unrolled: 1-line block ×8, first 2 shown]
                                        ; kill: def $vgpr29 killed $sgpr0 killed $exec
	v_mad_u64_u32 v[28:29], s[16:17], v60, v0, v[28:29]
	v_cvt_f32_i32_e32 v29, v108
	v_dot4_i32_i8 v60, v87, v2, 0
	v_cvt_f32_i32_e32 v28, v28
	v_dot4_i32_i8 v60, v88, v3, v60
	v_mul_f32_e32 v29, v96, v29
	v_dot4_i32_i8 v60, v26, v4, v60
	v_fma_mix_f32 v28, v76, v28, -v29 op_sel_hi:[1,0,0]
	v_fmac_f32_e32 v50, v30, v28
	v_dot4_i32_i8 v28, v80, v6, 0
	v_dot4_i32_i8 v29, v98, v6, 0
	;; [unrolled: 1-line block ×8, first 2 shown]
	v_mul_lo_u32 v28, v28, v100
	v_dot4_i32_i8 v29, v99, v2, v29
	v_dot4_i32_i8 v29, v99, v3, v29
	;; [unrolled: 1-line block ×5, first 2 shown]
                                        ; kill: def $vgpr29 killed $sgpr0 killed $exec
	v_mad_u64_u32 v[28:29], s[16:17], v60, v97, v[28:29]
	v_cvt_f32_i32_e32 v29, v108
	v_dot4_i32_i8 v60, v18, v2, 0
	v_cvt_f32_i32_e32 v28, v28
	v_dot4_i32_i8 v60, v70, v3, v60
	v_mul_f32_e32 v29, v101, v29
	v_dot4_i32_i8 v60, v19, v4, v60
	v_fma_mix_f32 v28, v83, v28, -v29 op_sel_hi:[1,0,0]
	v_fmac_f32_e32 v49, v30, v28
	v_dot4_i32_i8 v28, v73, v6, 0
	v_dot4_i32_i8 v29, v115, v6, 0
	;; [unrolled: 1-line block ×8, first 2 shown]
	v_mul_lo_u32 v28, v28, v90
	v_dot4_i32_i8 v29, v116, v2, v29
	v_dot4_i32_i8 v29, v116, v3, v29
	;; [unrolled: 1-line block ×5, first 2 shown]
                                        ; kill: def $vgpr29 killed $sgpr0 killed $exec
	v_mad_u64_u32 v[28:29], s[16:17], v60, v114, v[28:29]
	v_cvt_f32_i32_e32 v29, v108
	v_cvt_f32_i32_e32 v28, v28
	v_mul_f32_e32 v29, v1, v29
	v_fma_mix_f32 v28, v68, v28, -v29 op_sel_hi:[1,0,0]
	v_fmac_f32_e32 v48, v30, v28
	v_dot4_i32_i8 v28, v16, v6, 0
	v_dot4_i32_i8 v6, v112, v6, 0
	;; [unrolled: 1-line block ×8, first 2 shown]
	v_mul_lo_u32 v6, v7, v113
	v_dot4_i32_i8 v7, v13, v2, 0
	v_dot4_i32_i8 v2, v14, v2, v8
	v_dot4_i32_i8 v7, v63, v3, v7
	v_dot4_i32_i8 v2, v14, v3, v2
	v_dot4_i32_i8 v3, v12, v4, v7
	v_dot4_i32_i8 v2, v14, v4, v2
	v_dot4_i32_i8 v3, v62, v5, v3
	v_dot4_i32_i8 v4, v14, v5, v2
	v_mad_u64_u32 v[2:3], s[16:17], v3, v65, v[6:7]
	v_cvt_f32_i32_e32 v3, v4
	v_cvt_f32_i32_e32 v2, v2
	v_mul_f32_e32 v3, v11, v3
	v_fma_mix_f32 v2, v61, v2, -v3 op_sel_hi:[1,0,0]
	v_fmac_f32_e32 v47, v30, v2
	ds_read2_b32 v[29:30], v106 offset0:128 offset1:160
	ds_read_b128 v[6:9], v107 offset:4096
	ds_read_b128 v[2:5], v107 offset:4112
	s_waitcnt lgkmcnt(1)
	v_dot4_i32_i8 v28, v25, v6, 0
	v_dot4_i32_i8 v28, v78, v7, v28
	;; [unrolled: 1-line block ×6, first 2 shown]
	v_mul_lo_u32 v28, v28, v95
	s_waitcnt lgkmcnt(0)
	v_dot4_i32_i8 v108, v23, v2, 0
	v_dot4_i32_i8 v60, v92, v8, v60
	;; [unrolled: 1-line block ×8, first 2 shown]
	v_mad_u64_u32 v[108:109], s[16:17], v108, v0, v[28:29]
	v_dot4_i32_i8 v60, v93, v4, v60
	v_dot4_i32_i8 v60, v93, v5, v60
	v_cvt_f32_i32_e32 v60, v60
	v_cvt_f32_i32_e32 v28, v108
	v_dot4_i32_i8 v108, v87, v2, 0
	v_dot4_i32_i8 v108, v88, v3, v108
	v_mul_f32_e32 v60, v96, v60
	v_fma_mix_f32 v28, v76, v28, -v60 op_sel_hi:[1,0,0]
	v_fmac_f32_e32 v46, v29, v28
	v_dot4_i32_i8 v28, v80, v6, 0
	v_dot4_i32_i8 v28, v82, v7, v28
	;; [unrolled: 1-line block ×6, first 2 shown]
	v_mul_lo_u32 v28, v28, v100
	v_dot4_i32_i8 v60, v98, v8, v60
	v_dot4_i32_i8 v60, v98, v9, v60
	;; [unrolled: 1-line block ×6, first 2 shown]
	v_mad_u64_u32 v[108:109], s[16:17], v108, v97, v[28:29]
	v_dot4_i32_i8 v60, v99, v4, v60
	v_dot4_i32_i8 v60, v99, v5, v60
	v_cvt_f32_i32_e32 v60, v60
	v_cvt_f32_i32_e32 v28, v108
	v_dot4_i32_i8 v108, v18, v2, 0
	v_dot4_i32_i8 v108, v70, v3, v108
	v_mul_f32_e32 v60, v101, v60
	v_fma_mix_f32 v28, v83, v28, -v60 op_sel_hi:[1,0,0]
	v_fmac_f32_e32 v45, v29, v28
	v_dot4_i32_i8 v28, v73, v6, 0
	v_dot4_i32_i8 v28, v20, v7, v28
	;; [unrolled: 1-line block ×6, first 2 shown]
	v_mul_lo_u32 v28, v28, v90
	v_dot4_i32_i8 v60, v115, v8, v60
	v_dot4_i32_i8 v60, v115, v9, v60
	;; [unrolled: 1-line block ×6, first 2 shown]
	v_mad_u64_u32 v[108:109], s[16:17], v108, v114, v[28:29]
	v_dot4_i32_i8 v60, v116, v4, v60
	v_dot4_i32_i8 v60, v116, v5, v60
	v_cvt_f32_i32_e32 v60, v60
	v_cvt_f32_i32_e32 v28, v108
	v_mul_f32_e32 v60, v1, v60
	v_fma_mix_f32 v28, v68, v28, -v60 op_sel_hi:[1,0,0]
	v_fmac_f32_e32 v44, v29, v28
	v_dot4_i32_i8 v28, v16, v6, 0
	v_dot4_i32_i8 v6, v112, v6, 0
	;; [unrolled: 1-line block ×8, first 2 shown]
	v_mul_lo_u32 v6, v7, v113
	v_dot4_i32_i8 v7, v13, v2, 0
	v_dot4_i32_i8 v2, v14, v2, v8
	;; [unrolled: 1-line block ×8, first 2 shown]
	v_mad_u64_u32 v[2:3], s[16:17], v3, v65, v[6:7]
	v_cvt_f32_i32_e32 v3, v4
	v_cvt_f32_i32_e32 v2, v2
	v_mul_f32_e32 v3, v11, v3
	v_fma_mix_f32 v2, v61, v2, -v3 op_sel_hi:[1,0,0]
	v_fmac_f32_e32 v43, v29, v2
	ds_read_b128 v[6:9], v107 offset:5120
	ds_read_b128 v[2:5], v107 offset:5136
	s_waitcnt lgkmcnt(1)
	v_dot4_i32_i8 v28, v25, v6, 0
	v_dot4_i32_i8 v29, v92, v6, 0
	;; [unrolled: 1-line block ×8, first 2 shown]
	v_mul_lo_u32 v28, v28, v95
	s_waitcnt lgkmcnt(0)
	v_dot4_i32_i8 v60, v23, v2, 0
	v_dot4_i32_i8 v29, v93, v2, v29
	;; [unrolled: 1-line block ×8, first 2 shown]
                                        ; kill: def $vgpr29 killed $sgpr0 killed $exec
	v_mad_u64_u32 v[28:29], s[16:17], v60, v0, v[28:29]
	v_cvt_f32_i32_e32 v29, v108
	v_dot4_i32_i8 v60, v87, v2, 0
	v_cvt_f32_i32_e32 v28, v28
	v_dot4_i32_i8 v60, v88, v3, v60
	v_mul_f32_e32 v29, v96, v29
	v_dot4_i32_i8 v60, v26, v4, v60
	v_fma_mix_f32 v28, v76, v28, -v29 op_sel_hi:[1,0,0]
	v_fmac_f32_e32 v42, v30, v28
	v_dot4_i32_i8 v28, v80, v6, 0
	v_dot4_i32_i8 v29, v98, v6, 0
	;; [unrolled: 1-line block ×8, first 2 shown]
	v_mul_lo_u32 v28, v28, v100
	v_dot4_i32_i8 v29, v99, v2, v29
	v_dot4_i32_i8 v29, v99, v3, v29
	;; [unrolled: 1-line block ×5, first 2 shown]
                                        ; kill: def $vgpr29 killed $sgpr0 killed $exec
	v_mad_u64_u32 v[28:29], s[16:17], v60, v97, v[28:29]
	v_cvt_f32_i32_e32 v29, v108
	v_dot4_i32_i8 v60, v18, v2, 0
	v_cvt_f32_i32_e32 v28, v28
	v_dot4_i32_i8 v60, v70, v3, v60
	v_mul_f32_e32 v29, v101, v29
	v_dot4_i32_i8 v60, v19, v4, v60
	v_fma_mix_f32 v28, v83, v28, -v29 op_sel_hi:[1,0,0]
	v_fmac_f32_e32 v41, v30, v28
	v_dot4_i32_i8 v28, v73, v6, 0
	v_dot4_i32_i8 v29, v115, v6, 0
	;; [unrolled: 1-line block ×8, first 2 shown]
	v_mul_lo_u32 v28, v28, v90
	v_dot4_i32_i8 v29, v116, v2, v29
	v_dot4_i32_i8 v29, v116, v3, v29
	;; [unrolled: 1-line block ×5, first 2 shown]
                                        ; kill: def $vgpr29 killed $sgpr0 killed $exec
	v_mad_u64_u32 v[28:29], s[16:17], v60, v114, v[28:29]
	v_cvt_f32_i32_e32 v29, v108
	v_cvt_f32_i32_e32 v28, v28
	v_mul_f32_e32 v29, v1, v29
	v_fma_mix_f32 v28, v68, v28, -v29 op_sel_hi:[1,0,0]
	v_fmac_f32_e32 v40, v30, v28
	v_dot4_i32_i8 v28, v16, v6, 0
	v_dot4_i32_i8 v6, v112, v6, 0
	;; [unrolled: 1-line block ×8, first 2 shown]
	v_mul_lo_u32 v6, v7, v113
	v_dot4_i32_i8 v7, v13, v2, 0
	v_dot4_i32_i8 v2, v14, v2, v8
	;; [unrolled: 1-line block ×8, first 2 shown]
	v_mad_u64_u32 v[2:3], s[16:17], v3, v65, v[6:7]
	v_cvt_f32_i32_e32 v3, v4
	v_cvt_f32_i32_e32 v2, v2
	v_mul_f32_e32 v3, v11, v3
	v_fma_mix_f32 v2, v61, v2, -v3 op_sel_hi:[1,0,0]
	v_fmac_f32_e32 v39, v30, v2
	ds_read2_b32 v[29:30], v106 offset0:192 offset1:224
	ds_read_b128 v[6:9], v107 offset:6144
	ds_read_b128 v[2:5], v107 offset:6160
	v_add_u32_e32 v106, 4, v106
	s_waitcnt lgkmcnt(1)
	v_dot4_i32_i8 v28, v25, v6, 0
	v_dot4_i32_i8 v28, v78, v7, v28
	;; [unrolled: 1-line block ×6, first 2 shown]
	v_mul_lo_u32 v28, v28, v95
	s_waitcnt lgkmcnt(0)
	v_dot4_i32_i8 v108, v23, v2, 0
	v_dot4_i32_i8 v60, v92, v8, v60
	;; [unrolled: 1-line block ×8, first 2 shown]
	v_mad_u64_u32 v[108:109], s[16:17], v108, v0, v[28:29]
	v_dot4_i32_i8 v60, v93, v4, v60
	v_dot4_i32_i8 v60, v93, v5, v60
	v_cvt_f32_i32_e32 v60, v60
	v_cvt_f32_i32_e32 v28, v108
	v_dot4_i32_i8 v108, v87, v2, 0
	v_dot4_i32_i8 v108, v88, v3, v108
	v_mul_f32_e32 v60, v96, v60
	v_fma_mix_f32 v28, v76, v28, -v60 op_sel_hi:[1,0,0]
	v_fmac_f32_e32 v38, v29, v28
	v_dot4_i32_i8 v28, v80, v6, 0
	v_dot4_i32_i8 v28, v82, v7, v28
	;; [unrolled: 1-line block ×6, first 2 shown]
	v_mul_lo_u32 v28, v28, v100
	v_dot4_i32_i8 v60, v98, v8, v60
	v_dot4_i32_i8 v60, v98, v9, v60
	;; [unrolled: 1-line block ×6, first 2 shown]
	v_mad_u64_u32 v[108:109], s[16:17], v108, v97, v[28:29]
	v_dot4_i32_i8 v60, v99, v4, v60
	v_dot4_i32_i8 v60, v99, v5, v60
	v_cvt_f32_i32_e32 v60, v60
	v_cvt_f32_i32_e32 v28, v108
	v_dot4_i32_i8 v108, v18, v2, 0
	v_dot4_i32_i8 v108, v70, v3, v108
	v_mul_f32_e32 v60, v101, v60
	v_fma_mix_f32 v28, v83, v28, -v60 op_sel_hi:[1,0,0]
	v_fmac_f32_e32 v37, v29, v28
	v_dot4_i32_i8 v28, v73, v6, 0
	v_dot4_i32_i8 v28, v20, v7, v28
	;; [unrolled: 1-line block ×6, first 2 shown]
	v_mul_lo_u32 v28, v28, v90
	v_dot4_i32_i8 v60, v115, v8, v60
	v_dot4_i32_i8 v60, v115, v9, v60
	;; [unrolled: 1-line block ×6, first 2 shown]
	v_mad_u64_u32 v[108:109], s[16:17], v108, v114, v[28:29]
	v_dot4_i32_i8 v60, v116, v4, v60
	v_dot4_i32_i8 v60, v116, v5, v60
	v_cvt_f32_i32_e32 v60, v60
	v_cvt_f32_i32_e32 v28, v108
	v_mul_f32_e32 v60, v1, v60
	v_fma_mix_f32 v28, v68, v28, -v60 op_sel_hi:[1,0,0]
	v_fmac_f32_e32 v36, v29, v28
	v_dot4_i32_i8 v28, v16, v6, 0
	v_dot4_i32_i8 v6, v112, v6, 0
	;; [unrolled: 1-line block ×8, first 2 shown]
	v_mul_lo_u32 v6, v7, v113
	v_dot4_i32_i8 v7, v13, v2, 0
	v_dot4_i32_i8 v2, v14, v2, v8
	;; [unrolled: 1-line block ×8, first 2 shown]
	v_mad_u64_u32 v[2:3], s[16:17], v3, v65, v[6:7]
	v_cvt_f32_i32_e32 v3, v4
	v_cvt_f32_i32_e32 v2, v2
	v_mul_f32_e32 v3, v11, v3
	v_fma_mix_f32 v2, v61, v2, -v3 op_sel_hi:[1,0,0]
	v_fmac_f32_e32 v35, v29, v2
	ds_read_b128 v[6:9], v107 offset:7168
	ds_read_b128 v[2:5], v107 offset:7184
	v_add_u32_e32 v107, 32, v107
	s_waitcnt lgkmcnt(1)
	v_dot4_i32_i8 v25, v25, v6, 0
	v_dot4_i32_i8 v28, v92, v6, 0
	;; [unrolled: 1-line block ×8, first 2 shown]
	v_mul_lo_u32 v21, v21, v95
	s_waitcnt lgkmcnt(0)
	v_dot4_i32_i8 v23, v23, v2, 0
	v_dot4_i32_i8 v22, v93, v2, v22
	;; [unrolled: 1-line block ×8, first 2 shown]
                                        ; kill: def $vgpr22 killed $sgpr0 killed $exec
	v_dot4_i32_i8 v18, v18, v2, 0
	v_mad_u64_u32 v[21:22], s[16:17], v23, v0, v[21:22]
	v_dot4_i32_i8 v22, v87, v2, 0
	v_dot4_i32_i8 v22, v88, v3, v22
	v_cvt_f32_i32_e32 v0, v21
	v_cvt_f32_i32_e32 v21, v24
	v_dot4_i32_i8 v22, v26, v4, v22
	v_dot4_i32_i8 v22, v102, v5, v22
	;; [unrolled: 1-line block ×3, first 2 shown]
	v_mul_f32_e32 v21, v96, v21
	v_fma_mix_f32 v0, v76, v0, -v21 op_sel_hi:[1,0,0]
	v_fmac_f32_e32 v34, v30, v0
	v_dot4_i32_i8 v0, v80, v6, 0
	v_dot4_i32_i8 v21, v98, v6, 0
	;; [unrolled: 1-line block ×8, first 2 shown]
	v_mul_lo_u32 v0, v0, v100
	v_dot4_i32_i8 v21, v99, v2, v21
	v_dot4_i32_i8 v21, v99, v3, v21
	;; [unrolled: 1-line block ×4, first 2 shown]
	v_mad_u64_u32 v[21:22], s[16:17], v22, v97, v[0:1]
	v_dot4_i32_i8 v18, v19, v4, v18
	v_dot4_i32_i8 v18, v72, v5, v18
	v_cvt_f32_i32_e32 v0, v21
	v_cvt_f32_i32_e32 v21, v23
	v_mul_f32_e32 v21, v101, v21
	v_fma_mix_f32 v0, v83, v0, -v21 op_sel_hi:[1,0,0]
	v_fmac_f32_e32 v33, v30, v0
	v_dot4_i32_i8 v0, v73, v6, 0
	v_dot4_i32_i8 v21, v115, v6, 0
	;; [unrolled: 1-line block ×8, first 2 shown]
	v_mul_lo_u32 v0, v0, v90
	v_dot4_i32_i8 v17, v116, v2, v17
	v_dot4_i32_i8 v17, v116, v3, v17
	;; [unrolled: 1-line block ×4, first 2 shown]
	v_mad_u64_u32 v[17:18], s[16:17], v18, v114, v[0:1]
	v_cvt_f32_i32_e32 v0, v17
	v_cvt_f32_i32_e32 v17, v19
	v_mul_f32_e32 v1, v1, v17
	v_fma_mix_f32 v0, v68, v0, -v1 op_sel_hi:[1,0,0]
	v_fmac_f32_e32 v32, v30, v0
	v_dot4_i32_i8 v0, v16, v6, 0
	v_dot4_i32_i8 v1, v112, v6, 0
	;; [unrolled: 1-line block ×8, first 2 shown]
	v_mul_lo_u32 v6, v6, v113
	v_dot4_i32_i8 v1, v13, v2, 0
	v_dot4_i32_i8 v1, v63, v3, v1
	;; [unrolled: 1-line block ×6, first 2 shown]
	v_mad_u64_u32 v[1:2], s[16:17], v1, v65, v[6:7]
	v_dot4_i32_i8 v0, v14, v4, v0
	v_dot4_i32_i8 v0, v14, v5, v0
	v_cvt_f32_i32_e32 v0, v0
	v_cvt_f32_i32_e32 v1, v1
	s_add_i32 s16, s11, 2
	s_cmp_lt_u32 s11, 22
	v_mul_f32_e32 v0, v11, v0
	v_fma_mix_f32 v0, v61, v1, -v0 op_sel_hi:[1,0,0]
	v_fmac_f32_e32 v31, v30, v0
	s_mov_b32 s11, s16
	s_cbranch_scc1 .LBB168_12
; %bb.13:                               ;   in Loop: Header=BB168_6 Depth=1
	s_barrier
	buffer_load_dword v0, off, s[20:23], 0 offset:416 ; 4-byte Folded Reload
	s_waitcnt vmcnt(0)
	v_add_u32_e32 v2, s9, v0
	buffer_load_dword v0, off, s[20:23], 0 offset:8 ; 4-byte Folded Reload
	buffer_load_dword v3, off, s[20:23], 0 offset:40 ; 4-byte Folded Reload
	buffer_load_dword v4, off, s[20:23], 0 offset:44 ; 4-byte Folded Reload
	s_mov_b32 s9, 24
	s_waitcnt vmcnt(2)
	v_add_u32_e32 v0, v2, v0
	s_waitcnt vmcnt(0)
	v_mad_i64_i32 v[0:1], s[16:17], v0, 36, v[3:4]
	global_load_dword v0, v[0:1], off offset:4
	s_nop 0
	buffer_load_dword v1, off, s[20:23], 0 offset:88 ; 4-byte Folded Reload
	s_waitcnt vmcnt(0)
	ds_write_b32 v1, v0
	buffer_load_dword v0, off, s[20:23], 0 offset:12 ; 4-byte Folded Reload
	s_waitcnt vmcnt(0)
	v_add_u32_e32 v0, v2, v0
	v_mad_i64_i32 v[0:1], s[16:17], v0, 36, v[3:4]
	global_load_dword v0, v[0:1], off offset:4
	s_nop 0
	buffer_load_dword v1, off, s[20:23], 0 offset:56 ; 4-byte Folded Reload
	s_waitcnt vmcnt(0)
	ds_write_b32 v1, v0
	buffer_load_dword v0, off, s[20:23], 0 offset:16 ; 4-byte Folded Reload
	s_waitcnt vmcnt(0)
	v_add_u32_e32 v0, v2, v0
	;; [unrolled: 9-line block ×8, first 2 shown]
	v_mad_u64_u32 v[0:1], s[16:17], v0, 36, s[2:3]
	global_load_dword v0, v[0:1], off
	s_nop 0
	buffer_load_dword v1, off, s[20:23], 0 offset:4 ; 4-byte Folded Reload
	s_waitcnt vmcnt(1)
	v_cvt_f32_f16_e32 v0, v0
	s_waitcnt vmcnt(0)
	ds_write_b32 v1, v0
	s_waitcnt lgkmcnt(0)
	s_barrier
	buffer_load_dword v0, off, s[20:23], 0 offset:52 ; 4-byte Folded Reload
	buffer_load_dword v60, off, s[20:23], 0 offset:48 ; 4-byte Folded Reload
.LBB168_14:                             ;   Parent Loop BB168_6 Depth=1
                                        ; =>  This Inner Loop Header: Depth=2
	s_and_b32 s16, s9, 0x3ffffff8
	v_lshl_add_u32 v14, s16, 2, v105
	s_waitcnt vmcnt(0)
	ds_read2_b32 v[29:30], v60 offset1:32
	ds_read_b128 v[6:9], v0
	ds_read_b128 v[2:5], v0 offset:16
	ds_read2_b32 v[11:12], v14 offset1:1
	s_sub_i32 s17, s9, 24
	s_lshr_b32 s16, s9, 2
	s_and_b32 s16, s16, 0x3ffffffc
	s_addk_i32 s16, 0x7280
	s_waitcnt lgkmcnt(0)
	v_ashrrev_i32_e32 v1, s17, v11
	v_and_b32_e32 v25, 0x3030303, v1
	v_ashrrev_i32_e32 v1, s17, v12
	ds_read2_b32 v[11:12], v14 offset0:2 offset1:3
	v_and_b32_e32 v78, 0x3030303, v1
	s_and_b32 s11, s9, -16
	s_add_i32 s11, s9, s11
	v_add_u32_e32 v92, s11, v10
	s_waitcnt lgkmcnt(0)
	v_ashrrev_i32_e32 v1, s17, v11
	v_and_b32_e32 v21, 0x3030303, v1
	v_ashrrev_i32_e32 v1, s17, v12
	ds_read2_b32 v[11:12], v14 offset0:4 offset1:5
	v_and_b32_e32 v22, 0x3030303, v1
	v_add_u32_e32 v97, s11, v59
	v_add_u32_e32 v90, s11, v57
	;; [unrolled: 1-line block ×3, first 2 shown]
	s_waitcnt lgkmcnt(0)
	v_ashrrev_i32_e32 v1, s17, v11
	v_and_b32_e32 v23, 0x3030303, v1
	v_ashrrev_i32_e32 v1, s17, v12
	ds_read2_b32 v[11:12], v14 offset0:6 offset1:7
	v_and_b32_e32 v24, 0x3030303, v1
	s_add_i32 s11, s9, 2
	s_cmp_lt_u32 s9, 30
	s_mov_b32 s9, s11
	s_waitcnt lgkmcnt(0)
	v_ashrrev_i32_e32 v1, s17, v11
	v_and_b32_e32 v74, 0x3030303, v1
	v_ashrrev_i32_e32 v1, s17, v12
	v_and_b32_e32 v75, 0x3030303, v1
	v_add3_u32 v1, s16, v104, v124
	ds_read_b32 v76, v1
	v_dot4_i32_i8 v1, v25, v6, 0
	v_dot4_i32_i8 v1, v78, v7, v1
	;; [unrolled: 1-line block ×8, first 2 shown]
	v_add_u32_e32 v1, 0x1080, v14
	ds_read2_b32 v[11:12], v1 offset1:1
	s_waitcnt lgkmcnt(0)
	v_ashrrev_i32_e32 v1, s17, v11
	v_and_b32_e32 v80, 0x3030303, v1
	v_ashrrev_i32_e32 v1, s17, v12
	v_and_b32_e32 v82, 0x3030303, v1
	v_add_u32_e32 v1, 0x1088, v14
	ds_read2_b32 v[11:12], v1 offset1:1
	s_waitcnt lgkmcnt(0)
	v_ashrrev_i32_e32 v1, s17, v11
	v_and_b32_e32 v84, 0x3030303, v1
	v_ashrrev_i32_e32 v1, s17, v12
	v_and_b32_e32 v86, 0x3030303, v1
	;; [unrolled: 7-line block ×4, first 2 shown]
	v_add3_u32 v1, s16, v125, v126
	ds_read_b32 v83, v1
	v_dot4_i32_i8 v1, v80, v6, 0
	v_dot4_i32_i8 v1, v82, v7, v1
	;; [unrolled: 1-line block ×8, first 2 shown]
	v_add_u32_e32 v1, 0x2100, v14
	ds_read2_b32 v[11:12], v1 offset1:1
	s_waitcnt lgkmcnt(0)
	v_ashrrev_i32_e32 v1, s17, v11
	v_and_b32_e32 v73, 0x3030303, v1
	v_ashrrev_i32_e32 v1, s17, v12
	v_and_b32_e32 v20, 0x3030303, v1
	v_add_u32_e32 v1, 0x2108, v14
	ds_read2_b32 v[11:12], v1 offset1:1
	s_waitcnt lgkmcnt(0)
	v_ashrrev_i32_e32 v1, s17, v11
	v_and_b32_e32 v17, 0x3030303, v1
	v_ashrrev_i32_e32 v1, s17, v12
	v_and_b32_e32 v69, 0x3030303, v1
	;; [unrolled: 7-line block ×4, first 2 shown]
	v_add3_u32 v1, s16, v127, v51
	v_add_u32_e32 v11, 0x3180, v14
	ds_read_b32 v68, v1
	ds_read2_b32 v[11:12], v11 offset1:1
	v_dot4_i32_i8 v1, v73, v6, 0
	v_dot4_i32_i8 v1, v20, v7, v1
	;; [unrolled: 1-line block ×4, first 2 shown]
	s_waitcnt lgkmcnt(0)
	v_ashrrev_i32_e32 v11, s17, v11
	v_and_b32_e32 v16, 0x3030303, v11
	v_ashrrev_i32_e32 v11, s17, v12
	v_and_b32_e32 v67, 0x3030303, v11
	v_add_u32_e32 v11, 0x3188, v14
	ds_read2_b32 v[11:12], v11 offset1:1
	v_dot4_i32_i8 v1, v18, v2, 0
	v_dot4_i32_i8 v1, v70, v3, v1
	;; [unrolled: 1-line block ×4, first 2 shown]
	s_waitcnt lgkmcnt(0)
	v_ashrrev_i32_e32 v11, s17, v11
	v_and_b32_e32 v15, 0x3030303, v11
	v_ashrrev_i32_e32 v11, s17, v12
	v_and_b32_e32 v66, 0x3030303, v11
	v_add_u32_e32 v11, 0x3190, v14
	ds_read2_b32 v[11:12], v11 offset1:1
	s_waitcnt lgkmcnt(0)
	v_ashrrev_i32_e32 v11, s17, v11
	v_and_b32_e32 v13, 0x3030303, v11
	v_ashrrev_i32_e32 v11, s17, v12
	v_and_b32_e32 v63, 0x3030303, v11
	v_add_u32_e32 v11, 0x3198, v14
	ds_read2_b32 v[61:62], v11 offset1:1
	s_waitcnt lgkmcnt(0)
	v_ashrrev_i32_e32 v11, s17, v61
	v_and_b32_e32 v12, 0x3030303, v11
	v_ashrrev_i32_e32 v11, s17, v62
	v_and_b32_e32 v62, 0x3030303, v11
	v_add3_u32 v11, s16, v79, v81
	ds_read_b32 v61, v11
	ds_read_b128 v[108:111], v0 offset:1024
	ds_read_b128 v[116:119], v0 offset:1040
	ds_read_u16 v107, v92 offset:25072
	v_dot4_i32_i8 v11, v16, v6, 0
	v_dot4_i32_i8 v11, v67, v7, v11
	s_waitcnt lgkmcnt(2)
	v_dot4_i32_i8 v28, v25, v108, 0
	v_dot4_i32_i8 v28, v78, v109, v28
	;; [unrolled: 1-line block ×4, first 2 shown]
	s_waitcnt lgkmcnt(1)
	v_dot4_i32_i8 v28, v23, v116, 0
	v_dot4_i32_i8 v28, v24, v117, v28
	;; [unrolled: 1-line block ×4, first 2 shown]
	s_waitcnt lgkmcnt(0)
	v_bfe_u32 v28, v107, 4, 4
	v_mul_lo_u32 v92, v28, s8
	v_and_b32_sdwa v95, v107, v94 dst_sel:DWORD dst_unused:UNUSED_PAD src0_sel:BYTE_1 src1_sel:DWORD
	v_and_b32_e32 v115, 0xffff, v95
	v_dot4_i32_i8 v11, v15, v8, v11
	v_dot4_i32_i8 v28, v92, v6, 0
	;; [unrolled: 1-line block ×5, first 2 shown]
	v_and_b32_e32 v28, 15, v107
	v_and_b32_e32 v95, 0xffff, v28
	v_mul_lo_u32 v28, v95, v93
	v_lshrrev_b32_sdwa v93, v103, v107 dst_sel:DWORD dst_unused:UNUSED_PAD src0_sel:DWORD src1_sel:BYTE_1
	v_mul_lo_u32 v93, v93, s8
	v_dot4_i32_i8 v14, v66, v9, v11
	v_dot4_i32_i8 v11, v13, v2, 0
	;; [unrolled: 1-line block ×4, first 2 shown]
	v_mad_u64_u32 v[112:113], s[16:17], v115, v96, v[28:29]
	v_dot4_i32_i8 v28, v92, v108, 0
	v_dot4_i32_i8 v28, v92, v109, v28
	;; [unrolled: 1-line block ×10, first 2 shown]
	v_mul_lo_u32 v28, v98, v95
	v_dot4_i32_i8 v107, v93, v5, v107
	v_cvt_f32_i32_e32 v107, v107
	v_cvt_f32_f16_sdwa v96, v76 dst_sel:DWORD dst_unused:UNUSED_PAD src0_sel:WORD_1
	v_cvt_f32_i32_e32 v114, v112
	v_mad_u64_u32 v[112:113], s[16:17], v100, v115, v[28:29]
	v_mul_f32_e32 v28, v96, v107
	v_fma_mix_f32 v28, v76, v114, -v28 op_sel_hi:[1,0,0]
	v_cvt_f32_i32_e32 v98, v120
	v_fmac_f32_e32 v53, v29, v28
	v_cvt_f32_i32_e32 v28, v112
	ds_read_u16 v112, v97 offset:26096
	v_mul_f32_e32 v98, v96, v98
	v_dot4_i32_i8 v11, v12, v4, v11
	v_fma_mix_f32 v28, v76, v28, -v98 op_sel_hi:[1,0,0]
	v_fmac_f32_e32 v77, v30, v28
	v_dot4_i32_i8 v28, v80, v108, 0
	v_dot4_i32_i8 v28, v82, v109, v28
	;; [unrolled: 1-line block ×8, first 2 shown]
	s_waitcnt lgkmcnt(0)
	v_bfe_u32 v28, v112, 4, 4
	v_mul_lo_u32 v98, v28, s8
	v_and_b32_sdwa v97, v112, v94 dst_sel:DWORD dst_unused:UNUSED_PAD src0_sel:BYTE_1 src1_sel:DWORD
	v_and_b32_e32 v97, 0xffff, v97
	v_dot4_i32_i8 v11, v62, v5, v11
	v_dot4_i32_i8 v28, v98, v6, 0
	;; [unrolled: 1-line block ×5, first 2 shown]
	v_and_b32_e32 v28, 15, v112
	v_and_b32_e32 v100, 0xffff, v28
	v_mul_lo_u32 v28, v100, v99
	v_lshrrev_b32_sdwa v99, v103, v112 dst_sel:DWORD dst_unused:UNUSED_PAD src0_sel:DWORD src1_sel:BYTE_1
	v_mul_lo_u32 v99, v99, s8
	v_dot4_i32_i8 v112, v99, v2, v113
	v_dot4_i32_i8 v112, v99, v3, v112
	;; [unrolled: 1-line block ×4, first 2 shown]
	v_mad_u64_u32 v[112:113], s[16:17], v97, v101, v[28:29]
	v_dot4_i32_i8 v28, v98, v108, 0
	v_dot4_i32_i8 v28, v98, v109, v28
	;; [unrolled: 1-line block ×8, first 2 shown]
	v_mul_lo_u32 v28, v107, v100
	v_cvt_f32_i32_e32 v120, v120
	v_cvt_f32_f16_sdwa v101, v83 dst_sel:DWORD dst_unused:UNUSED_PAD src0_sel:WORD_1
	v_cvt_f32_i32_e32 v121, v112
	v_mad_u64_u32 v[112:113], s[16:17], v114, v97, v[28:29]
	v_mul_f32_e32 v28, v101, v120
	v_fma_mix_f32 v28, v83, v121, -v28 op_sel_hi:[1,0,0]
	v_cvt_f32_i32_e32 v107, v122
	v_fmac_f32_e32 v91, v29, v28
	v_cvt_f32_i32_e32 v28, v112
	v_mul_f32_e32 v107, v101, v107
	v_fma_mix_f32 v28, v83, v28, -v107 op_sel_hi:[1,0,0]
	v_fmac_f32_e32 v71, v30, v28
	v_dot4_i32_i8 v28, v73, v108, 0
	v_dot4_i32_i8 v28, v20, v109, v28
	ds_read_u16 v107, v90 offset:27120
	v_dot4_i32_i8 v28, v17, v110, v28
	v_dot4_i32_i8 v120, v69, v111, v28
	;; [unrolled: 1-line block ×6, first 2 shown]
	s_waitcnt lgkmcnt(0)
	v_bfe_u32 v28, v107, 4, 4
	v_mul_lo_u32 v113, v28, s8
	v_and_b32_sdwa v90, v107, v94 dst_sel:DWORD dst_unused:UNUSED_PAD src0_sel:BYTE_1 src1_sel:DWORD
	v_and_b32_e32 v112, 0xffff, v90
	v_dot4_i32_i8 v28, v113, v6, 0
	v_dot4_i32_i8 v28, v113, v7, v28
	v_dot4_i32_i8 v28, v113, v8, v28
	v_dot4_i32_i8 v122, v113, v9, v28
	v_and_b32_e32 v28, 15, v107
	v_and_b32_e32 v90, 0xffff, v28
	v_mul_lo_u32 v28, v90, v106
	v_lshrrev_b32_sdwa v106, v103, v107 dst_sel:DWORD dst_unused:UNUSED_PAD src0_sel:DWORD src1_sel:BYTE_1
	v_mul_lo_u32 v114, v106, s8
	v_dot4_i32_i8 v106, v114, v2, v122
	v_dot4_i32_i8 v106, v114, v3, v106
	;; [unrolled: 1-line block ×4, first 2 shown]
	v_mad_u64_u32 v[106:107], s[16:17], v112, v1, v[28:29]
	v_dot4_i32_i8 v1, v113, v108, 0
	v_dot4_i32_i8 v1, v113, v109, v1
	;; [unrolled: 1-line block ×8, first 2 shown]
	v_mul_lo_u32 v1, v120, v90
	v_cvt_f32_i32_e32 v28, v106
	v_cvt_f32_i32_e32 v122, v122
	v_mad_u64_u32 v[106:107], s[16:17], v121, v112, v[1:2]
	v_cvt_f32_f16_sdwa v1, v68 dst_sel:DWORD dst_unused:UNUSED_PAD src0_sel:WORD_1
	ds_read_u16 v121, v65 offset:28144
	v_mul_f32_e32 v107, v1, v122
	v_fma_mix_f32 v28, v68, v28, -v107 op_sel_hi:[1,0,0]
	v_fmac_f32_e32 v89, v29, v28
	v_cvt_f32_i32_e32 v28, v106
	v_cvt_f32_i32_e32 v106, v123
	s_waitcnt lgkmcnt(0)
	v_bfe_u32 v65, v121, 4, 4
	v_mul_f32_e32 v106, v1, v106
	v_fma_mix_f32 v28, v68, v28, -v106 op_sel_hi:[1,0,0]
	v_dot4_i32_i8 v106, v13, v116, 0
	v_dot4_i32_i8 v106, v63, v117, v106
	;; [unrolled: 1-line block ×4, first 2 shown]
	v_mul_lo_u32 v106, v65, s8
	v_fmac_f32_e32 v64, v30, v28
	v_dot4_i32_i8 v28, v16, v108, 0
	v_dot4_i32_i8 v28, v67, v109, v28
	;; [unrolled: 1-line block ×6, first 2 shown]
	v_and_b32_e32 v6, 15, v121
	v_and_b32_sdwa v8, v121, v94 dst_sel:DWORD dst_unused:UNUSED_PAD src0_sel:BYTE_1 src1_sel:DWORD
	v_and_b32_e32 v65, 0xffff, v8
	v_and_b32_e32 v107, 0xffff, v6
	v_lshrrev_b32_sdwa v8, v103, v121 dst_sel:DWORD dst_unused:UNUSED_PAD src0_sel:DWORD src1_sel:BYTE_1
	v_mul_lo_u32 v6, v107, v14
	v_mul_lo_u32 v14, v8, s8
	v_dot4_i32_i8 v28, v15, v110, v28
	v_dot4_i32_i8 v28, v66, v111, v28
	;; [unrolled: 1-line block ×6, first 2 shown]
	v_mad_u64_u32 v[2:3], s[16:17], v65, v11, v[6:7]
	v_cvt_f32_i32_e32 v4, v4
	v_cvt_f32_f16_sdwa v11, v61 dst_sel:DWORD dst_unused:UNUSED_PAD src0_sel:WORD_1
	v_cvt_f32_i32_e32 v5, v2
	v_dot4_i32_i8 v2, v106, v108, 0
	v_dot4_i32_i8 v2, v106, v109, v2
	;; [unrolled: 1-line block ×8, first 2 shown]
	v_mul_lo_u32 v2, v28, v107
                                        ; kill: def $vgpr3 killed $sgpr0 killed $exec
	v_mad_u64_u32 v[2:3], s[16:17], v120, v65, v[2:3]
	v_mul_f32_e32 v3, v11, v4
	v_fma_mix_f32 v3, v61, v5, -v3 op_sel_hi:[1,0,0]
	v_fmac_f32_e32 v85, v29, v3
	v_cvt_f32_i32_e32 v3, v6
	v_cvt_f32_i32_e32 v2, v2
	v_mul_f32_e32 v3, v11, v3
	v_fma_mix_f32 v2, v61, v2, -v3 op_sel_hi:[1,0,0]
	v_fmac_f32_e32 v58, v30, v2
	ds_read2_b32 v[29:30], v60 offset0:64 offset1:96
	ds_read_b128 v[6:9], v0 offset:2048
	ds_read_b128 v[2:5], v0 offset:2064
	s_waitcnt lgkmcnt(1)
	v_dot4_i32_i8 v28, v25, v6, 0
	v_dot4_i32_i8 v108, v92, v6, 0
	;; [unrolled: 1-line block ×8, first 2 shown]
	v_mul_lo_u32 v28, v28, v95
	s_waitcnt lgkmcnt(0)
	v_dot4_i32_i8 v109, v23, v2, 0
	v_dot4_i32_i8 v108, v93, v2, v108
	;; [unrolled: 1-line block ×8, first 2 shown]
	v_mad_u64_u32 v[108:109], s[16:17], v109, v115, v[28:29]
	v_dot4_i32_i8 v109, v87, v2, 0
	v_dot4_i32_i8 v109, v88, v3, v109
	v_cvt_f32_i32_e32 v28, v108
	v_cvt_f32_i32_e32 v108, v110
	v_dot4_i32_i8 v109, v26, v4, v109
	v_dot4_i32_i8 v109, v102, v5, v109
	v_mul_f32_e32 v108, v96, v108
	v_fma_mix_f32 v28, v76, v28, -v108 op_sel_hi:[1,0,0]
	v_fmac_f32_e32 v56, v29, v28
	v_dot4_i32_i8 v28, v80, v6, 0
	v_dot4_i32_i8 v108, v98, v6, 0
	;; [unrolled: 1-line block ×8, first 2 shown]
	v_mul_lo_u32 v28, v28, v100
	v_dot4_i32_i8 v108, v99, v2, v108
	v_dot4_i32_i8 v108, v99, v3, v108
	;; [unrolled: 1-line block ×4, first 2 shown]
	v_mad_u64_u32 v[108:109], s[16:17], v109, v97, v[28:29]
	v_dot4_i32_i8 v109, v18, v2, 0
	v_dot4_i32_i8 v109, v70, v3, v109
	v_cvt_f32_i32_e32 v28, v108
	v_cvt_f32_i32_e32 v108, v110
	v_dot4_i32_i8 v109, v19, v4, v109
	v_dot4_i32_i8 v109, v72, v5, v109
	v_mul_f32_e32 v108, v101, v108
	v_fma_mix_f32 v28, v83, v28, -v108 op_sel_hi:[1,0,0]
	v_fmac_f32_e32 v55, v29, v28
	v_dot4_i32_i8 v28, v73, v6, 0
	v_dot4_i32_i8 v108, v113, v6, 0
	;; [unrolled: 1-line block ×8, first 2 shown]
	v_mul_lo_u32 v28, v28, v90
	v_dot4_i32_i8 v108, v114, v2, v108
	v_dot4_i32_i8 v108, v114, v3, v108
	;; [unrolled: 1-line block ×4, first 2 shown]
	v_mad_u64_u32 v[108:109], s[16:17], v109, v112, v[28:29]
	v_cvt_f32_i32_e32 v28, v108
	v_cvt_f32_i32_e32 v108, v110
	v_mul_f32_e32 v108, v1, v108
	v_fma_mix_f32 v28, v68, v28, -v108 op_sel_hi:[1,0,0]
	v_fmac_f32_e32 v54, v29, v28
	v_dot4_i32_i8 v28, v16, v6, 0
	v_dot4_i32_i8 v6, v106, v6, 0
	;; [unrolled: 1-line block ×8, first 2 shown]
	v_mul_lo_u32 v6, v7, v107
	v_dot4_i32_i8 v7, v13, v2, 0
	v_dot4_i32_i8 v2, v14, v2, v8
	;; [unrolled: 1-line block ×8, first 2 shown]
	v_mad_u64_u32 v[2:3], s[16:17], v3, v65, v[6:7]
	v_cvt_f32_i32_e32 v3, v4
	v_cvt_f32_i32_e32 v2, v2
	v_mul_f32_e32 v3, v11, v3
	v_fma_mix_f32 v2, v61, v2, -v3 op_sel_hi:[1,0,0]
	v_fmac_f32_e32 v52, v29, v2
	ds_read_b128 v[6:9], v0 offset:3072
	ds_read_b128 v[2:5], v0 offset:3088
	s_waitcnt lgkmcnt(1)
	v_dot4_i32_i8 v28, v25, v6, 0
	v_dot4_i32_i8 v29, v92, v6, 0
	;; [unrolled: 1-line block ×8, first 2 shown]
	v_mul_lo_u32 v28, v28, v95
	s_waitcnt lgkmcnt(0)
	v_dot4_i32_i8 v108, v23, v2, 0
	v_dot4_i32_i8 v29, v93, v2, v29
	;; [unrolled: 1-line block ×8, first 2 shown]
                                        ; kill: def $vgpr29 killed $sgpr0 killed $exec
	v_mad_u64_u32 v[28:29], s[16:17], v108, v115, v[28:29]
	v_cvt_f32_i32_e32 v29, v109
	v_dot4_i32_i8 v108, v87, v2, 0
	v_cvt_f32_i32_e32 v28, v28
	v_dot4_i32_i8 v108, v88, v3, v108
	v_mul_f32_e32 v29, v96, v29
	v_dot4_i32_i8 v108, v26, v4, v108
	v_fma_mix_f32 v28, v76, v28, -v29 op_sel_hi:[1,0,0]
	v_fmac_f32_e32 v50, v30, v28
	v_dot4_i32_i8 v28, v80, v6, 0
	v_dot4_i32_i8 v29, v98, v6, 0
	;; [unrolled: 1-line block ×8, first 2 shown]
	v_mul_lo_u32 v28, v28, v100
	v_dot4_i32_i8 v29, v99, v2, v29
	v_dot4_i32_i8 v29, v99, v3, v29
	;; [unrolled: 1-line block ×5, first 2 shown]
                                        ; kill: def $vgpr29 killed $sgpr0 killed $exec
	v_mad_u64_u32 v[28:29], s[16:17], v108, v97, v[28:29]
	v_cvt_f32_i32_e32 v29, v109
	v_dot4_i32_i8 v108, v18, v2, 0
	v_cvt_f32_i32_e32 v28, v28
	v_dot4_i32_i8 v108, v70, v3, v108
	v_mul_f32_e32 v29, v101, v29
	v_dot4_i32_i8 v108, v19, v4, v108
	v_fma_mix_f32 v28, v83, v28, -v29 op_sel_hi:[1,0,0]
	v_fmac_f32_e32 v49, v30, v28
	v_dot4_i32_i8 v28, v73, v6, 0
	v_dot4_i32_i8 v29, v113, v6, 0
	;; [unrolled: 1-line block ×8, first 2 shown]
	v_mul_lo_u32 v28, v28, v90
	v_dot4_i32_i8 v29, v114, v2, v29
	v_dot4_i32_i8 v29, v114, v3, v29
	;; [unrolled: 1-line block ×5, first 2 shown]
                                        ; kill: def $vgpr29 killed $sgpr0 killed $exec
	v_mad_u64_u32 v[28:29], s[16:17], v108, v112, v[28:29]
	v_cvt_f32_i32_e32 v29, v109
	v_cvt_f32_i32_e32 v28, v28
	v_mul_f32_e32 v29, v1, v29
	v_fma_mix_f32 v28, v68, v28, -v29 op_sel_hi:[1,0,0]
	v_fmac_f32_e32 v48, v30, v28
	v_dot4_i32_i8 v28, v16, v6, 0
	v_dot4_i32_i8 v6, v106, v6, 0
	;; [unrolled: 1-line block ×8, first 2 shown]
	v_mul_lo_u32 v6, v7, v107
	v_dot4_i32_i8 v7, v13, v2, 0
	v_dot4_i32_i8 v2, v14, v2, v8
	;; [unrolled: 1-line block ×8, first 2 shown]
	v_mad_u64_u32 v[2:3], s[16:17], v3, v65, v[6:7]
	v_cvt_f32_i32_e32 v3, v4
	v_cvt_f32_i32_e32 v2, v2
	v_mul_f32_e32 v3, v11, v3
	v_fma_mix_f32 v2, v61, v2, -v3 op_sel_hi:[1,0,0]
	v_fmac_f32_e32 v47, v30, v2
	ds_read2_b32 v[29:30], v60 offset0:128 offset1:160
	ds_read_b128 v[6:9], v0 offset:4096
	ds_read_b128 v[2:5], v0 offset:4112
	s_waitcnt lgkmcnt(1)
	v_dot4_i32_i8 v28, v25, v6, 0
	v_dot4_i32_i8 v108, v92, v6, 0
	;; [unrolled: 1-line block ×8, first 2 shown]
	v_mul_lo_u32 v28, v28, v95
	s_waitcnt lgkmcnt(0)
	v_dot4_i32_i8 v109, v23, v2, 0
	v_dot4_i32_i8 v108, v93, v2, v108
	;; [unrolled: 1-line block ×8, first 2 shown]
	v_mad_u64_u32 v[108:109], s[16:17], v109, v115, v[28:29]
	v_dot4_i32_i8 v109, v87, v2, 0
	v_dot4_i32_i8 v109, v88, v3, v109
	v_cvt_f32_i32_e32 v28, v108
	v_cvt_f32_i32_e32 v108, v110
	v_dot4_i32_i8 v109, v26, v4, v109
	v_dot4_i32_i8 v109, v102, v5, v109
	v_mul_f32_e32 v108, v96, v108
	v_fma_mix_f32 v28, v76, v28, -v108 op_sel_hi:[1,0,0]
	v_fmac_f32_e32 v46, v29, v28
	v_dot4_i32_i8 v28, v80, v6, 0
	v_dot4_i32_i8 v108, v98, v6, 0
	;; [unrolled: 1-line block ×8, first 2 shown]
	v_mul_lo_u32 v28, v28, v100
	v_dot4_i32_i8 v108, v99, v2, v108
	v_dot4_i32_i8 v108, v99, v3, v108
	;; [unrolled: 1-line block ×4, first 2 shown]
	v_mad_u64_u32 v[108:109], s[16:17], v109, v97, v[28:29]
	v_dot4_i32_i8 v109, v18, v2, 0
	v_dot4_i32_i8 v109, v70, v3, v109
	v_cvt_f32_i32_e32 v28, v108
	v_cvt_f32_i32_e32 v108, v110
	v_dot4_i32_i8 v109, v19, v4, v109
	v_dot4_i32_i8 v109, v72, v5, v109
	v_mul_f32_e32 v108, v101, v108
	v_fma_mix_f32 v28, v83, v28, -v108 op_sel_hi:[1,0,0]
	v_fmac_f32_e32 v45, v29, v28
	v_dot4_i32_i8 v28, v73, v6, 0
	v_dot4_i32_i8 v108, v113, v6, 0
	;; [unrolled: 1-line block ×8, first 2 shown]
	v_mul_lo_u32 v28, v28, v90
	v_dot4_i32_i8 v108, v114, v2, v108
	v_dot4_i32_i8 v108, v114, v3, v108
	;; [unrolled: 1-line block ×4, first 2 shown]
	v_mad_u64_u32 v[108:109], s[16:17], v109, v112, v[28:29]
	v_cvt_f32_i32_e32 v28, v108
	v_cvt_f32_i32_e32 v108, v110
	v_mul_f32_e32 v108, v1, v108
	v_fma_mix_f32 v28, v68, v28, -v108 op_sel_hi:[1,0,0]
	v_fmac_f32_e32 v44, v29, v28
	v_dot4_i32_i8 v28, v16, v6, 0
	v_dot4_i32_i8 v6, v106, v6, 0
	;; [unrolled: 1-line block ×8, first 2 shown]
	v_mul_lo_u32 v6, v7, v107
	v_dot4_i32_i8 v7, v13, v2, 0
	v_dot4_i32_i8 v2, v14, v2, v8
	;; [unrolled: 1-line block ×8, first 2 shown]
	v_mad_u64_u32 v[2:3], s[16:17], v3, v65, v[6:7]
	v_cvt_f32_i32_e32 v3, v4
	v_cvt_f32_i32_e32 v2, v2
	v_mul_f32_e32 v3, v11, v3
	v_fma_mix_f32 v2, v61, v2, -v3 op_sel_hi:[1,0,0]
	v_fmac_f32_e32 v43, v29, v2
	ds_read_b128 v[6:9], v0 offset:5120
	ds_read_b128 v[2:5], v0 offset:5136
	s_waitcnt lgkmcnt(1)
	v_dot4_i32_i8 v28, v25, v6, 0
	v_dot4_i32_i8 v29, v92, v6, 0
	;; [unrolled: 1-line block ×8, first 2 shown]
	v_mul_lo_u32 v28, v28, v95
	s_waitcnt lgkmcnt(0)
	v_dot4_i32_i8 v108, v23, v2, 0
	v_dot4_i32_i8 v29, v93, v2, v29
	;; [unrolled: 1-line block ×8, first 2 shown]
                                        ; kill: def $vgpr29 killed $sgpr0 killed $exec
	v_mad_u64_u32 v[28:29], s[16:17], v108, v115, v[28:29]
	v_cvt_f32_i32_e32 v29, v109
	v_dot4_i32_i8 v108, v87, v2, 0
	v_cvt_f32_i32_e32 v28, v28
	v_dot4_i32_i8 v108, v88, v3, v108
	v_mul_f32_e32 v29, v96, v29
	v_dot4_i32_i8 v108, v26, v4, v108
	v_fma_mix_f32 v28, v76, v28, -v29 op_sel_hi:[1,0,0]
	v_fmac_f32_e32 v42, v30, v28
	v_dot4_i32_i8 v28, v80, v6, 0
	v_dot4_i32_i8 v29, v98, v6, 0
	;; [unrolled: 1-line block ×8, first 2 shown]
	v_mul_lo_u32 v28, v28, v100
	v_dot4_i32_i8 v29, v99, v2, v29
	v_dot4_i32_i8 v29, v99, v3, v29
	v_dot4_i32_i8 v29, v99, v4, v29
	v_dot4_i32_i8 v108, v102, v5, v108
	v_dot4_i32_i8 v109, v99, v5, v29
                                        ; kill: def $vgpr29 killed $sgpr0 killed $exec
	v_mad_u64_u32 v[28:29], s[16:17], v108, v97, v[28:29]
	v_cvt_f32_i32_e32 v29, v109
	v_dot4_i32_i8 v108, v18, v2, 0
	v_cvt_f32_i32_e32 v28, v28
	v_dot4_i32_i8 v108, v70, v3, v108
	v_mul_f32_e32 v29, v101, v29
	v_dot4_i32_i8 v108, v19, v4, v108
	v_fma_mix_f32 v28, v83, v28, -v29 op_sel_hi:[1,0,0]
	v_fmac_f32_e32 v41, v30, v28
	v_dot4_i32_i8 v28, v73, v6, 0
	v_dot4_i32_i8 v29, v113, v6, 0
	;; [unrolled: 1-line block ×8, first 2 shown]
	v_mul_lo_u32 v28, v28, v90
	v_dot4_i32_i8 v29, v114, v2, v29
	v_dot4_i32_i8 v29, v114, v3, v29
	;; [unrolled: 1-line block ×5, first 2 shown]
                                        ; kill: def $vgpr29 killed $sgpr0 killed $exec
	v_mad_u64_u32 v[28:29], s[16:17], v108, v112, v[28:29]
	v_cvt_f32_i32_e32 v29, v109
	v_cvt_f32_i32_e32 v28, v28
	v_mul_f32_e32 v29, v1, v29
	v_fma_mix_f32 v28, v68, v28, -v29 op_sel_hi:[1,0,0]
	v_fmac_f32_e32 v40, v30, v28
	v_dot4_i32_i8 v28, v16, v6, 0
	v_dot4_i32_i8 v6, v106, v6, 0
	;; [unrolled: 1-line block ×8, first 2 shown]
	v_mul_lo_u32 v6, v7, v107
	v_dot4_i32_i8 v7, v13, v2, 0
	v_dot4_i32_i8 v2, v14, v2, v8
	;; [unrolled: 1-line block ×8, first 2 shown]
	v_mad_u64_u32 v[2:3], s[16:17], v3, v65, v[6:7]
	v_cvt_f32_i32_e32 v3, v4
	v_cvt_f32_i32_e32 v2, v2
	v_mul_f32_e32 v3, v11, v3
	v_fma_mix_f32 v2, v61, v2, -v3 op_sel_hi:[1,0,0]
	v_fmac_f32_e32 v39, v30, v2
	ds_read2_b32 v[29:30], v60 offset0:192 offset1:224
	ds_read_b128 v[6:9], v0 offset:6144
	ds_read_b128 v[2:5], v0 offset:6160
	v_add_u32_e32 v60, 4, v60
	s_waitcnt lgkmcnt(1)
	v_dot4_i32_i8 v28, v25, v6, 0
	v_dot4_i32_i8 v108, v92, v6, 0
	;; [unrolled: 1-line block ×8, first 2 shown]
	v_mul_lo_u32 v28, v28, v95
	s_waitcnt lgkmcnt(0)
	v_dot4_i32_i8 v109, v23, v2, 0
	v_dot4_i32_i8 v108, v93, v2, v108
	;; [unrolled: 1-line block ×8, first 2 shown]
	v_mad_u64_u32 v[108:109], s[16:17], v109, v115, v[28:29]
	v_dot4_i32_i8 v109, v87, v2, 0
	v_dot4_i32_i8 v109, v88, v3, v109
	v_cvt_f32_i32_e32 v28, v108
	v_cvt_f32_i32_e32 v108, v110
	v_dot4_i32_i8 v109, v26, v4, v109
	v_dot4_i32_i8 v109, v102, v5, v109
	v_mul_f32_e32 v108, v96, v108
	v_fma_mix_f32 v28, v76, v28, -v108 op_sel_hi:[1,0,0]
	v_fmac_f32_e32 v38, v29, v28
	v_dot4_i32_i8 v28, v80, v6, 0
	v_dot4_i32_i8 v108, v98, v6, 0
	;; [unrolled: 1-line block ×8, first 2 shown]
	v_mul_lo_u32 v28, v28, v100
	v_dot4_i32_i8 v108, v99, v2, v108
	v_dot4_i32_i8 v108, v99, v3, v108
	;; [unrolled: 1-line block ×4, first 2 shown]
	v_mad_u64_u32 v[108:109], s[16:17], v109, v97, v[28:29]
	v_dot4_i32_i8 v109, v18, v2, 0
	v_dot4_i32_i8 v109, v70, v3, v109
	v_cvt_f32_i32_e32 v28, v108
	v_cvt_f32_i32_e32 v108, v110
	v_dot4_i32_i8 v109, v19, v4, v109
	v_dot4_i32_i8 v109, v72, v5, v109
	v_mul_f32_e32 v108, v101, v108
	v_fma_mix_f32 v28, v83, v28, -v108 op_sel_hi:[1,0,0]
	v_fmac_f32_e32 v37, v29, v28
	v_dot4_i32_i8 v28, v73, v6, 0
	v_dot4_i32_i8 v108, v113, v6, 0
	;; [unrolled: 1-line block ×8, first 2 shown]
	v_mul_lo_u32 v28, v28, v90
	v_dot4_i32_i8 v108, v114, v2, v108
	v_dot4_i32_i8 v108, v114, v3, v108
	;; [unrolled: 1-line block ×4, first 2 shown]
	v_mad_u64_u32 v[108:109], s[16:17], v109, v112, v[28:29]
	v_cvt_f32_i32_e32 v28, v108
	v_cvt_f32_i32_e32 v108, v110
	v_mul_f32_e32 v108, v1, v108
	v_fma_mix_f32 v28, v68, v28, -v108 op_sel_hi:[1,0,0]
	v_fmac_f32_e32 v36, v29, v28
	v_dot4_i32_i8 v28, v16, v6, 0
	v_dot4_i32_i8 v6, v106, v6, 0
	;; [unrolled: 1-line block ×8, first 2 shown]
	v_mul_lo_u32 v6, v7, v107
	v_dot4_i32_i8 v7, v13, v2, 0
	v_dot4_i32_i8 v2, v14, v2, v8
	v_dot4_i32_i8 v7, v63, v3, v7
	v_dot4_i32_i8 v2, v14, v3, v2
	v_dot4_i32_i8 v3, v12, v4, v7
	v_dot4_i32_i8 v2, v14, v4, v2
	v_dot4_i32_i8 v3, v62, v5, v3
	v_dot4_i32_i8 v4, v14, v5, v2
	v_mad_u64_u32 v[2:3], s[16:17], v3, v65, v[6:7]
	v_cvt_f32_i32_e32 v3, v4
	v_cvt_f32_i32_e32 v2, v2
	v_mul_f32_e32 v3, v11, v3
	v_fma_mix_f32 v2, v61, v2, -v3 op_sel_hi:[1,0,0]
	v_fmac_f32_e32 v35, v29, v2
	ds_read_b128 v[6:9], v0 offset:7168
	ds_read_b128 v[2:5], v0 offset:7184
	v_add_u32_e32 v0, 32, v0
	s_waitcnt lgkmcnt(1)
	v_dot4_i32_i8 v25, v25, v6, 0
	v_dot4_i32_i8 v28, v92, v6, 0
	;; [unrolled: 1-line block ×8, first 2 shown]
	v_mul_lo_u32 v21, v21, v95
	s_waitcnt lgkmcnt(0)
	v_dot4_i32_i8 v23, v23, v2, 0
	v_dot4_i32_i8 v22, v93, v2, v22
	;; [unrolled: 1-line block ×8, first 2 shown]
                                        ; kill: def $vgpr22 killed $sgpr0 killed $exec
	v_dot4_i32_i8 v18, v18, v2, 0
	v_mad_u64_u32 v[21:22], s[16:17], v23, v115, v[21:22]
	v_cvt_f32_i32_e32 v22, v24
	v_dot4_i32_i8 v23, v87, v2, 0
	v_cvt_f32_i32_e32 v21, v21
	v_dot4_i32_i8 v23, v88, v3, v23
	v_mul_f32_e32 v22, v96, v22
	v_dot4_i32_i8 v23, v26, v4, v23
	v_fma_mix_f32 v21, v76, v21, -v22 op_sel_hi:[1,0,0]
	v_fmac_f32_e32 v34, v30, v21
	v_dot4_i32_i8 v21, v80, v6, 0
	v_dot4_i32_i8 v22, v98, v6, 0
	;; [unrolled: 1-line block ×8, first 2 shown]
	v_mul_lo_u32 v21, v21, v100
	v_dot4_i32_i8 v22, v99, v2, v22
	v_dot4_i32_i8 v22, v99, v3, v22
	;; [unrolled: 1-line block ×5, first 2 shown]
                                        ; kill: def $vgpr22 killed $sgpr0 killed $exec
	v_dot4_i32_i8 v18, v70, v3, v18
	v_mad_u64_u32 v[21:22], s[16:17], v23, v97, v[21:22]
	v_cvt_f32_i32_e32 v22, v24
	v_dot4_i32_i8 v18, v19, v4, v18
	v_cvt_f32_i32_e32 v21, v21
	v_dot4_i32_i8 v18, v72, v5, v18
	v_mul_f32_e32 v22, v101, v22
	v_fma_mix_f32 v21, v83, v21, -v22 op_sel_hi:[1,0,0]
	v_fmac_f32_e32 v33, v30, v21
	v_dot4_i32_i8 v21, v73, v6, 0
	v_dot4_i32_i8 v20, v20, v7, v21
	;; [unrolled: 1-line block ×6, first 2 shown]
	v_mul_lo_u32 v17, v17, v90
	v_dot4_i32_i8 v20, v113, v8, v21
	v_dot4_i32_i8 v20, v113, v9, v20
	;; [unrolled: 1-line block ×4, first 2 shown]
	v_mad_u64_u32 v[17:18], s[16:17], v18, v112, v[17:18]
	v_dot4_i32_i8 v19, v114, v4, v20
	v_dot4_i32_i8 v19, v114, v5, v19
	v_cvt_f32_i32_e32 v18, v19
	v_cvt_f32_i32_e32 v17, v17
	v_mul_f32_e32 v1, v1, v18
	v_fma_mix_f32 v1, v68, v17, -v1 op_sel_hi:[1,0,0]
	v_fmac_f32_e32 v32, v30, v1
	v_dot4_i32_i8 v1, v16, v6, 0
	v_dot4_i32_i8 v6, v106, v6, 0
	;; [unrolled: 1-line block ×8, first 2 shown]
	v_mul_lo_u32 v6, v7, v107
	v_dot4_i32_i8 v7, v13, v2, 0
	v_dot4_i32_i8 v1, v14, v2, v1
	;; [unrolled: 1-line block ×6, first 2 shown]
	v_mad_u64_u32 v[2:3], s[16:17], v2, v65, v[6:7]
	v_dot4_i32_i8 v1, v14, v4, v1
	v_dot4_i32_i8 v1, v14, v5, v1
	v_cvt_f32_i32_e32 v1, v1
	v_cvt_f32_i32_e32 v2, v2
	v_mul_f32_e32 v1, v11, v1
	v_fma_mix_f32 v1, v61, v2, -v1 op_sel_hi:[1,0,0]
	v_fmac_f32_e32 v31, v30, v1
	s_cbranch_scc1 .LBB168_14
; %bb.15:                               ;   in Loop: Header=BB168_6 Depth=1
	s_barrier
	s_branch .LBB168_5
.LBB168_16:
	buffer_load_dword v0, off, s[20:23], 0 offset:428 ; 4-byte Folded Reload
	buffer_load_dword v51, off, s[20:23], 0 offset:420 ; 4-byte Folded Reload
	;; [unrolled: 1-line block ×3, first 2 shown]
.LBB168_17:
	s_waitcnt vmcnt(2)
	v_cmp_gt_u32_e32 vcc, s10, v0
	s_and_saveexec_b64 s[0:1], vcc
	s_cbranch_execz .LBB168_68
; %bb.18:
	v_mul_lo_u32 v4, v0, s14
	s_waitcnt vmcnt(0)
	v_add_u32_e32 v0, s6, v57
	v_cmp_gt_u32_e64 s[0:1], s14, v0
	s_and_saveexec_b64 s[2:3], s[0:1]
	s_cbranch_execz .LBB168_20
; %bb.19:
	v_bfe_u32 v1, v53, 16, 1
	s_movk_i32 s4, 0x7fff
	v_add3_u32 v1, v53, v1, s4
	v_cmp_o_f32_e32 vcc, v53, v53
	v_mov_b32_e32 v2, 0x7fc0
	v_cndmask_b32_sdwa v3, v2, v1, vcc dst_sel:DWORD dst_unused:UNUSED_PAD src0_sel:DWORD src1_sel:WORD_1
	v_add_u32_e32 v1, v0, v4
	v_mov_b32_e32 v2, 0
	v_lshlrev_b64 v[1:2], 1, v[1:2]
	s_waitcnt lgkmcnt(0)
	v_mov_b32_e32 v5, s13
	v_add_co_u32_e32 v1, vcc, s12, v1
	v_addc_co_u32_e32 v2, vcc, v5, v2, vcc
	global_store_short v[1:2], v3, off
.LBB168_20:
	s_or_b64 exec, exec, s[2:3]
	v_add_u32_e32 v1, 32, v0
	v_cmp_gt_u32_e64 s[2:3], s14, v1
	s_and_saveexec_b64 s[4:5], s[2:3]
	s_cbranch_execz .LBB168_22
; %bb.21:
	v_bfe_u32 v2, v91, 16, 1
	s_movk_i32 s6, 0x7fff
	v_add3_u32 v2, v91, v2, s6
	v_cmp_o_f32_e32 vcc, v91, v91
	v_mov_b32_e32 v3, 0x7fc0
	v_cndmask_b32_sdwa v5, v3, v2, vcc dst_sel:DWORD dst_unused:UNUSED_PAD src0_sel:DWORD src1_sel:WORD_1
	v_add_u32_e32 v2, v1, v4
	v_mov_b32_e32 v3, 0
	v_lshlrev_b64 v[2:3], 1, v[2:3]
	s_waitcnt lgkmcnt(0)
	v_mov_b32_e32 v6, s13
	v_add_co_u32_e32 v2, vcc, s12, v2
	v_addc_co_u32_e32 v3, vcc, v6, v3, vcc
	global_store_short v[2:3], v5, off
.LBB168_22:
	s_or_b64 exec, exec, s[4:5]
	v_add_u32_e32 v2, 64, v0
	v_cmp_gt_u32_e64 s[4:5], s14, v2
	s_and_saveexec_b64 s[6:7], s[4:5]
	s_cbranch_execz .LBB168_24
; %bb.23:
	v_bfe_u32 v3, v89, 16, 1
	s_movk_i32 s8, 0x7fff
	v_add3_u32 v3, v89, v3, s8
	v_cmp_o_f32_e32 vcc, v89, v89
	v_mov_b32_e32 v5, 0x7fc0
	v_cndmask_b32_sdwa v3, v5, v3, vcc dst_sel:DWORD dst_unused:UNUSED_PAD src0_sel:DWORD src1_sel:WORD_1
	v_add_u32_e32 v5, v2, v4
	v_mov_b32_e32 v6, 0
	v_lshlrev_b64 v[5:6], 1, v[5:6]
	s_waitcnt lgkmcnt(0)
	v_mov_b32_e32 v7, s13
	v_add_co_u32_e32 v5, vcc, s12, v5
	v_addc_co_u32_e32 v6, vcc, v7, v6, vcc
	global_store_short v[5:6], v3, off
.LBB168_24:
	s_or_b64 exec, exec, s[6:7]
	v_add_u32_e32 v3, 0x60, v0
	v_cmp_gt_u32_e64 s[6:7], s14, v3
	s_and_saveexec_b64 s[8:9], s[6:7]
	s_cbranch_execz .LBB168_26
; %bb.25:
	v_bfe_u32 v5, v85, 16, 1
	s_movk_i32 s11, 0x7fff
	v_add3_u32 v5, v85, v5, s11
	v_cmp_o_f32_e32 vcc, v85, v85
	v_mov_b32_e32 v6, 0x7fc0
	v_cndmask_b32_sdwa v6, v6, v5, vcc dst_sel:DWORD dst_unused:UNUSED_PAD src0_sel:DWORD src1_sel:WORD_1
	v_add_u32_e32 v4, v3, v4
	v_mov_b32_e32 v5, 0
	v_lshlrev_b64 v[4:5], 1, v[4:5]
	s_waitcnt lgkmcnt(0)
	v_mov_b32_e32 v7, s13
	v_add_co_u32_e32 v4, vcc, s12, v4
	v_addc_co_u32_e32 v5, vcc, v7, v5, vcc
	global_store_short v[4:5], v6, off
.LBB168_26:
	s_or_b64 exec, exec, s[8:9]
	v_add3_u32 v4, v51, s15, 8
	v_cmp_gt_u32_e32 vcc, s10, v4
	s_and_b64 exec, exec, vcc
	s_cbranch_execz .LBB168_68
; %bb.27:
	v_mul_lo_u32 v4, v4, s14
	s_and_saveexec_b64 s[8:9], s[0:1]
	s_cbranch_execnz .LBB168_69
; %bb.28:
	s_or_b64 exec, exec, s[8:9]
	s_and_saveexec_b64 s[8:9], s[2:3]
	s_cbranch_execnz .LBB168_70
.LBB168_29:
	s_or_b64 exec, exec, s[8:9]
	s_and_saveexec_b64 s[8:9], s[4:5]
	s_cbranch_execnz .LBB168_71
.LBB168_30:
	s_or_b64 exec, exec, s[8:9]
	s_and_saveexec_b64 s[8:9], s[6:7]
	s_cbranch_execz .LBB168_32
.LBB168_31:
	v_bfe_u32 v5, v58, 16, 1
	s_movk_i32 s11, 0x7fff
	v_add3_u32 v5, v58, v5, s11
	v_cmp_o_f32_e32 vcc, v58, v58
	v_mov_b32_e32 v6, 0x7fc0
	v_cndmask_b32_sdwa v6, v6, v5, vcc dst_sel:DWORD dst_unused:UNUSED_PAD src0_sel:DWORD src1_sel:WORD_1
	v_add_u32_e32 v4, v4, v3
	v_mov_b32_e32 v5, 0
	v_lshlrev_b64 v[4:5], 1, v[4:5]
	s_waitcnt lgkmcnt(0)
	v_mov_b32_e32 v7, s13
	v_add_co_u32_e32 v4, vcc, s12, v4
	v_addc_co_u32_e32 v5, vcc, v7, v5, vcc
	global_store_short v[4:5], v6, off
.LBB168_32:
	s_or_b64 exec, exec, s[8:9]
	v_add3_u32 v4, v51, s15, 16
	v_cmp_gt_u32_e32 vcc, s10, v4
	s_and_b64 exec, exec, vcc
	s_cbranch_execz .LBB168_68
; %bb.33:
	v_mul_lo_u32 v4, v4, s14
	s_and_saveexec_b64 s[8:9], s[0:1]
	s_cbranch_execnz .LBB168_72
; %bb.34:
	s_or_b64 exec, exec, s[8:9]
	s_and_saveexec_b64 s[8:9], s[2:3]
	s_cbranch_execnz .LBB168_73
.LBB168_35:
	s_or_b64 exec, exec, s[8:9]
	s_and_saveexec_b64 s[8:9], s[4:5]
	s_cbranch_execnz .LBB168_74
.LBB168_36:
	s_or_b64 exec, exec, s[8:9]
	s_and_saveexec_b64 s[8:9], s[6:7]
	s_cbranch_execz .LBB168_38
.LBB168_37:
	v_bfe_u32 v5, v52, 16, 1
	s_movk_i32 s11, 0x7fff
	v_add3_u32 v5, v52, v5, s11
	v_cmp_o_f32_e32 vcc, v52, v52
	v_mov_b32_e32 v6, 0x7fc0
	v_cndmask_b32_sdwa v6, v6, v5, vcc dst_sel:DWORD dst_unused:UNUSED_PAD src0_sel:DWORD src1_sel:WORD_1
	v_add_u32_e32 v4, v4, v3
	v_mov_b32_e32 v5, 0
	v_lshlrev_b64 v[4:5], 1, v[4:5]
	s_waitcnt lgkmcnt(0)
	v_mov_b32_e32 v7, s13
	v_add_co_u32_e32 v4, vcc, s12, v4
	v_addc_co_u32_e32 v5, vcc, v7, v5, vcc
	global_store_short v[4:5], v6, off
.LBB168_38:
	s_or_b64 exec, exec, s[8:9]
	v_add3_u32 v4, v51, s15, 24
	v_cmp_gt_u32_e32 vcc, s10, v4
	s_and_b64 exec, exec, vcc
	s_cbranch_execz .LBB168_68
; %bb.39:
	v_mul_lo_u32 v4, v4, s14
	s_and_saveexec_b64 s[8:9], s[0:1]
	s_cbranch_execnz .LBB168_75
; %bb.40:
	s_or_b64 exec, exec, s[8:9]
	s_and_saveexec_b64 s[8:9], s[2:3]
	s_cbranch_execnz .LBB168_76
.LBB168_41:
	s_or_b64 exec, exec, s[8:9]
	s_and_saveexec_b64 s[8:9], s[4:5]
	s_cbranch_execnz .LBB168_77
.LBB168_42:
	s_or_b64 exec, exec, s[8:9]
	s_and_saveexec_b64 s[8:9], s[6:7]
	s_cbranch_execz .LBB168_44
.LBB168_43:
	v_bfe_u32 v5, v47, 16, 1
	s_movk_i32 s11, 0x7fff
	v_add3_u32 v5, v47, v5, s11
	v_cmp_o_f32_e32 vcc, v47, v47
	v_mov_b32_e32 v6, 0x7fc0
	v_cndmask_b32_sdwa v6, v6, v5, vcc dst_sel:DWORD dst_unused:UNUSED_PAD src0_sel:DWORD src1_sel:WORD_1
	v_add_u32_e32 v4, v4, v3
	v_mov_b32_e32 v5, 0
	v_lshlrev_b64 v[4:5], 1, v[4:5]
	s_waitcnt lgkmcnt(0)
	v_mov_b32_e32 v7, s13
	v_add_co_u32_e32 v4, vcc, s12, v4
	v_addc_co_u32_e32 v5, vcc, v7, v5, vcc
	global_store_short v[4:5], v6, off
.LBB168_44:
	s_or_b64 exec, exec, s[8:9]
	v_add3_u32 v4, v51, s15, 32
	v_cmp_gt_u32_e32 vcc, s10, v4
	s_and_b64 exec, exec, vcc
	s_cbranch_execz .LBB168_68
; %bb.45:
	v_mul_lo_u32 v4, v4, s14
	s_and_saveexec_b64 s[8:9], s[0:1]
	s_cbranch_execnz .LBB168_78
; %bb.46:
	s_or_b64 exec, exec, s[8:9]
	s_and_saveexec_b64 s[8:9], s[2:3]
	s_cbranch_execnz .LBB168_79
.LBB168_47:
	s_or_b64 exec, exec, s[8:9]
	s_and_saveexec_b64 s[8:9], s[4:5]
	s_cbranch_execnz .LBB168_80
.LBB168_48:
	s_or_b64 exec, exec, s[8:9]
	s_and_saveexec_b64 s[8:9], s[6:7]
	s_cbranch_execz .LBB168_50
.LBB168_49:
	v_bfe_u32 v5, v43, 16, 1
	s_movk_i32 s11, 0x7fff
	v_add3_u32 v5, v43, v5, s11
	v_cmp_o_f32_e32 vcc, v43, v43
	v_mov_b32_e32 v6, 0x7fc0
	v_cndmask_b32_sdwa v6, v6, v5, vcc dst_sel:DWORD dst_unused:UNUSED_PAD src0_sel:DWORD src1_sel:WORD_1
	v_add_u32_e32 v4, v4, v3
	v_mov_b32_e32 v5, 0
	v_lshlrev_b64 v[4:5], 1, v[4:5]
	s_waitcnt lgkmcnt(0)
	v_mov_b32_e32 v7, s13
	v_add_co_u32_e32 v4, vcc, s12, v4
	v_addc_co_u32_e32 v5, vcc, v7, v5, vcc
	global_store_short v[4:5], v6, off
.LBB168_50:
	s_or_b64 exec, exec, s[8:9]
	v_add3_u32 v4, v51, s15, 40
	v_cmp_gt_u32_e32 vcc, s10, v4
	s_and_b64 exec, exec, vcc
	s_cbranch_execz .LBB168_68
; %bb.51:
	v_mul_lo_u32 v4, v4, s14
	s_and_saveexec_b64 s[8:9], s[0:1]
	s_cbranch_execnz .LBB168_81
; %bb.52:
	s_or_b64 exec, exec, s[8:9]
	s_and_saveexec_b64 s[8:9], s[2:3]
	s_cbranch_execnz .LBB168_82
.LBB168_53:
	s_or_b64 exec, exec, s[8:9]
	s_and_saveexec_b64 s[8:9], s[4:5]
	s_cbranch_execnz .LBB168_83
.LBB168_54:
	s_or_b64 exec, exec, s[8:9]
	s_and_saveexec_b64 s[8:9], s[6:7]
	s_cbranch_execz .LBB168_56
.LBB168_55:
	v_bfe_u32 v5, v39, 16, 1
	s_movk_i32 s11, 0x7fff
	v_add3_u32 v5, v39, v5, s11
	v_cmp_o_f32_e32 vcc, v39, v39
	v_mov_b32_e32 v6, 0x7fc0
	v_cndmask_b32_sdwa v6, v6, v5, vcc dst_sel:DWORD dst_unused:UNUSED_PAD src0_sel:DWORD src1_sel:WORD_1
	v_add_u32_e32 v4, v4, v3
	v_mov_b32_e32 v5, 0
	v_lshlrev_b64 v[4:5], 1, v[4:5]
	s_waitcnt lgkmcnt(0)
	v_mov_b32_e32 v7, s13
	v_add_co_u32_e32 v4, vcc, s12, v4
	v_addc_co_u32_e32 v5, vcc, v7, v5, vcc
	global_store_short v[4:5], v6, off
.LBB168_56:
	s_or_b64 exec, exec, s[8:9]
	v_add3_u32 v4, v51, s15, 48
	v_cmp_gt_u32_e32 vcc, s10, v4
	s_and_b64 exec, exec, vcc
	s_cbranch_execz .LBB168_68
; %bb.57:
	v_mul_lo_u32 v4, v4, s14
	s_and_saveexec_b64 s[8:9], s[0:1]
	s_cbranch_execnz .LBB168_84
; %bb.58:
	s_or_b64 exec, exec, s[8:9]
	s_and_saveexec_b64 s[8:9], s[2:3]
	s_cbranch_execnz .LBB168_85
.LBB168_59:
	s_or_b64 exec, exec, s[8:9]
	s_and_saveexec_b64 s[8:9], s[4:5]
	s_cbranch_execnz .LBB168_86
.LBB168_60:
	s_or_b64 exec, exec, s[8:9]
	s_and_saveexec_b64 s[8:9], s[6:7]
	s_cbranch_execz .LBB168_62
.LBB168_61:
	v_bfe_u32 v5, v35, 16, 1
	s_movk_i32 s11, 0x7fff
	v_add3_u32 v5, v35, v5, s11
	v_cmp_o_f32_e32 vcc, v35, v35
	v_mov_b32_e32 v6, 0x7fc0
	v_cndmask_b32_sdwa v6, v6, v5, vcc dst_sel:DWORD dst_unused:UNUSED_PAD src0_sel:DWORD src1_sel:WORD_1
	v_add_u32_e32 v4, v4, v3
	v_mov_b32_e32 v5, 0
	v_lshlrev_b64 v[4:5], 1, v[4:5]
	s_waitcnt lgkmcnt(0)
	v_mov_b32_e32 v7, s13
	v_add_co_u32_e32 v4, vcc, s12, v4
	v_addc_co_u32_e32 v5, vcc, v7, v5, vcc
	global_store_short v[4:5], v6, off
.LBB168_62:
	s_or_b64 exec, exec, s[8:9]
	v_add3_u32 v4, v51, s15, 56
	v_cmp_gt_u32_e32 vcc, s10, v4
	s_and_b64 exec, exec, vcc
	s_cbranch_execz .LBB168_68
; %bb.63:
	v_mul_lo_u32 v4, v4, s14
	s_and_saveexec_b64 s[8:9], s[0:1]
	s_cbranch_execnz .LBB168_87
; %bb.64:
	s_or_b64 exec, exec, s[8:9]
	s_and_saveexec_b64 s[0:1], s[2:3]
	s_cbranch_execnz .LBB168_88
.LBB168_65:
	s_or_b64 exec, exec, s[0:1]
	s_and_saveexec_b64 s[0:1], s[4:5]
	s_cbranch_execnz .LBB168_89
.LBB168_66:
	s_or_b64 exec, exec, s[0:1]
	s_and_b64 exec, exec, s[6:7]
	s_cbranch_execz .LBB168_68
.LBB168_67:
	v_bfe_u32 v0, v31, 16, 1
	s_movk_i32 s0, 0x7fff
	v_add3_u32 v0, v31, v0, s0
	v_cmp_o_f32_e32 vcc, v31, v31
	v_mov_b32_e32 v1, 0x7fc0
	v_cndmask_b32_sdwa v2, v1, v0, vcc dst_sel:DWORD dst_unused:UNUSED_PAD src0_sel:DWORD src1_sel:WORD_1
	v_add_u32_e32 v0, v4, v3
	v_mov_b32_e32 v1, 0
	v_lshlrev_b64 v[0:1], 1, v[0:1]
	s_waitcnt lgkmcnt(0)
	v_mov_b32_e32 v3, s13
	v_add_co_u32_e32 v0, vcc, s12, v0
	v_addc_co_u32_e32 v1, vcc, v3, v1, vcc
	global_store_short v[0:1], v2, off
.LBB168_68:
	s_endpgm
.LBB168_69:
	v_bfe_u32 v5, v77, 16, 1
	s_movk_i32 s11, 0x7fff
	v_add3_u32 v5, v77, v5, s11
	v_cmp_o_f32_e32 vcc, v77, v77
	v_mov_b32_e32 v6, 0x7fc0
	v_cndmask_b32_sdwa v7, v6, v5, vcc dst_sel:DWORD dst_unused:UNUSED_PAD src0_sel:DWORD src1_sel:WORD_1
	v_add_u32_e32 v5, v4, v0
	v_mov_b32_e32 v6, 0
	v_lshlrev_b64 v[5:6], 1, v[5:6]
	s_waitcnt lgkmcnt(0)
	v_mov_b32_e32 v8, s13
	v_add_co_u32_e32 v5, vcc, s12, v5
	v_addc_co_u32_e32 v6, vcc, v8, v6, vcc
	global_store_short v[5:6], v7, off
	s_or_b64 exec, exec, s[8:9]
	s_and_saveexec_b64 s[8:9], s[2:3]
	s_cbranch_execz .LBB168_29
.LBB168_70:
	v_bfe_u32 v5, v71, 16, 1
	s_movk_i32 s11, 0x7fff
	v_add3_u32 v5, v71, v5, s11
	v_cmp_o_f32_e32 vcc, v71, v71
	v_mov_b32_e32 v6, 0x7fc0
	v_cndmask_b32_sdwa v7, v6, v5, vcc dst_sel:DWORD dst_unused:UNUSED_PAD src0_sel:DWORD src1_sel:WORD_1
	v_add_u32_e32 v5, v4, v1
	v_mov_b32_e32 v6, 0
	v_lshlrev_b64 v[5:6], 1, v[5:6]
	s_waitcnt lgkmcnt(0)
	v_mov_b32_e32 v8, s13
	v_add_co_u32_e32 v5, vcc, s12, v5
	v_addc_co_u32_e32 v6, vcc, v8, v6, vcc
	global_store_short v[5:6], v7, off
	s_or_b64 exec, exec, s[8:9]
	s_and_saveexec_b64 s[8:9], s[4:5]
	s_cbranch_execz .LBB168_30
.LBB168_71:
	v_bfe_u32 v5, v64, 16, 1
	s_movk_i32 s11, 0x7fff
	v_add3_u32 v5, v64, v5, s11
	v_cmp_o_f32_e32 vcc, v64, v64
	v_mov_b32_e32 v6, 0x7fc0
	v_cndmask_b32_sdwa v7, v6, v5, vcc dst_sel:DWORD dst_unused:UNUSED_PAD src0_sel:DWORD src1_sel:WORD_1
	v_add_u32_e32 v5, v4, v2
	v_mov_b32_e32 v6, 0
	v_lshlrev_b64 v[5:6], 1, v[5:6]
	s_waitcnt lgkmcnt(0)
	v_mov_b32_e32 v8, s13
	v_add_co_u32_e32 v5, vcc, s12, v5
	v_addc_co_u32_e32 v6, vcc, v8, v6, vcc
	global_store_short v[5:6], v7, off
	s_or_b64 exec, exec, s[8:9]
	s_and_saveexec_b64 s[8:9], s[6:7]
	s_cbranch_execnz .LBB168_31
	s_branch .LBB168_32
.LBB168_72:
	v_bfe_u32 v5, v56, 16, 1
	s_movk_i32 s11, 0x7fff
	v_add3_u32 v5, v56, v5, s11
	v_cmp_o_f32_e32 vcc, v56, v56
	v_mov_b32_e32 v6, 0x7fc0
	v_cndmask_b32_sdwa v7, v6, v5, vcc dst_sel:DWORD dst_unused:UNUSED_PAD src0_sel:DWORD src1_sel:WORD_1
	v_add_u32_e32 v5, v4, v0
	v_mov_b32_e32 v6, 0
	v_lshlrev_b64 v[5:6], 1, v[5:6]
	s_waitcnt lgkmcnt(0)
	v_mov_b32_e32 v8, s13
	v_add_co_u32_e32 v5, vcc, s12, v5
	v_addc_co_u32_e32 v6, vcc, v8, v6, vcc
	global_store_short v[5:6], v7, off
	s_or_b64 exec, exec, s[8:9]
	s_and_saveexec_b64 s[8:9], s[2:3]
	s_cbranch_execz .LBB168_35
.LBB168_73:
	v_bfe_u32 v5, v55, 16, 1
	s_movk_i32 s11, 0x7fff
	v_add3_u32 v5, v55, v5, s11
	v_cmp_o_f32_e32 vcc, v55, v55
	v_mov_b32_e32 v6, 0x7fc0
	v_cndmask_b32_sdwa v7, v6, v5, vcc dst_sel:DWORD dst_unused:UNUSED_PAD src0_sel:DWORD src1_sel:WORD_1
	v_add_u32_e32 v5, v4, v1
	v_mov_b32_e32 v6, 0
	v_lshlrev_b64 v[5:6], 1, v[5:6]
	s_waitcnt lgkmcnt(0)
	v_mov_b32_e32 v8, s13
	v_add_co_u32_e32 v5, vcc, s12, v5
	v_addc_co_u32_e32 v6, vcc, v8, v6, vcc
	global_store_short v[5:6], v7, off
	s_or_b64 exec, exec, s[8:9]
	s_and_saveexec_b64 s[8:9], s[4:5]
	s_cbranch_execz .LBB168_36
.LBB168_74:
	v_bfe_u32 v5, v54, 16, 1
	s_movk_i32 s11, 0x7fff
	v_add3_u32 v5, v54, v5, s11
	v_cmp_o_f32_e32 vcc, v54, v54
	v_mov_b32_e32 v6, 0x7fc0
	v_cndmask_b32_sdwa v7, v6, v5, vcc dst_sel:DWORD dst_unused:UNUSED_PAD src0_sel:DWORD src1_sel:WORD_1
	v_add_u32_e32 v5, v4, v2
	v_mov_b32_e32 v6, 0
	v_lshlrev_b64 v[5:6], 1, v[5:6]
	s_waitcnt lgkmcnt(0)
	v_mov_b32_e32 v8, s13
	v_add_co_u32_e32 v5, vcc, s12, v5
	v_addc_co_u32_e32 v6, vcc, v8, v6, vcc
	global_store_short v[5:6], v7, off
	s_or_b64 exec, exec, s[8:9]
	s_and_saveexec_b64 s[8:9], s[6:7]
	s_cbranch_execnz .LBB168_37
	s_branch .LBB168_38
.LBB168_75:
	v_bfe_u32 v5, v50, 16, 1
	s_movk_i32 s11, 0x7fff
	v_add3_u32 v5, v50, v5, s11
	v_cmp_o_f32_e32 vcc, v50, v50
	v_mov_b32_e32 v6, 0x7fc0
	v_cndmask_b32_sdwa v7, v6, v5, vcc dst_sel:DWORD dst_unused:UNUSED_PAD src0_sel:DWORD src1_sel:WORD_1
	v_add_u32_e32 v5, v4, v0
	v_mov_b32_e32 v6, 0
	v_lshlrev_b64 v[5:6], 1, v[5:6]
	s_waitcnt lgkmcnt(0)
	v_mov_b32_e32 v8, s13
	v_add_co_u32_e32 v5, vcc, s12, v5
	v_addc_co_u32_e32 v6, vcc, v8, v6, vcc
	global_store_short v[5:6], v7, off
	s_or_b64 exec, exec, s[8:9]
	s_and_saveexec_b64 s[8:9], s[2:3]
	s_cbranch_execz .LBB168_41
.LBB168_76:
	v_bfe_u32 v5, v49, 16, 1
	s_movk_i32 s11, 0x7fff
	v_add3_u32 v5, v49, v5, s11
	v_cmp_o_f32_e32 vcc, v49, v49
	v_mov_b32_e32 v6, 0x7fc0
	v_cndmask_b32_sdwa v7, v6, v5, vcc dst_sel:DWORD dst_unused:UNUSED_PAD src0_sel:DWORD src1_sel:WORD_1
	v_add_u32_e32 v5, v4, v1
	v_mov_b32_e32 v6, 0
	v_lshlrev_b64 v[5:6], 1, v[5:6]
	s_waitcnt lgkmcnt(0)
	v_mov_b32_e32 v8, s13
	v_add_co_u32_e32 v5, vcc, s12, v5
	v_addc_co_u32_e32 v6, vcc, v8, v6, vcc
	global_store_short v[5:6], v7, off
	s_or_b64 exec, exec, s[8:9]
	s_and_saveexec_b64 s[8:9], s[4:5]
	s_cbranch_execz .LBB168_42
.LBB168_77:
	v_bfe_u32 v5, v48, 16, 1
	s_movk_i32 s11, 0x7fff
	v_add3_u32 v5, v48, v5, s11
	v_cmp_o_f32_e32 vcc, v48, v48
	v_mov_b32_e32 v6, 0x7fc0
	v_cndmask_b32_sdwa v7, v6, v5, vcc dst_sel:DWORD dst_unused:UNUSED_PAD src0_sel:DWORD src1_sel:WORD_1
	v_add_u32_e32 v5, v4, v2
	v_mov_b32_e32 v6, 0
	v_lshlrev_b64 v[5:6], 1, v[5:6]
	s_waitcnt lgkmcnt(0)
	v_mov_b32_e32 v8, s13
	v_add_co_u32_e32 v5, vcc, s12, v5
	v_addc_co_u32_e32 v6, vcc, v8, v6, vcc
	global_store_short v[5:6], v7, off
	s_or_b64 exec, exec, s[8:9]
	s_and_saveexec_b64 s[8:9], s[6:7]
	s_cbranch_execnz .LBB168_43
	s_branch .LBB168_44
.LBB168_78:
	v_bfe_u32 v5, v46, 16, 1
	s_movk_i32 s11, 0x7fff
	v_add3_u32 v5, v46, v5, s11
	v_cmp_o_f32_e32 vcc, v46, v46
	v_mov_b32_e32 v6, 0x7fc0
	v_cndmask_b32_sdwa v7, v6, v5, vcc dst_sel:DWORD dst_unused:UNUSED_PAD src0_sel:DWORD src1_sel:WORD_1
	v_add_u32_e32 v5, v4, v0
	v_mov_b32_e32 v6, 0
	v_lshlrev_b64 v[5:6], 1, v[5:6]
	s_waitcnt lgkmcnt(0)
	v_mov_b32_e32 v8, s13
	v_add_co_u32_e32 v5, vcc, s12, v5
	v_addc_co_u32_e32 v6, vcc, v8, v6, vcc
	global_store_short v[5:6], v7, off
	s_or_b64 exec, exec, s[8:9]
	s_and_saveexec_b64 s[8:9], s[2:3]
	s_cbranch_execz .LBB168_47
.LBB168_79:
	v_bfe_u32 v5, v45, 16, 1
	s_movk_i32 s11, 0x7fff
	v_add3_u32 v5, v45, v5, s11
	v_cmp_o_f32_e32 vcc, v45, v45
	v_mov_b32_e32 v6, 0x7fc0
	v_cndmask_b32_sdwa v7, v6, v5, vcc dst_sel:DWORD dst_unused:UNUSED_PAD src0_sel:DWORD src1_sel:WORD_1
	v_add_u32_e32 v5, v4, v1
	v_mov_b32_e32 v6, 0
	v_lshlrev_b64 v[5:6], 1, v[5:6]
	s_waitcnt lgkmcnt(0)
	v_mov_b32_e32 v8, s13
	v_add_co_u32_e32 v5, vcc, s12, v5
	v_addc_co_u32_e32 v6, vcc, v8, v6, vcc
	global_store_short v[5:6], v7, off
	s_or_b64 exec, exec, s[8:9]
	s_and_saveexec_b64 s[8:9], s[4:5]
	s_cbranch_execz .LBB168_48
.LBB168_80:
	v_bfe_u32 v5, v44, 16, 1
	s_movk_i32 s11, 0x7fff
	v_add3_u32 v5, v44, v5, s11
	v_cmp_o_f32_e32 vcc, v44, v44
	v_mov_b32_e32 v6, 0x7fc0
	v_cndmask_b32_sdwa v7, v6, v5, vcc dst_sel:DWORD dst_unused:UNUSED_PAD src0_sel:DWORD src1_sel:WORD_1
	v_add_u32_e32 v5, v4, v2
	v_mov_b32_e32 v6, 0
	v_lshlrev_b64 v[5:6], 1, v[5:6]
	s_waitcnt lgkmcnt(0)
	v_mov_b32_e32 v8, s13
	v_add_co_u32_e32 v5, vcc, s12, v5
	v_addc_co_u32_e32 v6, vcc, v8, v6, vcc
	global_store_short v[5:6], v7, off
	s_or_b64 exec, exec, s[8:9]
	s_and_saveexec_b64 s[8:9], s[6:7]
	s_cbranch_execnz .LBB168_49
	s_branch .LBB168_50
.LBB168_81:
	v_bfe_u32 v5, v42, 16, 1
	s_movk_i32 s11, 0x7fff
	v_add3_u32 v5, v42, v5, s11
	v_cmp_o_f32_e32 vcc, v42, v42
	v_mov_b32_e32 v6, 0x7fc0
	v_cndmask_b32_sdwa v7, v6, v5, vcc dst_sel:DWORD dst_unused:UNUSED_PAD src0_sel:DWORD src1_sel:WORD_1
	v_add_u32_e32 v5, v4, v0
	v_mov_b32_e32 v6, 0
	v_lshlrev_b64 v[5:6], 1, v[5:6]
	s_waitcnt lgkmcnt(0)
	v_mov_b32_e32 v8, s13
	v_add_co_u32_e32 v5, vcc, s12, v5
	v_addc_co_u32_e32 v6, vcc, v8, v6, vcc
	global_store_short v[5:6], v7, off
	s_or_b64 exec, exec, s[8:9]
	s_and_saveexec_b64 s[8:9], s[2:3]
	s_cbranch_execz .LBB168_53
.LBB168_82:
	v_bfe_u32 v5, v41, 16, 1
	s_movk_i32 s11, 0x7fff
	v_add3_u32 v5, v41, v5, s11
	v_cmp_o_f32_e32 vcc, v41, v41
	v_mov_b32_e32 v6, 0x7fc0
	v_cndmask_b32_sdwa v7, v6, v5, vcc dst_sel:DWORD dst_unused:UNUSED_PAD src0_sel:DWORD src1_sel:WORD_1
	v_add_u32_e32 v5, v4, v1
	v_mov_b32_e32 v6, 0
	v_lshlrev_b64 v[5:6], 1, v[5:6]
	s_waitcnt lgkmcnt(0)
	v_mov_b32_e32 v8, s13
	v_add_co_u32_e32 v5, vcc, s12, v5
	v_addc_co_u32_e32 v6, vcc, v8, v6, vcc
	global_store_short v[5:6], v7, off
	s_or_b64 exec, exec, s[8:9]
	s_and_saveexec_b64 s[8:9], s[4:5]
	s_cbranch_execz .LBB168_54
.LBB168_83:
	v_bfe_u32 v5, v40, 16, 1
	s_movk_i32 s11, 0x7fff
	v_add3_u32 v5, v40, v5, s11
	v_cmp_o_f32_e32 vcc, v40, v40
	v_mov_b32_e32 v6, 0x7fc0
	v_cndmask_b32_sdwa v7, v6, v5, vcc dst_sel:DWORD dst_unused:UNUSED_PAD src0_sel:DWORD src1_sel:WORD_1
	v_add_u32_e32 v5, v4, v2
	v_mov_b32_e32 v6, 0
	v_lshlrev_b64 v[5:6], 1, v[5:6]
	s_waitcnt lgkmcnt(0)
	v_mov_b32_e32 v8, s13
	v_add_co_u32_e32 v5, vcc, s12, v5
	v_addc_co_u32_e32 v6, vcc, v8, v6, vcc
	global_store_short v[5:6], v7, off
	s_or_b64 exec, exec, s[8:9]
	s_and_saveexec_b64 s[8:9], s[6:7]
	s_cbranch_execnz .LBB168_55
	s_branch .LBB168_56
.LBB168_84:
	v_bfe_u32 v5, v38, 16, 1
	s_movk_i32 s11, 0x7fff
	v_add3_u32 v5, v38, v5, s11
	v_cmp_o_f32_e32 vcc, v38, v38
	v_mov_b32_e32 v6, 0x7fc0
	v_cndmask_b32_sdwa v7, v6, v5, vcc dst_sel:DWORD dst_unused:UNUSED_PAD src0_sel:DWORD src1_sel:WORD_1
	v_add_u32_e32 v5, v4, v0
	v_mov_b32_e32 v6, 0
	v_lshlrev_b64 v[5:6], 1, v[5:6]
	s_waitcnt lgkmcnt(0)
	v_mov_b32_e32 v8, s13
	v_add_co_u32_e32 v5, vcc, s12, v5
	v_addc_co_u32_e32 v6, vcc, v8, v6, vcc
	global_store_short v[5:6], v7, off
	s_or_b64 exec, exec, s[8:9]
	s_and_saveexec_b64 s[8:9], s[2:3]
	s_cbranch_execz .LBB168_59
.LBB168_85:
	v_bfe_u32 v5, v37, 16, 1
	s_movk_i32 s11, 0x7fff
	v_add3_u32 v5, v37, v5, s11
	v_cmp_o_f32_e32 vcc, v37, v37
	v_mov_b32_e32 v6, 0x7fc0
	v_cndmask_b32_sdwa v7, v6, v5, vcc dst_sel:DWORD dst_unused:UNUSED_PAD src0_sel:DWORD src1_sel:WORD_1
	v_add_u32_e32 v5, v4, v1
	v_mov_b32_e32 v6, 0
	v_lshlrev_b64 v[5:6], 1, v[5:6]
	s_waitcnt lgkmcnt(0)
	v_mov_b32_e32 v8, s13
	v_add_co_u32_e32 v5, vcc, s12, v5
	v_addc_co_u32_e32 v6, vcc, v8, v6, vcc
	global_store_short v[5:6], v7, off
	s_or_b64 exec, exec, s[8:9]
	s_and_saveexec_b64 s[8:9], s[4:5]
	s_cbranch_execz .LBB168_60
.LBB168_86:
	v_bfe_u32 v5, v36, 16, 1
	s_movk_i32 s11, 0x7fff
	v_add3_u32 v5, v36, v5, s11
	v_cmp_o_f32_e32 vcc, v36, v36
	v_mov_b32_e32 v6, 0x7fc0
	v_cndmask_b32_sdwa v7, v6, v5, vcc dst_sel:DWORD dst_unused:UNUSED_PAD src0_sel:DWORD src1_sel:WORD_1
	v_add_u32_e32 v5, v4, v2
	v_mov_b32_e32 v6, 0
	v_lshlrev_b64 v[5:6], 1, v[5:6]
	s_waitcnt lgkmcnt(0)
	v_mov_b32_e32 v8, s13
	v_add_co_u32_e32 v5, vcc, s12, v5
	v_addc_co_u32_e32 v6, vcc, v8, v6, vcc
	global_store_short v[5:6], v7, off
	s_or_b64 exec, exec, s[8:9]
	s_and_saveexec_b64 s[8:9], s[6:7]
	s_cbranch_execnz .LBB168_61
	s_branch .LBB168_62
.LBB168_87:
	v_bfe_u32 v5, v34, 16, 1
	s_movk_i32 s0, 0x7fff
	v_add3_u32 v5, v34, v5, s0
	v_cmp_o_f32_e32 vcc, v34, v34
	v_mov_b32_e32 v6, 0x7fc0
	v_cndmask_b32_sdwa v7, v6, v5, vcc dst_sel:DWORD dst_unused:UNUSED_PAD src0_sel:DWORD src1_sel:WORD_1
	v_add_u32_e32 v5, v4, v0
	v_mov_b32_e32 v6, 0
	v_lshlrev_b64 v[5:6], 1, v[5:6]
	s_waitcnt lgkmcnt(0)
	v_mov_b32_e32 v0, s13
	v_add_co_u32_e32 v5, vcc, s12, v5
	v_addc_co_u32_e32 v6, vcc, v0, v6, vcc
	global_store_short v[5:6], v7, off
	s_or_b64 exec, exec, s[8:9]
	s_and_saveexec_b64 s[0:1], s[2:3]
	s_cbranch_execz .LBB168_65
.LBB168_88:
	v_bfe_u32 v0, v33, 16, 1
	s_movk_i32 s2, 0x7fff
	v_add3_u32 v0, v33, v0, s2
	v_cmp_o_f32_e32 vcc, v33, v33
	v_mov_b32_e32 v5, 0x7fc0
	v_cndmask_b32_sdwa v5, v5, v0, vcc dst_sel:DWORD dst_unused:UNUSED_PAD src0_sel:DWORD src1_sel:WORD_1
	v_add_u32_e32 v0, v4, v1
	v_mov_b32_e32 v1, 0
	v_lshlrev_b64 v[0:1], 1, v[0:1]
	s_waitcnt lgkmcnt(0)
	v_mov_b32_e32 v6, s13
	v_add_co_u32_e32 v0, vcc, s12, v0
	v_addc_co_u32_e32 v1, vcc, v6, v1, vcc
	global_store_short v[0:1], v5, off
	s_or_b64 exec, exec, s[0:1]
	s_and_saveexec_b64 s[0:1], s[4:5]
	s_cbranch_execz .LBB168_66
.LBB168_89:
	v_bfe_u32 v0, v32, 16, 1
	s_movk_i32 s2, 0x7fff
	v_add3_u32 v0, v32, v0, s2
	v_cmp_o_f32_e32 vcc, v32, v32
	v_mov_b32_e32 v1, 0x7fc0
	v_cndmask_b32_sdwa v5, v1, v0, vcc dst_sel:DWORD dst_unused:UNUSED_PAD src0_sel:DWORD src1_sel:WORD_1
	v_add_u32_e32 v0, v4, v2
	v_mov_b32_e32 v1, 0
	v_lshlrev_b64 v[0:1], 1, v[0:1]
	s_waitcnt lgkmcnt(0)
	v_mov_b32_e32 v2, s13
	v_add_co_u32_e32 v0, vcc, s12, v0
	v_addc_co_u32_e32 v1, vcc, v2, v1, vcc
	global_store_short v[0:1], v5, off
	s_or_b64 exec, exec, s[0:1]
	s_and_b64 exec, exec, s[6:7]
	s_cbranch_execnz .LBB168_67
	s_branch .LBB168_68
	.section	.rodata,"a",@progbits
	.p2align	6, 0x0
	.amdhsa_kernel _ZL12mul_mat_q2_KIN3c108BFloat16ELb1EEvPKvS3_PT_iiiii
		.amdhsa_group_segment_fixed_size 31392
		.amdhsa_private_segment_fixed_size 436
		.amdhsa_kernarg_size 44
		.amdhsa_user_sgpr_count 6
		.amdhsa_user_sgpr_private_segment_buffer 1
		.amdhsa_user_sgpr_dispatch_ptr 0
		.amdhsa_user_sgpr_queue_ptr 0
		.amdhsa_user_sgpr_kernarg_segment_ptr 1
		.amdhsa_user_sgpr_dispatch_id 0
		.amdhsa_user_sgpr_flat_scratch_init 0
		.amdhsa_user_sgpr_private_segment_size 0
		.amdhsa_uses_dynamic_stack 0
		.amdhsa_system_sgpr_private_segment_wavefront_offset 1
		.amdhsa_system_sgpr_workgroup_id_x 1
		.amdhsa_system_sgpr_workgroup_id_y 1
		.amdhsa_system_sgpr_workgroup_id_z 0
		.amdhsa_system_sgpr_workgroup_info 0
		.amdhsa_system_vgpr_workitem_id 1
		.amdhsa_next_free_vgpr 128
		.amdhsa_next_free_sgpr 98
		.amdhsa_reserve_vcc 1
		.amdhsa_reserve_flat_scratch 0
		.amdhsa_float_round_mode_32 0
		.amdhsa_float_round_mode_16_64 0
		.amdhsa_float_denorm_mode_32 3
		.amdhsa_float_denorm_mode_16_64 3
		.amdhsa_dx10_clamp 1
		.amdhsa_ieee_mode 1
		.amdhsa_fp16_overflow 0
		.amdhsa_exception_fp_ieee_invalid_op 0
		.amdhsa_exception_fp_denorm_src 0
		.amdhsa_exception_fp_ieee_div_zero 0
		.amdhsa_exception_fp_ieee_overflow 0
		.amdhsa_exception_fp_ieee_underflow 0
		.amdhsa_exception_fp_ieee_inexact 0
		.amdhsa_exception_int_div_zero 0
	.end_amdhsa_kernel
	.section	.text._ZL12mul_mat_q2_KIN3c108BFloat16ELb1EEvPKvS3_PT_iiiii,"axG",@progbits,_ZL12mul_mat_q2_KIN3c108BFloat16ELb1EEvPKvS3_PT_iiiii,comdat
.Lfunc_end168:
	.size	_ZL12mul_mat_q2_KIN3c108BFloat16ELb1EEvPKvS3_PT_iiiii, .Lfunc_end168-_ZL12mul_mat_q2_KIN3c108BFloat16ELb1EEvPKvS3_PT_iiiii
                                        ; -- End function
	.set _ZL12mul_mat_q2_KIN3c108BFloat16ELb1EEvPKvS3_PT_iiiii.num_vgpr, 128
	.set _ZL12mul_mat_q2_KIN3c108BFloat16ELb1EEvPKvS3_PT_iiiii.num_agpr, 0
	.set _ZL12mul_mat_q2_KIN3c108BFloat16ELb1EEvPKvS3_PT_iiiii.numbered_sgpr, 24
	.set _ZL12mul_mat_q2_KIN3c108BFloat16ELb1EEvPKvS3_PT_iiiii.num_named_barrier, 0
	.set _ZL12mul_mat_q2_KIN3c108BFloat16ELb1EEvPKvS3_PT_iiiii.private_seg_size, 436
	.set _ZL12mul_mat_q2_KIN3c108BFloat16ELb1EEvPKvS3_PT_iiiii.uses_vcc, 1
	.set _ZL12mul_mat_q2_KIN3c108BFloat16ELb1EEvPKvS3_PT_iiiii.uses_flat_scratch, 0
	.set _ZL12mul_mat_q2_KIN3c108BFloat16ELb1EEvPKvS3_PT_iiiii.has_dyn_sized_stack, 0
	.set _ZL12mul_mat_q2_KIN3c108BFloat16ELb1EEvPKvS3_PT_iiiii.has_recursion, 0
	.set _ZL12mul_mat_q2_KIN3c108BFloat16ELb1EEvPKvS3_PT_iiiii.has_indirect_call, 0
	.section	.AMDGPU.csdata,"",@progbits
; Kernel info:
; codeLenInByte = 37172
; TotalNumSgprs: 28
; NumVgprs: 128
; ScratchSize: 436
; MemoryBound: 0
; FloatMode: 240
; IeeeMode: 1
; LDSByteSize: 31392 bytes/workgroup (compile time only)
; SGPRBlocks: 12
; VGPRBlocks: 31
; NumSGPRsForWavesPerEU: 102
; NumVGPRsForWavesPerEU: 128
; Occupancy: 2
; WaveLimiterHint : 0
; COMPUTE_PGM_RSRC2:SCRATCH_EN: 1
; COMPUTE_PGM_RSRC2:USER_SGPR: 6
; COMPUTE_PGM_RSRC2:TRAP_HANDLER: 0
; COMPUTE_PGM_RSRC2:TGID_X_EN: 1
; COMPUTE_PGM_RSRC2:TGID_Y_EN: 1
; COMPUTE_PGM_RSRC2:TGID_Z_EN: 0
; COMPUTE_PGM_RSRC2:TIDIG_COMP_CNT: 1
	.section	.text._ZL12mul_mat_q3_KIN3c108BFloat16ELb0EEvPKvS3_PT_iiiii,"axG",@progbits,_ZL12mul_mat_q3_KIN3c108BFloat16ELb0EEvPKvS3_PT_iiiii,comdat
	.globl	_ZL12mul_mat_q3_KIN3c108BFloat16ELb0EEvPKvS3_PT_iiiii ; -- Begin function _ZL12mul_mat_q3_KIN3c108BFloat16ELb0EEvPKvS3_PT_iiiii
	.p2align	8
	.type	_ZL12mul_mat_q3_KIN3c108BFloat16ELb0EEvPKvS3_PT_iiiii,@function
_ZL12mul_mat_q3_KIN3c108BFloat16ELb0EEvPKvS3_PT_iiiii: ; @_ZL12mul_mat_q3_KIN3c108BFloat16ELb0EEvPKvS3_PT_iiiii
; %bb.0:
	s_load_dword s14, s[4:5], 0x18
	s_load_dwordx4 s[8:11], s[4:5], 0x20
	s_waitcnt lgkmcnt(0)
	s_lshl_b32 s11, s7, 6
	v_add_u32_e32 v54, s11, v1
	s_cmpk_gt_i32 s14, 0xff
	s_cbranch_scc1 .LBB169_2
; %bb.1:
	v_add_u32_e32 v34, s11, v1
	s_mov_b64 s[0:1], 0
	s_branch .LBB169_3
.LBB169_2:
	s_mov_b64 s[0:1], -1
                                        ; implicit-def: $vgpr34
.LBB169_3:
	s_load_dwordx2 s[12:13], s[4:5], 0x10
	s_lshl_b32 s6, s6, 7
	v_mov_b32_e32 v4, 0
	s_andn2_b64 vcc, exec, s[0:1]
	v_mov_b32_e32 v5, 0
	v_mov_b32_e32 v2, 0
	;; [unrolled: 1-line block ×31, first 2 shown]
	s_cbranch_vccnz .LBB169_17
; %bb.4:
	s_load_dwordx4 s[0:3], s[4:5], 0x0
	s_ashr_i32 s4, s14, 31
	s_lshr_b32 s4, s4, 24
	s_add_i32 s14, s14, s4
	s_ashr_i32 s5, s9, 31
	s_ashr_i32 s4, s14, 8
	s_lshr_b32 s5, s5, 27
	s_add_i32 s5, s9, s5
	s_mul_i32 s7, s4, s6
	s_ashr_i32 s9, s5, 5
	s_mul_hi_i32 s14, s7, 0x6e
	s_mulk_i32 s7, 0x6e
	s_waitcnt lgkmcnt(0)
	s_add_u32 s0, s0, s7
	s_addc_u32 s1, s1, s14
	v_lshlrev_b32_e32 v5, 2, v0
	s_movk_i32 s14, 0x84
	v_mad_u32_u24 v58, v1, s14, v5
	s_lshl_b32 s14, s4, 3
	v_mov_b32_e32 v3, s14
	v_mad_i32_i24 v59, s4, v1, v3
	v_add_u32_e32 v61, s14, v59
	v_add_u32_e32 v63, s14, v61
	;; [unrolled: 1-line block ×11, first 2 shown]
	v_lshlrev_b32_e32 v15, 4, v1
	v_lshrrev_b32_e32 v90, 1, v0
	v_add_u32_e32 v83, s14, v81
	v_and_b32_e32 v89, 1, v0
	v_add_u32_e32 v3, v90, v15
	v_add_u32_e32 v85, s14, v83
	v_and_b32_e32 v4, 0x7f, v3
	v_lshlrev_b32_e32 v6, 2, v89
	v_lshrrev_b32_e32 v3, 2, v3
	v_add_u32_e32 v87, s14, v85
	v_mul_i32_i24_e32 v91, s4, v4
	v_lshl_or_b32 v4, v4, 3, v6
	v_and_b32_e32 v3, 28, v3
	s_mov_b32 s14, 0x9380
	v_lshrrev_b32_e32 v55, 4, v0
	v_add3_u32 v92, v4, v3, s14
	v_lshlrev_b32_e32 v3, 1, v1
	v_add_u32_e32 v4, v55, v3
	v_add_u16_e32 v3, v55, v3
	v_and_b32_e32 v2, 15, v0
	v_lshrrev_b16_e32 v3, 1, v3
	v_lshlrev_b32_e32 v56, 2, v2
	v_lshlrev_b32_e32 v3, 2, v3
	s_movk_i32 s14, 0x4200
	s_lshl_b32 s15, s4, 4
	v_add3_u32 v16, v3, v56, s14
	v_add_u32_e32 v3, 16, v4
	v_mov_b32_e32 v6, s15
	v_mad_i32_i24 v96, s4, v4, v6
	v_lshlrev_b32_e32 v6, 1, v3
	v_and_b32_e32 v6, 0xffc, v6
	v_lshlrev_b32_e32 v23, 6, v3
	v_add_u32_e32 v3, 32, v4
	v_add3_u32 v22, v6, v56, s14
	v_lshlrev_b32_e32 v6, 1, v3
	v_and_b32_e32 v6, 0xffc, v6
	v_lshlrev_b32_e32 v25, 6, v3
	v_add_u32_e32 v3, 48, v4
	v_add3_u32 v24, v6, v56, s14
	;; [unrolled: 5-line block ×4, first 2 shown]
	v_lshlrev_b32_e32 v6, 1, v3
	v_and_b32_e32 v6, 0xffc, v6
	v_lshlrev_b32_e32 v31, 6, v3
	v_add_u32_e32 v3, 0x60, v4
	v_add_u32_e32 v97, s15, v96
	v_add3_u32 v30, v6, v56, s14
	v_lshlrev_b32_e32 v6, 1, v3
	v_lshlrev_b32_e32 v33, 6, v3
	v_add_u32_e32 v3, 0x70, v4
	v_cmp_lt_u32_e32 vcc, 7, v2
	v_and_b32_e32 v2, 7, v0
	v_mul_i32_i24_e32 v95, s4, v4
	v_lshlrev_b32_e32 v17, 6, v4
	v_add_u32_e32 v98, s15, v97
	v_lshlrev_b32_e32 v4, 1, v3
	v_cndmask_b32_e64 v93, 0, 1, vcc
	v_lshlrev_b32_e32 v94, 2, v2
	v_add_u32_e32 v99, s15, v98
	v_and_b32_e32 v4, 0xffc, v4
	v_cmp_lt_u32_e32 vcc, 3, v2
	v_and_b32_e32 v2, 3, v0
	v_add_u32_e32 v100, s15, v99
	v_and_b32_e32 v6, 0xffc, v6
	v_add3_u32 v34, v4, v56, s14
	v_lshrrev_b32_e32 v103, 3, v0
	v_cndmask_b32_e64 v104, 0, 1, vcc
	v_add_u16_e32 v4, -2, v2
	v_cmp_gt_u32_e32 vcc, 2, v2
	v_add_u32_e32 v101, s15, v100
	v_add3_u32 v32, v6, v56, s14
	v_lshlrev_b32_e32 v35, 6, v3
	v_lshl_add_u32 v3, v1, 2, v103
	v_cndmask_b32_e32 v4, v4, v2, vcc
	v_mov_b32_e32 v6, 2
	v_add_u32_e32 v102, s15, v101
	v_lshlrev_b32_sdwa v107, v6, v4 dst_sel:DWORD dst_unused:UNUSED_PAD src0_sel:DWORD src1_sel:BYTE_0
	v_and_b32_e32 v4, 0x7fc, v3
	s_mov_b32 s14, 0x8300
	s_lshl_b32 s15, s4, 5
	v_add3_u32 v36, v4, v94, s14
	v_add_u32_e32 v4, 32, v3
	v_mov_b32_e32 v6, s15
	v_mul_i32_i24_e32 v109, s4, v3
	v_lshlrev_b32_e32 v37, 5, v3
	v_mad_i32_i24 v110, s4, v3, v6
	v_and_b32_e32 v6, 0xffc, v4
	v_lshlrev_b32_e32 v39, 5, v4
	v_add_u32_e32 v4, 64, v3
	v_add_u32_e32 v3, 0x60, v3
	v_add3_u32 v38, v6, v94, s14
	v_and_b32_e32 v6, 0xffc, v4
	v_lshlrev_b32_e32 v41, 5, v4
	v_and_b32_e32 v4, 0xffc, v3
	v_add3_u32 v40, v6, v94, s14
	v_add3_u32 v45, v4, v94, s14
	s_add_i32 s14, s8, -1
	v_and_b32_e32 v6, 31, v0
	v_and_b32_e32 v19, 28, v5
	v_mov_b32_e32 v5, 0x6300
	v_lshlrev_b32_e32 v46, 5, v3
	v_cvt_f64_i32_e32 v[3:4], s14
	v_lshl_or_b32 v47, v6, 2, v5
	v_lshrrev_b32_e32 v7, 2, v0
	v_cvt_f64_u32_e32 v[5:6], v54
	v_lshl_add_u32 v7, v1, 3, v7
	v_and_b32_e32 v11, 63, v7
	v_add_u32_e32 v7, 8, v54
	v_cvt_f64_u32_e32 v[7:8], v7
	v_add_u32_e32 v9, 16, v54
	v_min_f64 v[5:6], v[5:6], v[3:4]
	v_cvt_f64_u32_e32 v[9:10], v9
	v_min_f64 v[7:8], v[7:8], v[3:4]
	v_or_b32_e32 v12, s11, v11
	v_add_u32_e32 v111, s15, v110
	v_min_f64 v[9:10], v[9:10], v[3:4]
	v_min_i32_e32 v12, s14, v12
	v_lshlrev_b32_e32 v108, 1, v2
	v_cvt_i32_f64_e32 v5, v[5:6]
	v_add_u32_e32 v112, s15, v111
	v_mad_u64_u32 v[42:43], s[14:15], v12, s9, v[2:3]
	v_lshlrev_b32_e32 v2, 2, v2
	v_lshl_or_b32 v2, v11, 4, v2
	v_add_u32_e32 v113, 0x97a0, v2
	v_cvt_i32_f64_e32 v2, v[7:8]
	v_mul_lo_u32 v114, s9, v5
	v_cvt_i32_f64_e32 v5, v[9:10]
	v_mov_b32_e32 v18, 0
	v_mul_lo_u32 v115, s9, v2
	v_add_u32_e32 v2, 24, v54
	v_mul_lo_u32 v116, s9, v5
	v_cvt_f64_u32_e32 v[5:6], v2
	v_add_u32_e32 v2, 32, v54
	v_cvt_f64_u32_e32 v[7:8], v2
	v_add_u32_e32 v2, 40, v54
	v_min_f64 v[5:6], v[5:6], v[3:4]
	v_cvt_f64_u32_e32 v[9:10], v2
	v_add_u32_e32 v2, 48, v54
	v_cvt_f64_u32_e32 v[11:12], v2
	v_add_u32_e32 v2, 56, v54
	v_cvt_f64_u32_e32 v[13:14], v2
	v_min_f64 v[7:8], v[7:8], v[3:4]
	v_min_f64 v[9:10], v[9:10], v[3:4]
	v_cvt_i32_f64_e32 v20, v[5:6]
	v_min_f64 v[5:6], v[11:12], v[3:4]
	v_min_f64 v[2:3], v[13:14], v[3:4]
	v_add_u32_e32 v11, 64, v0
	v_lshlrev_b32_e32 v48, 7, v1
	v_mul_lo_u32 v117, s9, v20
	v_cvt_i32_f64_e32 v7, v[7:8]
	v_cvt_i32_f64_e32 v8, v[9:10]
	v_add_u32_e32 v14, 0x60, v0
	v_cvt_i32_f64_e32 v5, v[5:6]
	v_cvt_i32_f64_e32 v2, v[2:3]
	v_mul_lo_u32 v119, s9, v8
	v_add_u32_e32 v8, 32, v0
	v_lshlrev_b32_e32 v6, 5, v0
	v_lshrrev_b32_e32 v9, 1, v8
	v_lshrrev_b32_e32 v10, 4, v8
	v_lshlrev_b32_e32 v124, 6, v8
	v_lshlrev_b32_e32 v125, 3, v8
	v_lshrrev_b32_e32 v130, 3, v8
	v_and_b32_e32 v8, 0x1fc, v8
	v_mul_lo_u32 v118, s9, v7
	v_mul_lo_u32 v120, s9, v5
	;; [unrolled: 1-line block ×3, first 2 shown]
	v_add_u32_e32 v135, v6, v8
	v_and_b32_e32 v8, 0x1fc, v11
	v_add_u32_e32 v4, 0xc00, v48
	v_add_u32_e32 v7, 0x1000, v48
	;; [unrolled: 1-line block ×5, first 2 shown]
	v_lshrrev_b32_e32 v12, 1, v11
	v_lshrrev_b32_e32 v13, 4, v11
	v_mov_b32_e32 v20, s3
	v_add_co_u32_e32 v43, vcc, s2, v19
	v_and_b32_e32 v19, 0xfc, v0
	v_add_u32_e32 v137, v6, v8
	v_and_b32_e32 v8, 0x1fc, v14
	v_mov_b32_e32 v21, v18
	v_lshlrev_b32_e32 v105, 1, v0
	v_add_u32_e32 v49, 0x400, v48
	v_add_u32_e32 v50, 0x800, v48
	v_lshrrev_b32_e32 v51, 1, v14
	v_lshrrev_b32_e32 v52, 4, v14
	v_lshlrev_b32_e32 v126, 6, v11
	v_lshlrev_b32_e32 v127, 3, v11
	;; [unrolled: 1-line block ×4, first 2 shown]
	v_lshrrev_b32_e32 v131, 3, v11
	v_lshrrev_b32_e32 v132, 3, v14
	v_addc_co_u32_e32 v44, vcc, 0, v20, vcc
	v_add_u32_e32 v133, v6, v19
	v_add_u32_e32 v139, v6, v8
	;; [unrolled: 1-line block ×3, first 2 shown]
	v_mov_b32_e32 v19, v18
	v_mov_b32_e32 v20, v18
	v_add_u32_e32 v143, v16, v17
	v_add_u32_e32 v144, v22, v23
	;; [unrolled: 1-line block ×12, first 2 shown]
	v_lshlrev_b32_e32 v164, 2, v9
	v_lshlrev_b32_e32 v165, 2, v10
	;; [unrolled: 1-line block ×4, first 2 shown]
	v_mov_b32_e32 v14, v18
	v_mov_b32_e32 v33, v21
	;; [unrolled: 1-line block ×7, first 2 shown]
	s_movk_i32 s5, 0x6e
	s_mov_b32 s7, 0
	v_mul_i32_i24_e32 v57, s4, v1
	v_add_u32_e32 v60, 0x420, v58
	v_add_u32_e32 v62, 0x840, v58
	;; [unrolled: 1-line block ×15, first 2 shown]
	v_and_b32_e32 v106, 4, v105
	v_mul_u32_u24_e32 v122, 0x84, v0
	v_lshlrev_b32_e32 v123, 6, v0
	v_add_u32_e32 v134, 0x8300, v133
	v_add_u32_e32 v136, 0x8700, v135
	v_add_u32_e32 v138, 0x8b00, v137
	v_add_u32_e32 v140, 0x8f00, v139
	v_add_u32_e32 v142, 0x6300, v48
	v_add_u32_e32 v150, v34, v35
	s_mov_b32 s9, 0x30303030
	s_movk_i32 s14, 0x3f00
	s_movk_i32 s15, 0xe000
	v_add_u32_e32 v151, v36, v37
	v_add_u32_e32 v152, v38, v39
	;; [unrolled: 1-line block ×7, first 2 shown]
	v_mov_b32_e32 v163, 8
	v_lshlrev_b32_e32 v168, 2, v51
	v_lshlrev_b32_e32 v169, 2, v52
	v_mov_b32_e32 v15, v19
	v_mov_b32_e32 v16, v20
	;; [unrolled: 1-line block ×21, first 2 shown]
	s_branch .LBB169_6
.LBB169_5:                              ;   in Loop: Header=BB169_6 Depth=1
	s_add_i32 s7, s7, 2
	s_cmp_ge_i32 s7, s4
	s_cbranch_scc1 .LBB169_16
.LBB169_6:                              ; =>This Loop Header: Depth=1
                                        ;     Child Loop BB169_7 Depth 2
                                        ;     Child Loop BB169_9 Depth 2
                                        ;     Child Loop BB169_12 Depth 2
                                        ;     Child Loop BB169_14 Depth 2
	s_mul_i32 s16, s7, 0x6e
	s_mul_hi_u32 s17, s7, 0x6e
	s_add_u32 s16, s0, s16
	s_addc_u32 s17, s1, s17
	v_mov_b32_e32 v35, s17
	v_mov_b32_e32 v34, s16
	v_mad_u64_u32 v[36:37], s[16:17], v55, s5, v[34:35]
	s_mov_b32 s20, -2
	v_mad_u64_u32 v[38:39], s[16:17], v57, s5, v[36:37]
	v_mad_u64_u32 v[40:41], s[16:17], v59, s5, v[36:37]
	v_add_co_u32_e32 v38, vcc, v38, v56
	v_mad_u64_u32 v[45:46], s[16:17], v61, s5, v[36:37]
	v_addc_co_u32_e32 v39, vcc, 0, v39, vcc
	v_add_co_u32_e32 v40, vcc, v40, v56
	v_mad_u64_u32 v[47:48], s[16:17], v63, s5, v[36:37]
	v_addc_co_u32_e32 v41, vcc, 0, v41, vcc
	v_add_co_u32_e32 v45, vcc, v45, v56
	v_mad_u64_u32 v[49:50], s[16:17], v65, s5, v[36:37]
	v_addc_co_u32_e32 v46, vcc, 0, v46, vcc
	v_add_co_u32_e32 v47, vcc, v47, v56
	v_mad_u64_u32 v[51:52], s[16:17], v67, s5, v[36:37]
	v_addc_co_u32_e32 v48, vcc, 0, v48, vcc
	v_add_co_u32_e32 v49, vcc, v49, v56
	v_mad_u64_u32 v[170:171], s[16:17], v69, s5, v[36:37]
	v_addc_co_u32_e32 v50, vcc, 0, v50, vcc
	v_add_co_u32_e32 v51, vcc, v51, v56
	v_mad_u64_u32 v[172:173], s[16:17], v71, s5, v[36:37]
	v_addc_co_u32_e32 v52, vcc, 0, v52, vcc
	v_add_co_u32_e32 v170, vcc, v170, v56
	v_addc_co_u32_e32 v171, vcc, 0, v171, vcc
	v_mad_u64_u32 v[174:175], s[16:17], v73, s5, v[36:37]
	v_add_co_u32_e32 v172, vcc, v172, v56
	v_addc_co_u32_e32 v173, vcc, 0, v173, vcc
	global_load_dword v53, v[38:39], off offset:32
	global_load_dword v176, v[40:41], off offset:32
	;; [unrolled: 1-line block ×8, first 2 shown]
	v_mad_u64_u32 v[40:41], s[16:17], v75, s5, v[36:37]
	v_add_co_u32_e32 v38, vcc, v174, v56
	v_mad_u64_u32 v[45:46], s[16:17], v77, s5, v[36:37]
	v_addc_co_u32_e32 v39, vcc, 0, v175, vcc
	v_add_co_u32_e32 v40, vcc, v40, v56
	v_mad_u64_u32 v[47:48], s[16:17], v79, s5, v[36:37]
	v_addc_co_u32_e32 v41, vcc, 0, v41, vcc
	;; [unrolled: 3-line block ×6, first 2 shown]
	v_mad_u64_u32 v[172:173], s[16:17], v91, s5, v[34:35]
	v_add_co_u32_e32 v170, vcc, v170, v56
	v_mad_u64_u32 v[174:175], s[16:17], v93, s5, v[34:35]
	v_addc_co_u32_e32 v171, vcc, 0, v171, vcc
	v_add_co_u32_e32 v36, vcc, v36, v56
	v_addc_co_u32_e32 v37, vcc, 0, v37, vcc
	v_mad_u64_u32 v[172:173], s[16:17], v89, s5, v[172:173]
	global_load_dword v183, v[38:39], off offset:32
	global_load_dword v184, v[40:41], off offset:32
	;; [unrolled: 1-line block ×6, first 2 shown]
	s_nop 0
	global_load_dword v170, v[170:171], off offset:32
	s_nop 0
	global_load_dword v171, v[36:37], off offset:32
	s_nop 0
	global_load_ushort v172, v[172:173], off offset:108
	v_add_co_u32_e32 v36, vcc, v174, v94
	v_addc_co_u32_e32 v37, vcc, 0, v175, vcc
	v_mad_u64_u32 v[38:39], s[16:17], v95, s5, v[36:37]
	v_mad_u64_u32 v[40:41], s[16:17], v96, s5, v[36:37]
	;; [unrolled: 1-line block ×4, first 2 shown]
	global_load_dword v173, v[38:39], off
	global_load_dword v174, v[40:41], off
	global_load_dword v175, v[45:46], off
	global_load_dword v189, v[47:48], off
	v_mad_u64_u32 v[38:39], s[16:17], v99, s5, v[36:37]
	v_mad_u64_u32 v[40:41], s[16:17], v100, s5, v[36:37]
	;; [unrolled: 1-line block ×3, first 2 shown]
	global_load_dword v190, v[38:39], off
	global_load_dword v191, v[40:41], off
	;; [unrolled: 1-line block ×3, first 2 shown]
	v_mad_u64_u32 v[34:35], s[16:17], v104, s5, v[34:35]
	v_mad_u64_u32 v[36:37], s[16:17], v102, s5, v[36:37]
	v_mad_u64_u32 v[38:39], s[16:17], v109, s5, v[34:35]
	v_mad_u64_u32 v[45:46], s[16:17], v110, s5, v[34:35]
	v_add_co_u32_e32 v40, vcc, v38, v107
	v_mad_u64_u32 v[47:48], s[16:17], v111, s5, v[34:35]
	v_addc_co_u32_e32 v41, vcc, 0, v39, vcc
	v_add_co_u32_e32 v49, vcc, v45, v107
	v_addc_co_u32_e32 v50, vcc, 0, v46, vcc
	v_add_co_u32_e32 v51, vcc, v47, v107
	v_addc_co_u32_e32 v52, vcc, 0, v48, vcc
	v_mad_u64_u32 v[34:35], s[16:17], v112, s5, v[34:35]
	global_load_dword v193, v[36:37], off
	global_load_dword v194, v[40:41], off offset:96
	s_nop 0
	global_load_dword v49, v[49:50], off offset:96
	s_nop 0
	global_load_dword v50, v[51:52], off offset:96
	s_nop 0
	global_load_dword v51, v[34:35], off offset:104
	s_nop 0
	global_load_dword v47, v[47:48], off offset:104
	s_nop 0
	global_load_dword v48, v[45:46], off offset:104
	global_load_dword v52, v[38:39], off offset:104
	s_waitcnt vmcnt(31)
	ds_write_b32 v58, v53
	s_waitcnt vmcnt(30)
	ds_write_b32 v60, v176
	;; [unrolled: 2-line block ×13, first 2 shown]
	v_add_co_u32_e32 v34, vcc, v34, v107
	v_addc_co_u32_e32 v35, vcc, 0, v35, vcc
	s_waitcnt vmcnt(15)
	v_cvt_f32_f16_e32 v36, v172
	ds_write_b32 v84, v188
	ds_write_b32 v86, v170
	;; [unrolled: 1-line block ×4, first 2 shown]
	global_load_dword v170, v[34:35], off offset:96
	s_lshl_b32 s16, s7, 3
	v_add_u32_e32 v171, s16, v103
	v_add_u32_e32 v34, v171, v114
	v_mad_i64_i32 v[34:35], s[18:19], v34, 36, v[43:44]
	v_add_u32_e32 v38, v171, v116
	s_waitcnt vmcnt(15)
	v_not_b32_e32 v36, v173
	ds_write_b32 v143, v36
	s_waitcnt vmcnt(14)
	v_not_b32_e32 v36, v174
	ds_write_b32 v144, v36
	;; [unrolled: 3-line block ×6, first 2 shown]
	v_add_u32_e32 v36, v171, v115
	v_mad_i64_i32 v[36:37], s[18:19], v36, 36, v[43:44]
	v_mad_i64_i32 v[38:39], s[18:19], v38, 36, v[43:44]
	v_add_u32_e32 v40, v171, v117
	v_add_u32_e32 v45, v171, v118
	v_add_u32_e32 v173, s16, v42
	v_mad_i64_i32 v[40:41], s[18:19], v40, 36, v[43:44]
	v_mad_i64_i32 v[45:46], s[18:19], v45, 36, v[43:44]
	global_load_dword v172, v[34:35], off offset:4
	global_load_dword v174, v[36:37], off offset:4
	;; [unrolled: 1-line block ×4, first 2 shown]
	s_nop 0
	global_load_dword v45, v[45:46], off offset:4
	v_add_u32_e32 v34, v171, v119
	v_mad_u64_u32 v[38:39], s[18:19], v173, 36, s[2:3]
	v_mad_i64_i32 v[34:35], s[18:19], v34, 36, v[43:44]
	v_add_u32_e32 v36, v171, v120
	v_mad_i64_i32 v[36:37], s[18:19], v36, 36, v[43:44]
	v_add_u32_e32 v40, v171, v121
	v_mad_i64_i32 v[40:41], s[18:19], v40, 36, v[43:44]
	global_load_dword v38, v[38:39], off
	s_nop 0
	global_load_dword v34, v[34:35], off offset:4
	s_nop 0
	global_load_dword v35, v[36:37], off offset:4
	;; [unrolled: 2-line block ×3, first 2 shown]
	s_waitcnt vmcnt(18)
	v_not_b32_e32 v53, v192
	s_waitcnt vmcnt(17)
	v_not_b32_e32 v37, v193
	ds_write_b32 v149, v53
	ds_write_b32 v150, v37
	s_waitcnt vmcnt(16)
	v_ashrrev_i32_e32 v37, v106, v194
	s_waitcnt vmcnt(10)
	v_ashrrev_i32_e32 v39, v108, v52
	v_and_b32_e32 v37, 0xf0f0f0f, v37
	v_lshlrev_b32_e32 v39, 4, v39
	v_and_or_b32 v37, v39, s9, v37
	v_lshlrev_b16_e32 v40, 8, v37
	v_and_b32_e32 v39, 0x3f00, v37
	v_add_u16_e32 v40, 0xe000, v40
	v_or_b32_sdwa v39, v39, v40 dst_sel:DWORD dst_unused:UNUSED_PAD src0_sel:DWORD src1_sel:BYTE_1
	v_and_b32_sdwa v40, v37, s14 dst_sel:DWORD dst_unused:UNUSED_PAD src0_sel:WORD_1 src1_sel:DWORD
	v_lshlrev_b16_sdwa v37, v163, v37 dst_sel:DWORD dst_unused:UNUSED_PAD src0_sel:DWORD src1_sel:WORD_1
	v_add_u16_e32 v37, 0xe000, v37
	v_or_b32_sdwa v37, v40, v37 dst_sel:DWORD dst_unused:UNUSED_PAD src0_sel:DWORD src1_sel:BYTE_1
	v_add_u16_e32 v39, 0xe000, v39
	v_add_u16_sdwa v37, v37, s15 dst_sel:WORD_1 dst_unused:UNUSED_PAD src0_sel:DWORD src1_sel:DWORD
	v_or_b32_e32 v37, v39, v37
	ds_write_b32 v151, v37
	v_ashrrev_i32_e32 v37, v106, v49
	v_ashrrev_i32_e32 v39, v108, v48
	v_and_b32_e32 v37, 0xf0f0f0f, v37
	v_lshlrev_b32_e32 v39, 4, v39
	v_and_or_b32 v37, v39, s9, v37
	v_lshlrev_b16_e32 v40, 8, v37
	v_and_b32_e32 v39, 0x3f00, v37
	v_add_u16_e32 v40, 0xe000, v40
	v_or_b32_sdwa v39, v39, v40 dst_sel:DWORD dst_unused:UNUSED_PAD src0_sel:DWORD src1_sel:BYTE_1
	v_and_b32_sdwa v40, v37, s14 dst_sel:DWORD dst_unused:UNUSED_PAD src0_sel:WORD_1 src1_sel:DWORD
	v_lshlrev_b16_sdwa v37, v163, v37 dst_sel:DWORD dst_unused:UNUSED_PAD src0_sel:DWORD src1_sel:WORD_1
	v_add_u16_e32 v37, 0xe000, v37
	v_or_b32_sdwa v37, v40, v37 dst_sel:DWORD dst_unused:UNUSED_PAD src0_sel:DWORD src1_sel:BYTE_1
	v_add_u16_e32 v39, 0xe000, v39
	v_add_u16_sdwa v37, v37, s15 dst_sel:WORD_1 dst_unused:UNUSED_PAD src0_sel:DWORD src1_sel:DWORD
	v_or_b32_e32 v37, v39, v37
	ds_write_b32 v152, v37
	v_ashrrev_i32_e32 v37, v106, v50
	v_ashrrev_i32_e32 v39, v108, v47
	v_and_b32_e32 v37, 0xf0f0f0f, v37
	v_lshlrev_b32_e32 v39, 4, v39
	v_and_or_b32 v37, v39, s9, v37
	v_lshlrev_b16_e32 v40, 8, v37
	v_and_b32_e32 v39, 0x3f00, v37
	v_add_u16_e32 v40, 0xe000, v40
	v_or_b32_sdwa v39, v39, v40 dst_sel:DWORD dst_unused:UNUSED_PAD src0_sel:DWORD src1_sel:BYTE_1
	v_and_b32_sdwa v40, v37, s14 dst_sel:DWORD dst_unused:UNUSED_PAD src0_sel:WORD_1 src1_sel:DWORD
	v_lshlrev_b16_sdwa v37, v163, v37 dst_sel:DWORD dst_unused:UNUSED_PAD src0_sel:DWORD src1_sel:WORD_1
	v_add_u16_e32 v37, 0xe000, v37
	v_or_b32_sdwa v37, v40, v37 dst_sel:DWORD dst_unused:UNUSED_PAD src0_sel:DWORD src1_sel:BYTE_1
	v_add_u16_e32 v39, 0xe000, v39
	v_add_u16_sdwa v37, v37, s15 dst_sel:WORD_1 dst_unused:UNUSED_PAD src0_sel:DWORD src1_sel:DWORD
	v_or_b32_e32 v37, v39, v37
	ds_write_b32 v153, v37
	s_waitcnt vmcnt(9)
	v_ashrrev_i32_e32 v37, v106, v170
	v_ashrrev_i32_e32 v39, v108, v51
	v_and_b32_e32 v37, 0xf0f0f0f, v37
	v_lshlrev_b32_e32 v39, 4, v39
	v_and_or_b32 v37, v39, s9, v37
	v_lshlrev_b16_e32 v40, 8, v37
	v_and_b32_e32 v39, 0x3f00, v37
	v_add_u16_e32 v40, 0xe000, v40
	v_or_b32_sdwa v39, v39, v40 dst_sel:DWORD dst_unused:UNUSED_PAD src0_sel:DWORD src1_sel:BYTE_1
	v_and_b32_sdwa v40, v37, s14 dst_sel:DWORD dst_unused:UNUSED_PAD src0_sel:WORD_1 src1_sel:DWORD
	v_lshlrev_b16_sdwa v37, v163, v37 dst_sel:DWORD dst_unused:UNUSED_PAD src0_sel:DWORD src1_sel:WORD_1
	v_add_u16_e32 v37, 0xe000, v37
	v_or_b32_sdwa v37, v40, v37 dst_sel:DWORD dst_unused:UNUSED_PAD src0_sel:DWORD src1_sel:BYTE_1
	v_add_u16_e32 v39, 0xe000, v39
	v_add_u16_sdwa v37, v37, s15 dst_sel:WORD_1 dst_unused:UNUSED_PAD src0_sel:DWORD src1_sel:DWORD
	v_or_b32_e32 v37, v39, v37
	ds_write_b32 v154, v37
	s_waitcnt vmcnt(8)
	ds_write_b32 v155, v172
	s_waitcnt vmcnt(7)
	;; [unrolled: 2-line block ×5, first 2 shown]
	ds_write_b32 v159, v45
	v_mov_b32_e32 v174, v142
	v_mov_b32_e32 v175, v141
	s_mov_b32 s17, 0
	s_mov_b32 s18, 0
	s_waitcnt vmcnt(3)
	v_cvt_f32_f16_e32 v37, v38
	s_waitcnt vmcnt(2)
	ds_write_b32 v160, v34
	s_waitcnt vmcnt(1)
	ds_write_b32 v161, v35
	;; [unrolled: 2-line block ×3, first 2 shown]
	ds_write_b32 v113, v37
	s_waitcnt lgkmcnt(0)
	s_barrier
.LBB169_7:                              ;   Parent Loop BB169_6 Depth=1
                                        ; =>  This Inner Loop Header: Depth=2
	s_add_i32 s19, s20, 2
	s_lshr_b32 s23, s19, 4
	s_and_b32 s21, s19, 0x3ffffff8
	v_lshl_add_u32 v191, s21, 2, v122
	s_lshl_b32 s21, s23, 5
	s_addk_i32 s21, 0x4200
	v_lshlrev_b32_e32 v170, 2, v90
	v_add3_u32 v176, s21, v170, v123
	ds_read2_b32 v[45:46], v175 offset1:32
	ds_read_b128 v[38:41], v174
	ds_read_b128 v[34:37], v174 offset:16
	ds_read2_b32 v[49:50], v176 offset1:1
	ds_read2_b32 v[47:48], v191 offset1:1
	v_add3_u32 v187, s21, v164, v124
	ds_read2_b32 v[179:180], v187 offset1:1
	s_and_b32 s22, s18, -16
	s_waitcnt lgkmcnt(2)
	v_ashrrev_i32_e32 v49, s17, v49
	s_waitcnt lgkmcnt(1)
	v_ashrrev_i32_e32 v47, s19, v47
	v_lshlrev_b32_e32 v49, 2, v49
	v_and_b32_e32 v51, 0x3030303, v47
	v_bfe_u32 v47, v47, 24, 2
	v_and_b32_e32 v49, 0x4040404, v49
	v_sub_u16_e32 v52, v51, v49
	v_sub_u16_sdwa v53, v51, v49 dst_sel:BYTE_1 dst_unused:UNUSED_PAD src0_sel:BYTE_1 src1_sel:BYTE_1
	v_sub_u16_sdwa v47, v47, v49 dst_sel:BYTE_1 dst_unused:UNUSED_PAD src0_sel:DWORD src1_sel:BYTE_3
	v_sub_u16_sdwa v49, v51, v49 dst_sel:DWORD dst_unused:UNUSED_PAD src0_sel:WORD_1 src1_sel:WORD_1
	v_or_b32_sdwa v52, v52, v53 dst_sel:DWORD dst_unused:UNUSED_PAD src0_sel:BYTE_0 src1_sel:DWORD
	v_or_b32_sdwa v47, v49, v47 dst_sel:WORD_1 dst_unused:UNUSED_PAD src0_sel:BYTE_0 src1_sel:DWORD
	v_ashrrev_i32_e32 v50, s17, v50
	v_or_b32_sdwa v49, v52, v47 dst_sel:DWORD dst_unused:UNUSED_PAD src0_sel:WORD_0 src1_sel:DWORD
	v_ashrrev_i32_e32 v47, s19, v48
	v_lshlrev_b32_e32 v50, 2, v50
	v_and_b32_e32 v48, 0x3030303, v47
	v_bfe_u32 v47, v47, 24, 2
	v_and_b32_e32 v50, 0x4040404, v50
	v_sub_u16_e32 v51, v48, v50
	v_sub_u16_sdwa v52, v48, v50 dst_sel:BYTE_1 dst_unused:UNUSED_PAD src0_sel:BYTE_1 src1_sel:BYTE_1
	v_sub_u16_sdwa v47, v47, v50 dst_sel:BYTE_1 dst_unused:UNUSED_PAD src0_sel:DWORD src1_sel:BYTE_3
	v_sub_u16_sdwa v48, v48, v50 dst_sel:DWORD dst_unused:UNUSED_PAD src0_sel:WORD_1 src1_sel:WORD_1
	v_or_b32_sdwa v51, v51, v52 dst_sel:DWORD dst_unused:UNUSED_PAD src0_sel:BYTE_0 src1_sel:DWORD
	v_or_b32_sdwa v47, v48, v47 dst_sel:WORD_1 dst_unused:UNUSED_PAD src0_sel:BYTE_0 src1_sel:DWORD
	v_or_b32_sdwa v50, v51, v47 dst_sel:DWORD dst_unused:UNUSED_PAD src0_sel:WORD_0 src1_sel:DWORD
	ds_read2_b32 v[47:48], v191 offset0:2 offset1:3
	ds_read2_b32 v[51:52], v176 offset0:2 offset1:3
	s_add_i32 s20, s20, s22
	s_lshl_b32 s22, s23, 2
	s_add_i32 s22, s22, 0x9380
	s_waitcnt lgkmcnt(1)
	v_ashrrev_i32_e32 v47, s19, v47
	s_waitcnt lgkmcnt(0)
	v_ashrrev_i32_e32 v51, s17, v51
	v_lshlrev_b32_e32 v51, 2, v51
	v_and_b32_e32 v53, 0x3030303, v47
	v_bfe_u32 v47, v47, 24, 2
	v_and_b32_e32 v51, 0x4040404, v51
	v_sub_u16_e32 v171, v53, v51
	v_sub_u16_sdwa v172, v53, v51 dst_sel:BYTE_1 dst_unused:UNUSED_PAD src0_sel:BYTE_1 src1_sel:BYTE_1
	v_sub_u16_sdwa v47, v47, v51 dst_sel:BYTE_1 dst_unused:UNUSED_PAD src0_sel:DWORD src1_sel:BYTE_3
	v_sub_u16_sdwa v51, v53, v51 dst_sel:DWORD dst_unused:UNUSED_PAD src0_sel:WORD_1 src1_sel:WORD_1
	v_or_b32_sdwa v171, v171, v172 dst_sel:DWORD dst_unused:UNUSED_PAD src0_sel:BYTE_0 src1_sel:DWORD
	v_or_b32_sdwa v47, v51, v47 dst_sel:WORD_1 dst_unused:UNUSED_PAD src0_sel:BYTE_0 src1_sel:DWORD
	v_ashrrev_i32_e32 v52, s17, v52
	v_or_b32_sdwa v51, v171, v47 dst_sel:DWORD dst_unused:UNUSED_PAD src0_sel:WORD_0 src1_sel:DWORD
	v_ashrrev_i32_e32 v47, s19, v48
	v_lshlrev_b32_e32 v52, 2, v52
	v_and_b32_e32 v48, 0x3030303, v47
	v_bfe_u32 v47, v47, 24, 2
	v_and_b32_e32 v52, 0x4040404, v52
	v_sub_u16_e32 v53, v48, v52
	v_sub_u16_sdwa v171, v48, v52 dst_sel:BYTE_1 dst_unused:UNUSED_PAD src0_sel:BYTE_1 src1_sel:BYTE_1
	v_sub_u16_sdwa v47, v47, v52 dst_sel:BYTE_1 dst_unused:UNUSED_PAD src0_sel:DWORD src1_sel:BYTE_3
	v_sub_u16_sdwa v48, v48, v52 dst_sel:DWORD dst_unused:UNUSED_PAD src0_sel:WORD_1 src1_sel:WORD_1
	v_or_b32_sdwa v53, v53, v171 dst_sel:DWORD dst_unused:UNUSED_PAD src0_sel:BYTE_0 src1_sel:DWORD
	v_or_b32_sdwa v47, v48, v47 dst_sel:WORD_1 dst_unused:UNUSED_PAD src0_sel:BYTE_0 src1_sel:DWORD
	v_or_b32_sdwa v52, v53, v47 dst_sel:DWORD dst_unused:UNUSED_PAD src0_sel:WORD_0 src1_sel:DWORD
	ds_read2_b32 v[47:48], v191 offset0:4 offset1:5
	ds_read2_b32 v[171:172], v176 offset0:4 offset1:5
	v_ashrrev_i32_e32 v179, s17, v179
	v_add3_u32 v200, s21, v166, v126
	v_lshlrev_b32_e32 v179, 2, v179
	s_waitcnt lgkmcnt(1)
	v_ashrrev_i32_e32 v47, s19, v47
	s_waitcnt lgkmcnt(0)
	v_ashrrev_i32_e32 v171, s17, v171
	v_lshlrev_b32_e32 v171, 2, v171
	v_and_b32_e32 v53, 0x3030303, v47
	v_bfe_u32 v47, v47, 24, 2
	v_and_b32_e32 v171, 0x4040404, v171
	v_sub_u16_e32 v177, v53, v171
	v_sub_u16_sdwa v178, v53, v171 dst_sel:BYTE_1 dst_unused:UNUSED_PAD src0_sel:BYTE_1 src1_sel:BYTE_1
	v_sub_u16_sdwa v47, v47, v171 dst_sel:BYTE_1 dst_unused:UNUSED_PAD src0_sel:DWORD src1_sel:BYTE_3
	v_sub_u16_sdwa v53, v53, v171 dst_sel:DWORD dst_unused:UNUSED_PAD src0_sel:WORD_1 src1_sel:WORD_1
	v_or_b32_sdwa v177, v177, v178 dst_sel:DWORD dst_unused:UNUSED_PAD src0_sel:BYTE_0 src1_sel:DWORD
	v_or_b32_sdwa v47, v53, v47 dst_sel:WORD_1 dst_unused:UNUSED_PAD src0_sel:BYTE_0 src1_sel:DWORD
	v_ashrrev_i32_e32 v171, s17, v172
	v_or_b32_sdwa v53, v177, v47 dst_sel:DWORD dst_unused:UNUSED_PAD src0_sel:WORD_0 src1_sel:DWORD
	v_ashrrev_i32_e32 v47, s19, v48
	v_lshlrev_b32_e32 v171, 2, v171
	v_and_b32_e32 v48, 0x3030303, v47
	v_bfe_u32 v47, v47, 24, 2
	v_and_b32_e32 v171, 0x4040404, v171
	v_sub_u16_e32 v172, v48, v171
	v_sub_u16_sdwa v177, v48, v171 dst_sel:BYTE_1 dst_unused:UNUSED_PAD src0_sel:BYTE_1 src1_sel:BYTE_1
	v_sub_u16_sdwa v47, v47, v171 dst_sel:BYTE_1 dst_unused:UNUSED_PAD src0_sel:DWORD src1_sel:BYTE_3
	v_sub_u16_sdwa v48, v48, v171 dst_sel:DWORD dst_unused:UNUSED_PAD src0_sel:WORD_1 src1_sel:WORD_1
	v_or_b32_sdwa v172, v172, v177 dst_sel:DWORD dst_unused:UNUSED_PAD src0_sel:BYTE_0 src1_sel:DWORD
	v_or_b32_sdwa v47, v48, v47 dst_sel:WORD_1 dst_unused:UNUSED_PAD src0_sel:BYTE_0 src1_sel:DWORD
	v_or_b32_sdwa v204, v172, v47 dst_sel:DWORD dst_unused:UNUSED_PAD src0_sel:WORD_0 src1_sel:DWORD
	ds_read2_b32 v[47:48], v191 offset0:6 offset1:7
	ds_read2_b32 v[171:172], v176 offset0:6 offset1:7
	;; [unrolled: 1-line block ×3, first 2 shown]
	v_and_b32_e32 v179, 0x4040404, v179
	v_ashrrev_i32_e32 v180, s17, v180
	s_waitcnt lgkmcnt(2)
	v_ashrrev_i32_e32 v47, s19, v47
	s_waitcnt lgkmcnt(1)
	v_ashrrev_i32_e32 v171, s17, v171
	v_lshlrev_b32_e32 v171, 2, v171
	v_and_b32_e32 v177, 0x3030303, v47
	v_bfe_u32 v47, v47, 24, 2
	v_and_b32_e32 v171, 0x4040404, v171
	v_sub_u16_e32 v176, v177, v171
	v_sub_u16_sdwa v178, v177, v171 dst_sel:BYTE_1 dst_unused:UNUSED_PAD src0_sel:BYTE_1 src1_sel:BYTE_1
	v_sub_u16_sdwa v47, v47, v171 dst_sel:BYTE_1 dst_unused:UNUSED_PAD src0_sel:DWORD src1_sel:BYTE_3
	v_sub_u16_sdwa v171, v177, v171 dst_sel:DWORD dst_unused:UNUSED_PAD src0_sel:WORD_1 src1_sel:WORD_1
	v_or_b32_sdwa v176, v176, v178 dst_sel:DWORD dst_unused:UNUSED_PAD src0_sel:BYTE_0 src1_sel:DWORD
	v_or_b32_sdwa v47, v171, v47 dst_sel:WORD_1 dst_unused:UNUSED_PAD src0_sel:BYTE_0 src1_sel:DWORD
	v_ashrrev_i32_e32 v171, s17, v172
	v_or_b32_sdwa v205, v176, v47 dst_sel:DWORD dst_unused:UNUSED_PAD src0_sel:WORD_0 src1_sel:DWORD
	v_ashrrev_i32_e32 v47, s19, v48
	v_lshlrev_b32_e32 v171, 2, v171
	v_and_b32_e32 v48, 0x3030303, v47
	v_bfe_u32 v47, v47, 24, 2
	v_and_b32_e32 v171, 0x4040404, v171
	v_sub_u16_e32 v172, v48, v171
	v_sub_u16_sdwa v176, v48, v171 dst_sel:BYTE_1 dst_unused:UNUSED_PAD src0_sel:BYTE_1 src1_sel:BYTE_1
	v_sub_u16_sdwa v47, v47, v171 dst_sel:BYTE_1 dst_unused:UNUSED_PAD src0_sel:DWORD src1_sel:BYTE_3
	v_sub_u16_sdwa v48, v48, v171 dst_sel:DWORD dst_unused:UNUSED_PAD src0_sel:WORD_1 src1_sel:WORD_1
	v_dot4_i32_i8 v177, v53, v34, 0
	v_or_b32_sdwa v172, v172, v176 dst_sel:DWORD dst_unused:UNUSED_PAD src0_sel:BYTE_0 src1_sel:DWORD
	v_or_b32_sdwa v47, v48, v47 dst_sel:WORD_1 dst_unused:UNUSED_PAD src0_sel:BYTE_0 src1_sel:DWORD
	v_dot4_i32_i8 v177, v204, v35, v177
	v_or_b32_sdwa v206, v172, v47 dst_sel:DWORD dst_unused:UNUSED_PAD src0_sel:WORD_0 src1_sel:DWORD
	v_lshlrev_b32_e32 v171, 2, v55
	v_lshlrev_b32_e32 v172, 2, v105
	v_dot4_i32_i8 v177, v205, v36, v177
	v_add3_u32 v48, s22, v171, v172
	v_dot4_i32_i8 v207, v206, v37, v177
	v_add_u32_e32 v177, 0x1080, v191
	ds_read_b32 v176, v48
	ds_read2_b32 v[177:178], v177 offset1:1
	v_lshlrev_b32_e32 v180, 2, v180
	v_and_b32_e32 v180, 0x4040404, v180
	v_add3_u32 v216, s21, v168, v128
	v_dot4_i32_i8 v48, v49, v38, 0
	s_waitcnt lgkmcnt(0)
	v_ashrrev_i32_e32 v177, s19, v177
	v_and_b32_e32 v181, 0x3030303, v177
	v_bfe_u32 v177, v177, 24, 2
	v_sub_u16_e32 v182, v181, v179
	v_sub_u16_sdwa v183, v181, v179 dst_sel:BYTE_1 dst_unused:UNUSED_PAD src0_sel:BYTE_1 src1_sel:BYTE_1
	v_sub_u16_sdwa v177, v177, v179 dst_sel:BYTE_1 dst_unused:UNUSED_PAD src0_sel:DWORD src1_sel:BYTE_3
	v_sub_u16_sdwa v179, v181, v179 dst_sel:DWORD dst_unused:UNUSED_PAD src0_sel:WORD_1 src1_sel:WORD_1
	v_ashrrev_i32_e32 v178, s19, v178
	v_or_b32_sdwa v182, v182, v183 dst_sel:DWORD dst_unused:UNUSED_PAD src0_sel:BYTE_0 src1_sel:DWORD
	v_or_b32_sdwa v177, v179, v177 dst_sel:WORD_1 dst_unused:UNUSED_PAD src0_sel:BYTE_0 src1_sel:DWORD
	v_and_b32_e32 v179, 0x3030303, v178
	v_bfe_u32 v178, v178, 24, 2
	v_or_b32_sdwa v177, v182, v177 dst_sel:DWORD dst_unused:UNUSED_PAD src0_sel:WORD_0 src1_sel:DWORD
	v_sub_u16_e32 v181, v179, v180
	v_sub_u16_sdwa v182, v179, v180 dst_sel:BYTE_1 dst_unused:UNUSED_PAD src0_sel:BYTE_1 src1_sel:BYTE_1
	v_sub_u16_sdwa v178, v178, v180 dst_sel:BYTE_1 dst_unused:UNUSED_PAD src0_sel:DWORD src1_sel:BYTE_3
	v_sub_u16_sdwa v179, v179, v180 dst_sel:DWORD dst_unused:UNUSED_PAD src0_sel:WORD_1 src1_sel:WORD_1
	v_or_b32_sdwa v181, v181, v182 dst_sel:DWORD dst_unused:UNUSED_PAD src0_sel:BYTE_0 src1_sel:DWORD
	v_or_b32_sdwa v178, v179, v178 dst_sel:WORD_1 dst_unused:UNUSED_PAD src0_sel:BYTE_0 src1_sel:DWORD
	v_add_u32_e32 v179, 0x1088, v191
	v_or_b32_sdwa v178, v181, v178 dst_sel:DWORD dst_unused:UNUSED_PAD src0_sel:WORD_0 src1_sel:DWORD
	ds_read2_b32 v[180:181], v179 offset1:1
	ds_read2_b32 v[182:183], v187 offset0:2 offset1:3
	ds_read2_b32 v[211:212], v216 offset1:1
	v_dot4_i32_i8 v48, v50, v39, v48
	v_dot4_i32_i8 v48, v51, v40, v48
	s_waitcnt lgkmcnt(2)
	v_ashrrev_i32_e32 v179, s19, v180
	s_waitcnt lgkmcnt(1)
	v_ashrrev_i32_e32 v182, s17, v182
	v_lshlrev_b32_e32 v182, 2, v182
	v_and_b32_e32 v180, 0x3030303, v179
	v_bfe_u32 v179, v179, 24, 2
	v_and_b32_e32 v182, 0x4040404, v182
	v_sub_u16_e32 v184, v180, v182
	v_sub_u16_sdwa v185, v180, v182 dst_sel:BYTE_1 dst_unused:UNUSED_PAD src0_sel:BYTE_1 src1_sel:BYTE_1
	v_sub_u16_sdwa v179, v179, v182 dst_sel:BYTE_1 dst_unused:UNUSED_PAD src0_sel:DWORD src1_sel:BYTE_3
	v_sub_u16_sdwa v180, v180, v182 dst_sel:DWORD dst_unused:UNUSED_PAD src0_sel:WORD_1 src1_sel:WORD_1
	v_or_b32_sdwa v184, v184, v185 dst_sel:DWORD dst_unused:UNUSED_PAD src0_sel:BYTE_0 src1_sel:DWORD
	v_or_b32_sdwa v179, v180, v179 dst_sel:WORD_1 dst_unused:UNUSED_PAD src0_sel:BYTE_0 src1_sel:DWORD
	v_ashrrev_i32_e32 v182, s17, v183
	v_or_b32_sdwa v180, v184, v179 dst_sel:DWORD dst_unused:UNUSED_PAD src0_sel:WORD_0 src1_sel:DWORD
	v_ashrrev_i32_e32 v179, s19, v181
	v_lshlrev_b32_e32 v182, 2, v182
	v_and_b32_e32 v181, 0x3030303, v179
	v_bfe_u32 v179, v179, 24, 2
	v_and_b32_e32 v182, 0x4040404, v182
	v_sub_u16_e32 v183, v181, v182
	v_sub_u16_sdwa v184, v181, v182 dst_sel:BYTE_1 dst_unused:UNUSED_PAD src0_sel:BYTE_1 src1_sel:BYTE_1
	v_sub_u16_sdwa v179, v179, v182 dst_sel:BYTE_1 dst_unused:UNUSED_PAD src0_sel:DWORD src1_sel:BYTE_3
	v_sub_u16_sdwa v181, v181, v182 dst_sel:DWORD dst_unused:UNUSED_PAD src0_sel:WORD_1 src1_sel:WORD_1
	v_or_b32_sdwa v183, v183, v184 dst_sel:DWORD dst_unused:UNUSED_PAD src0_sel:BYTE_0 src1_sel:DWORD
	v_or_b32_sdwa v179, v181, v179 dst_sel:WORD_1 dst_unused:UNUSED_PAD src0_sel:BYTE_0 src1_sel:DWORD
	v_or_b32_sdwa v182, v183, v179 dst_sel:DWORD dst_unused:UNUSED_PAD src0_sel:WORD_0 src1_sel:DWORD
	v_add_u32_e32 v179, 0x1090, v191
	ds_read2_b32 v[183:184], v179 offset1:1
	ds_read2_b32 v[185:186], v187 offset0:4 offset1:5
	v_dot4_i32_i8 v48, v52, v41, v48
	v_add_u32_e32 v47, s20, v134
	v_add_u32_e32 v209, s20, v136
	s_waitcnt lgkmcnt(1)
	v_ashrrev_i32_e32 v179, s19, v183
	s_waitcnt lgkmcnt(0)
	v_ashrrev_i32_e32 v183, s17, v185
	v_lshlrev_b32_e32 v183, 2, v183
	v_and_b32_e32 v181, 0x3030303, v179
	v_bfe_u32 v179, v179, 24, 2
	v_and_b32_e32 v183, 0x4040404, v183
	v_sub_u16_e32 v185, v181, v183
	v_sub_u16_sdwa v188, v181, v183 dst_sel:BYTE_1 dst_unused:UNUSED_PAD src0_sel:BYTE_1 src1_sel:BYTE_1
	v_sub_u16_sdwa v179, v179, v183 dst_sel:BYTE_1 dst_unused:UNUSED_PAD src0_sel:DWORD src1_sel:BYTE_3
	v_sub_u16_sdwa v181, v181, v183 dst_sel:DWORD dst_unused:UNUSED_PAD src0_sel:WORD_1 src1_sel:WORD_1
	v_or_b32_sdwa v185, v185, v188 dst_sel:DWORD dst_unused:UNUSED_PAD src0_sel:BYTE_0 src1_sel:DWORD
	v_or_b32_sdwa v179, v181, v179 dst_sel:WORD_1 dst_unused:UNUSED_PAD src0_sel:BYTE_0 src1_sel:DWORD
	v_ashrrev_i32_e32 v183, s17, v186
	v_or_b32_sdwa v185, v185, v179 dst_sel:DWORD dst_unused:UNUSED_PAD src0_sel:WORD_0 src1_sel:DWORD
	v_ashrrev_i32_e32 v179, s19, v184
	v_lshlrev_b32_e32 v183, 2, v183
	v_and_b32_e32 v181, 0x3030303, v179
	v_bfe_u32 v179, v179, 24, 2
	v_and_b32_e32 v183, 0x4040404, v183
	v_sub_u16_e32 v184, v181, v183
	v_sub_u16_sdwa v186, v181, v183 dst_sel:BYTE_1 dst_unused:UNUSED_PAD src0_sel:BYTE_1 src1_sel:BYTE_1
	v_sub_u16_sdwa v179, v179, v183 dst_sel:BYTE_1 dst_unused:UNUSED_PAD src0_sel:DWORD src1_sel:BYTE_3
	v_sub_u16_sdwa v181, v181, v183 dst_sel:DWORD dst_unused:UNUSED_PAD src0_sel:WORD_1 src1_sel:WORD_1
	v_or_b32_sdwa v184, v184, v186 dst_sel:DWORD dst_unused:UNUSED_PAD src0_sel:BYTE_0 src1_sel:DWORD
	v_or_b32_sdwa v179, v181, v179 dst_sel:WORD_1 dst_unused:UNUSED_PAD src0_sel:BYTE_0 src1_sel:DWORD
	v_or_b32_sdwa v188, v184, v179 dst_sel:DWORD dst_unused:UNUSED_PAD src0_sel:WORD_0 src1_sel:DWORD
	v_add_u32_e32 v179, 0x1098, v191
	ds_read2_b32 v[183:184], v179 offset1:1
	ds_read2_b32 v[186:187], v187 offset0:6 offset1:7
	v_add_u32_e32 v214, s20, v138
	s_add_i32 s18, s18, 2
	s_waitcnt lgkmcnt(1)
	v_ashrrev_i32_e32 v179, s19, v183
	s_waitcnt lgkmcnt(0)
	v_ashrrev_i32_e32 v183, s17, v186
	v_lshlrev_b32_e32 v183, 2, v183
	v_and_b32_e32 v181, 0x3030303, v179
	v_bfe_u32 v179, v179, 24, 2
	v_and_b32_e32 v183, 0x4040404, v183
	v_sub_u16_e32 v186, v181, v183
	v_sub_u16_sdwa v189, v181, v183 dst_sel:BYTE_1 dst_unused:UNUSED_PAD src0_sel:BYTE_1 src1_sel:BYTE_1
	v_sub_u16_sdwa v179, v179, v183 dst_sel:BYTE_1 dst_unused:UNUSED_PAD src0_sel:DWORD src1_sel:BYTE_3
	v_sub_u16_sdwa v181, v181, v183 dst_sel:DWORD dst_unused:UNUSED_PAD src0_sel:WORD_1 src1_sel:WORD_1
	v_or_b32_sdwa v186, v186, v189 dst_sel:DWORD dst_unused:UNUSED_PAD src0_sel:BYTE_0 src1_sel:DWORD
	v_or_b32_sdwa v179, v181, v179 dst_sel:WORD_1 dst_unused:UNUSED_PAD src0_sel:BYTE_0 src1_sel:DWORD
	v_ashrrev_i32_e32 v183, s17, v187
	v_or_b32_sdwa v192, v186, v179 dst_sel:DWORD dst_unused:UNUSED_PAD src0_sel:WORD_0 src1_sel:DWORD
	v_ashrrev_i32_e32 v179, s19, v184
	v_lshlrev_b32_e32 v183, 2, v183
	v_and_b32_e32 v181, 0x3030303, v179
	v_bfe_u32 v179, v179, 24, 2
	v_and_b32_e32 v183, 0x4040404, v183
	v_sub_u16_e32 v184, v181, v183
	v_sub_u16_sdwa v186, v181, v183 dst_sel:BYTE_1 dst_unused:UNUSED_PAD src0_sel:BYTE_1 src1_sel:BYTE_1
	v_sub_u16_sdwa v179, v179, v183 dst_sel:BYTE_1 dst_unused:UNUSED_PAD src0_sel:DWORD src1_sel:BYTE_3
	v_sub_u16_sdwa v181, v181, v183 dst_sel:DWORD dst_unused:UNUSED_PAD src0_sel:WORD_1 src1_sel:WORD_1
	v_or_b32_sdwa v179, v181, v179 dst_sel:WORD_1 dst_unused:UNUSED_PAD src0_sel:BYTE_0 src1_sel:DWORD
	v_dot4_i32_i8 v181, v177, v38, 0
	v_dot4_i32_i8 v181, v178, v39, v181
	;; [unrolled: 1-line block ×5, first 2 shown]
	v_or_b32_sdwa v184, v184, v186 dst_sel:DWORD dst_unused:UNUSED_PAD src0_sel:BYTE_0 src1_sel:DWORD
	v_dot4_i32_i8 v181, v188, v35, v181
	v_or_b32_sdwa v195, v184, v179 dst_sel:DWORD dst_unused:UNUSED_PAD src0_sel:WORD_0 src1_sel:DWORD
	v_dot4_i32_i8 v181, v192, v36, v181
	v_add3_u32 v179, s22, v165, v125
	v_dot4_i32_i8 v210, v195, v37, v181
	v_add_u32_e32 v181, 0x2100, v191
	ds_read_b32 v179, v179
	ds_read2_b32 v[183:184], v181 offset1:1
	ds_read2_b32 v[186:187], v200 offset1:1
	s_waitcnt lgkmcnt(1)
	v_ashrrev_i32_e32 v181, s19, v183
	s_waitcnt lgkmcnt(0)
	v_ashrrev_i32_e32 v186, s17, v186
	v_lshlrev_b32_e32 v186, 2, v186
	v_and_b32_e32 v183, 0x3030303, v181
	v_bfe_u32 v181, v181, 24, 2
	v_and_b32_e32 v186, 0x4040404, v186
	v_sub_u16_e32 v189, v183, v186
	v_sub_u16_sdwa v190, v183, v186 dst_sel:BYTE_1 dst_unused:UNUSED_PAD src0_sel:BYTE_1 src1_sel:BYTE_1
	v_sub_u16_sdwa v181, v181, v186 dst_sel:BYTE_1 dst_unused:UNUSED_PAD src0_sel:DWORD src1_sel:BYTE_3
	v_sub_u16_sdwa v183, v183, v186 dst_sel:DWORD dst_unused:UNUSED_PAD src0_sel:WORD_1 src1_sel:WORD_1
	v_ashrrev_i32_e32 v186, s17, v187
	v_or_b32_sdwa v181, v183, v181 dst_sel:WORD_1 dst_unused:UNUSED_PAD src0_sel:BYTE_0 src1_sel:DWORD
	v_ashrrev_i32_e32 v183, s19, v184
	v_lshlrev_b32_e32 v186, 2, v186
	v_or_b32_sdwa v189, v189, v190 dst_sel:DWORD dst_unused:UNUSED_PAD src0_sel:BYTE_0 src1_sel:DWORD
	v_and_b32_e32 v184, 0x3030303, v183
	v_bfe_u32 v183, v183, 24, 2
	v_and_b32_e32 v186, 0x4040404, v186
	v_or_b32_sdwa v181, v189, v181 dst_sel:DWORD dst_unused:UNUSED_PAD src0_sel:WORD_0 src1_sel:DWORD
	v_sub_u16_e32 v187, v184, v186
	v_sub_u16_sdwa v189, v184, v186 dst_sel:BYTE_1 dst_unused:UNUSED_PAD src0_sel:BYTE_1 src1_sel:BYTE_1
	v_sub_u16_sdwa v183, v183, v186 dst_sel:BYTE_1 dst_unused:UNUSED_PAD src0_sel:DWORD src1_sel:BYTE_3
	v_sub_u16_sdwa v184, v184, v186 dst_sel:DWORD dst_unused:UNUSED_PAD src0_sel:WORD_1 src1_sel:WORD_1
	v_or_b32_sdwa v187, v187, v189 dst_sel:DWORD dst_unused:UNUSED_PAD src0_sel:BYTE_0 src1_sel:DWORD
	v_or_b32_sdwa v183, v184, v183 dst_sel:WORD_1 dst_unused:UNUSED_PAD src0_sel:BYTE_0 src1_sel:DWORD
	v_add_u32_e32 v184, 0x2108, v191
	v_or_b32_sdwa v183, v187, v183 dst_sel:DWORD dst_unused:UNUSED_PAD src0_sel:WORD_0 src1_sel:DWORD
	ds_read2_b32 v[186:187], v184 offset1:1
	ds_read2_b32 v[189:190], v200 offset0:2 offset1:3
	ds_read2_b32 v[200:201], v200 offset0:6 offset1:7
	s_waitcnt lgkmcnt(2)
	v_ashrrev_i32_e32 v184, s19, v186
	s_waitcnt lgkmcnt(1)
	v_ashrrev_i32_e32 v189, s17, v189
	v_lshlrev_b32_e32 v189, 2, v189
	v_and_b32_e32 v186, 0x3030303, v184
	v_bfe_u32 v184, v184, 24, 2
	v_and_b32_e32 v189, 0x4040404, v189
	v_sub_u16_e32 v193, v186, v189
	v_sub_u16_sdwa v194, v186, v189 dst_sel:BYTE_1 dst_unused:UNUSED_PAD src0_sel:BYTE_1 src1_sel:BYTE_1
	v_sub_u16_sdwa v184, v184, v189 dst_sel:BYTE_1 dst_unused:UNUSED_PAD src0_sel:DWORD src1_sel:BYTE_3
	v_sub_u16_sdwa v186, v186, v189 dst_sel:DWORD dst_unused:UNUSED_PAD src0_sel:WORD_1 src1_sel:WORD_1
	v_or_b32_sdwa v193, v193, v194 dst_sel:DWORD dst_unused:UNUSED_PAD src0_sel:BYTE_0 src1_sel:DWORD
	v_or_b32_sdwa v184, v186, v184 dst_sel:WORD_1 dst_unused:UNUSED_PAD src0_sel:BYTE_0 src1_sel:DWORD
	v_ashrrev_i32_e32 v189, s17, v190
	v_or_b32_sdwa v186, v193, v184 dst_sel:DWORD dst_unused:UNUSED_PAD src0_sel:WORD_0 src1_sel:DWORD
	v_ashrrev_i32_e32 v184, s19, v187
	v_lshlrev_b32_e32 v189, 2, v189
	v_and_b32_e32 v187, 0x3030303, v184
	v_bfe_u32 v184, v184, 24, 2
	v_and_b32_e32 v189, 0x4040404, v189
	v_sub_u16_e32 v190, v187, v189
	v_sub_u16_sdwa v193, v187, v189 dst_sel:BYTE_1 dst_unused:UNUSED_PAD src0_sel:BYTE_1 src1_sel:BYTE_1
	v_sub_u16_sdwa v184, v184, v189 dst_sel:BYTE_1 dst_unused:UNUSED_PAD src0_sel:DWORD src1_sel:BYTE_3
	v_sub_u16_sdwa v187, v187, v189 dst_sel:DWORD dst_unused:UNUSED_PAD src0_sel:WORD_1 src1_sel:WORD_1
	v_or_b32_sdwa v190, v190, v193 dst_sel:DWORD dst_unused:UNUSED_PAD src0_sel:BYTE_0 src1_sel:DWORD
	v_or_b32_sdwa v184, v187, v184 dst_sel:WORD_1 dst_unused:UNUSED_PAD src0_sel:BYTE_0 src1_sel:DWORD
	v_or_b32_sdwa v189, v190, v184 dst_sel:DWORD dst_unused:UNUSED_PAD src0_sel:WORD_0 src1_sel:DWORD
	v_add_u32_e32 v184, 0x2110, v191
	ds_read2_b32 v[193:194], v184 offset1:1
	v_ashrrev_i32_e32 v190, s17, v196
	v_lshlrev_b32_e32 v190, 2, v190
	v_and_b32_e32 v190, 0x4040404, v190
	s_waitcnt lgkmcnt(0)
	v_ashrrev_i32_e32 v184, s19, v193
	v_and_b32_e32 v187, 0x3030303, v184
	v_bfe_u32 v184, v184, 24, 2
	v_sub_u16_e32 v193, v187, v190
	v_sub_u16_sdwa v196, v187, v190 dst_sel:BYTE_1 dst_unused:UNUSED_PAD src0_sel:BYTE_1 src1_sel:BYTE_1
	v_sub_u16_sdwa v184, v184, v190 dst_sel:BYTE_1 dst_unused:UNUSED_PAD src0_sel:DWORD src1_sel:BYTE_3
	v_sub_u16_sdwa v187, v187, v190 dst_sel:DWORD dst_unused:UNUSED_PAD src0_sel:WORD_1 src1_sel:WORD_1
	v_or_b32_sdwa v193, v193, v196 dst_sel:DWORD dst_unused:UNUSED_PAD src0_sel:BYTE_0 src1_sel:DWORD
	v_or_b32_sdwa v184, v187, v184 dst_sel:WORD_1 dst_unused:UNUSED_PAD src0_sel:BYTE_0 src1_sel:DWORD
	v_ashrrev_i32_e32 v190, s17, v197
	v_or_b32_sdwa v193, v193, v184 dst_sel:DWORD dst_unused:UNUSED_PAD src0_sel:WORD_0 src1_sel:DWORD
	v_ashrrev_i32_e32 v184, s19, v194
	v_lshlrev_b32_e32 v190, 2, v190
	v_and_b32_e32 v187, 0x3030303, v184
	v_bfe_u32 v184, v184, 24, 2
	v_and_b32_e32 v190, 0x4040404, v190
	v_sub_u16_e32 v194, v187, v190
	v_sub_u16_sdwa v196, v187, v190 dst_sel:BYTE_1 dst_unused:UNUSED_PAD src0_sel:BYTE_1 src1_sel:BYTE_1
	v_sub_u16_sdwa v184, v184, v190 dst_sel:BYTE_1 dst_unused:UNUSED_PAD src0_sel:DWORD src1_sel:BYTE_3
	v_sub_u16_sdwa v187, v187, v190 dst_sel:DWORD dst_unused:UNUSED_PAD src0_sel:WORD_1 src1_sel:WORD_1
	v_or_b32_sdwa v194, v194, v196 dst_sel:DWORD dst_unused:UNUSED_PAD src0_sel:BYTE_0 src1_sel:DWORD
	v_or_b32_sdwa v184, v187, v184 dst_sel:WORD_1 dst_unused:UNUSED_PAD src0_sel:BYTE_0 src1_sel:DWORD
	v_or_b32_sdwa v196, v194, v184 dst_sel:DWORD dst_unused:UNUSED_PAD src0_sel:WORD_0 src1_sel:DWORD
	v_add_u32_e32 v184, 0x2118, v191
	ds_read2_b32 v[198:199], v184 offset1:1
	v_ashrrev_i32_e32 v190, s17, v200
	v_lshlrev_b32_e32 v190, 2, v190
	v_and_b32_e32 v190, 0x4040404, v190
	s_waitcnt lgkmcnt(0)
	v_ashrrev_i32_e32 v184, s19, v198
	v_and_b32_e32 v187, 0x3030303, v184
	v_bfe_u32 v184, v184, 24, 2
	v_sub_u16_e32 v194, v187, v190
	v_sub_u16_sdwa v197, v187, v190 dst_sel:BYTE_1 dst_unused:UNUSED_PAD src0_sel:BYTE_1 src1_sel:BYTE_1
	v_sub_u16_sdwa v184, v184, v190 dst_sel:BYTE_1 dst_unused:UNUSED_PAD src0_sel:DWORD src1_sel:BYTE_3
	v_sub_u16_sdwa v187, v187, v190 dst_sel:DWORD dst_unused:UNUSED_PAD src0_sel:WORD_1 src1_sel:WORD_1
	v_or_b32_sdwa v194, v194, v197 dst_sel:DWORD dst_unused:UNUSED_PAD src0_sel:BYTE_0 src1_sel:DWORD
	v_or_b32_sdwa v184, v187, v184 dst_sel:WORD_1 dst_unused:UNUSED_PAD src0_sel:BYTE_0 src1_sel:DWORD
	v_ashrrev_i32_e32 v190, s17, v201
	v_or_b32_sdwa v198, v194, v184 dst_sel:DWORD dst_unused:UNUSED_PAD src0_sel:WORD_0 src1_sel:DWORD
	v_ashrrev_i32_e32 v184, s19, v199
	v_lshlrev_b32_e32 v190, 2, v190
	v_and_b32_e32 v187, 0x3030303, v184
	v_bfe_u32 v184, v184, 24, 2
	v_and_b32_e32 v190, 0x4040404, v190
	v_sub_u16_e32 v194, v187, v190
	v_sub_u16_sdwa v197, v187, v190 dst_sel:BYTE_1 dst_unused:UNUSED_PAD src0_sel:BYTE_1 src1_sel:BYTE_1
	v_sub_u16_sdwa v184, v184, v190 dst_sel:BYTE_1 dst_unused:UNUSED_PAD src0_sel:DWORD src1_sel:BYTE_3
	v_sub_u16_sdwa v187, v187, v190 dst_sel:DWORD dst_unused:UNUSED_PAD src0_sel:WORD_1 src1_sel:WORD_1
	v_or_b32_sdwa v184, v187, v184 dst_sel:WORD_1 dst_unused:UNUSED_PAD src0_sel:BYTE_0 src1_sel:DWORD
	v_dot4_i32_i8 v187, v181, v38, 0
	v_dot4_i32_i8 v187, v183, v39, v187
	;; [unrolled: 1-line block ×5, first 2 shown]
	v_or_b32_sdwa v194, v194, v197 dst_sel:DWORD dst_unused:UNUSED_PAD src0_sel:BYTE_0 src1_sel:DWORD
	v_dot4_i32_i8 v187, v196, v35, v187
	v_or_b32_sdwa v200, v194, v184 dst_sel:DWORD dst_unused:UNUSED_PAD src0_sel:WORD_0 src1_sel:DWORD
	v_dot4_i32_i8 v187, v198, v36, v187
	v_add3_u32 v184, s22, v167, v127
	v_dot4_i32_i8 v215, v200, v37, v187
	v_add_u32_e32 v187, 0x3180, v191
	ds_read_b32 v184, v184
	ds_read2_b32 v[201:202], v187 offset1:1
	v_ashrrev_i32_e32 v194, s17, v211
	v_lshlrev_b32_e32 v194, 2, v194
	v_and_b32_e32 v194, 0x4040404, v194
	s_waitcnt lgkmcnt(0)
	v_ashrrev_i32_e32 v187, s19, v201
	v_and_b32_e32 v190, 0x3030303, v187
	v_bfe_u32 v187, v187, 24, 2
	v_sub_u16_e32 v197, v190, v194
	v_sub_u16_sdwa v199, v190, v194 dst_sel:BYTE_1 dst_unused:UNUSED_PAD src0_sel:BYTE_1 src1_sel:BYTE_1
	v_sub_u16_sdwa v187, v187, v194 dst_sel:BYTE_1 dst_unused:UNUSED_PAD src0_sel:DWORD src1_sel:BYTE_3
	v_sub_u16_sdwa v190, v190, v194 dst_sel:DWORD dst_unused:UNUSED_PAD src0_sel:WORD_1 src1_sel:WORD_1
	v_or_b32_sdwa v197, v197, v199 dst_sel:DWORD dst_unused:UNUSED_PAD src0_sel:BYTE_0 src1_sel:DWORD
	v_or_b32_sdwa v187, v190, v187 dst_sel:WORD_1 dst_unused:UNUSED_PAD src0_sel:BYTE_0 src1_sel:DWORD
	v_or_b32_sdwa v187, v197, v187 dst_sel:DWORD dst_unused:UNUSED_PAD src0_sel:WORD_0 src1_sel:DWORD
	v_ashrrev_i32_e32 v197, s17, v212
	v_ashrrev_i32_e32 v190, s19, v202
	v_lshlrev_b32_e32 v197, 2, v197
	v_and_b32_e32 v194, 0x3030303, v190
	v_bfe_u32 v190, v190, 24, 2
	v_and_b32_e32 v197, 0x4040404, v197
	v_sub_u16_e32 v199, v194, v197
	v_sub_u16_sdwa v201, v194, v197 dst_sel:BYTE_1 dst_unused:UNUSED_PAD src0_sel:BYTE_1 src1_sel:BYTE_1
	v_sub_u16_sdwa v190, v190, v197 dst_sel:BYTE_1 dst_unused:UNUSED_PAD src0_sel:DWORD src1_sel:BYTE_3
	v_sub_u16_sdwa v194, v194, v197 dst_sel:DWORD dst_unused:UNUSED_PAD src0_sel:WORD_1 src1_sel:WORD_1
	v_or_b32_sdwa v190, v194, v190 dst_sel:WORD_1 dst_unused:UNUSED_PAD src0_sel:BYTE_0 src1_sel:DWORD
	v_add_u32_e32 v194, 0x3188, v191
	v_or_b32_sdwa v199, v199, v201 dst_sel:DWORD dst_unused:UNUSED_PAD src0_sel:BYTE_0 src1_sel:DWORD
	ds_read2_b32 v[201:202], v194 offset1:1
	ds_read2_b32 v[211:212], v216 offset0:2 offset1:3
	v_or_b32_sdwa v190, v199, v190 dst_sel:DWORD dst_unused:UNUSED_PAD src0_sel:WORD_0 src1_sel:DWORD
	v_dot4_i32_i8 v38, v187, v38, 0
	v_dot4_i32_i8 v38, v190, v39, v38
	s_waitcnt lgkmcnt(1)
	v_ashrrev_i32_e32 v194, s19, v201
	s_waitcnt lgkmcnt(0)
	v_ashrrev_i32_e32 v199, s17, v211
	v_lshlrev_b32_e32 v199, 2, v199
	v_and_b32_e32 v197, 0x3030303, v194
	v_bfe_u32 v194, v194, 24, 2
	v_and_b32_e32 v199, 0x4040404, v199
	v_sub_u16_e32 v201, v197, v199
	v_sub_u16_sdwa v203, v197, v199 dst_sel:BYTE_1 dst_unused:UNUSED_PAD src0_sel:BYTE_1 src1_sel:BYTE_1
	v_sub_u16_sdwa v194, v194, v199 dst_sel:BYTE_1 dst_unused:UNUSED_PAD src0_sel:DWORD src1_sel:BYTE_3
	v_sub_u16_sdwa v197, v197, v199 dst_sel:DWORD dst_unused:UNUSED_PAD src0_sel:WORD_1 src1_sel:WORD_1
	v_or_b32_sdwa v201, v201, v203 dst_sel:DWORD dst_unused:UNUSED_PAD src0_sel:BYTE_0 src1_sel:DWORD
	v_or_b32_sdwa v194, v197, v194 dst_sel:WORD_1 dst_unused:UNUSED_PAD src0_sel:BYTE_0 src1_sel:DWORD
	v_or_b32_sdwa v194, v201, v194 dst_sel:DWORD dst_unused:UNUSED_PAD src0_sel:WORD_0 src1_sel:DWORD
	v_ashrrev_i32_e32 v201, s17, v212
	v_ashrrev_i32_e32 v197, s19, v202
	v_lshlrev_b32_e32 v201, 2, v201
	v_and_b32_e32 v199, 0x3030303, v197
	v_bfe_u32 v197, v197, 24, 2
	v_and_b32_e32 v201, 0x4040404, v201
	v_sub_u16_e32 v202, v199, v201
	v_sub_u16_sdwa v203, v199, v201 dst_sel:BYTE_1 dst_unused:UNUSED_PAD src0_sel:BYTE_1 src1_sel:BYTE_1
	v_sub_u16_sdwa v197, v197, v201 dst_sel:BYTE_1 dst_unused:UNUSED_PAD src0_sel:DWORD src1_sel:BYTE_3
	v_sub_u16_sdwa v199, v199, v201 dst_sel:DWORD dst_unused:UNUSED_PAD src0_sel:WORD_1 src1_sel:WORD_1
	v_or_b32_sdwa v202, v202, v203 dst_sel:DWORD dst_unused:UNUSED_PAD src0_sel:BYTE_0 src1_sel:DWORD
	v_or_b32_sdwa v197, v199, v197 dst_sel:WORD_1 dst_unused:UNUSED_PAD src0_sel:BYTE_0 src1_sel:DWORD
	v_add_u32_e32 v199, 0x3190, v191
	v_or_b32_sdwa v197, v202, v197 dst_sel:DWORD dst_unused:UNUSED_PAD src0_sel:WORD_0 src1_sel:DWORD
	ds_read2_b32 v[201:202], v199 offset1:1
	ds_read2_b32 v[211:212], v216 offset0:4 offset1:5
	v_add_u32_e32 v191, 0x3198, v191
	v_dot4_i32_i8 v38, v194, v40, v38
	v_dot4_i32_i8 v38, v197, v41, v38
	s_waitcnt lgkmcnt(1)
	v_ashrrev_i32_e32 v199, s19, v201
	s_waitcnt lgkmcnt(0)
	v_ashrrev_i32_e32 v203, s17, v211
	v_lshlrev_b32_e32 v203, 2, v203
	v_and_b32_e32 v201, 0x3030303, v199
	v_bfe_u32 v199, v199, 24, 2
	v_and_b32_e32 v203, 0x4040404, v203
	v_sub_u16_e32 v211, v201, v203
	v_sub_u16_sdwa v217, v201, v203 dst_sel:BYTE_1 dst_unused:UNUSED_PAD src0_sel:BYTE_1 src1_sel:BYTE_1
	v_sub_u16_sdwa v199, v199, v203 dst_sel:BYTE_1 dst_unused:UNUSED_PAD src0_sel:DWORD src1_sel:BYTE_3
	v_sub_u16_sdwa v201, v201, v203 dst_sel:DWORD dst_unused:UNUSED_PAD src0_sel:WORD_1 src1_sel:WORD_1
	v_ashrrev_i32_e32 v203, s17, v212
	v_or_b32_sdwa v199, v201, v199 dst_sel:WORD_1 dst_unused:UNUSED_PAD src0_sel:BYTE_0 src1_sel:DWORD
	v_ashrrev_i32_e32 v201, s19, v202
	v_lshlrev_b32_e32 v203, 2, v203
	v_or_b32_sdwa v211, v211, v217 dst_sel:DWORD dst_unused:UNUSED_PAD src0_sel:BYTE_0 src1_sel:DWORD
	v_and_b32_e32 v202, 0x3030303, v201
	v_bfe_u32 v201, v201, 24, 2
	v_and_b32_e32 v203, 0x4040404, v203
	v_or_b32_sdwa v199, v211, v199 dst_sel:DWORD dst_unused:UNUSED_PAD src0_sel:WORD_0 src1_sel:DWORD
	v_sub_u16_e32 v211, v202, v203
	v_sub_u16_sdwa v212, v202, v203 dst_sel:BYTE_1 dst_unused:UNUSED_PAD src0_sel:BYTE_1 src1_sel:BYTE_1
	v_sub_u16_sdwa v201, v201, v203 dst_sel:BYTE_1 dst_unused:UNUSED_PAD src0_sel:DWORD src1_sel:BYTE_3
	v_sub_u16_sdwa v202, v202, v203 dst_sel:DWORD dst_unused:UNUSED_PAD src0_sel:WORD_1 src1_sel:WORD_1
	v_or_b32_sdwa v211, v211, v212 dst_sel:DWORD dst_unused:UNUSED_PAD src0_sel:BYTE_0 src1_sel:DWORD
	v_or_b32_sdwa v201, v202, v201 dst_sel:WORD_1 dst_unused:UNUSED_PAD src0_sel:BYTE_0 src1_sel:DWORD
	v_or_b32_sdwa v201, v211, v201 dst_sel:DWORD dst_unused:UNUSED_PAD src0_sel:WORD_0 src1_sel:DWORD
	ds_read2_b32 v[202:203], v191 offset1:1
	ds_read2_b32 v[211:212], v216 offset0:6 offset1:7
	v_dot4_i32_i8 v34, v199, v34, 0
	v_dot4_i32_i8 v34, v201, v35, v34
	s_waitcnt lgkmcnt(1)
	v_ashrrev_i32_e32 v191, s19, v202
	s_waitcnt lgkmcnt(0)
	v_ashrrev_i32_e32 v211, s17, v211
	v_lshlrev_b32_e32 v211, 2, v211
	v_and_b32_e32 v202, 0x3030303, v191
	v_bfe_u32 v191, v191, 24, 2
	v_and_b32_e32 v211, 0x4040404, v211
	v_sub_u16_e32 v216, v202, v211
	v_sub_u16_sdwa v217, v202, v211 dst_sel:BYTE_1 dst_unused:UNUSED_PAD src0_sel:BYTE_1 src1_sel:BYTE_1
	v_sub_u16_sdwa v191, v191, v211 dst_sel:BYTE_1 dst_unused:UNUSED_PAD src0_sel:DWORD src1_sel:BYTE_3
	v_sub_u16_sdwa v202, v202, v211 dst_sel:DWORD dst_unused:UNUSED_PAD src0_sel:WORD_1 src1_sel:WORD_1
	v_or_b32_sdwa v216, v216, v217 dst_sel:DWORD dst_unused:UNUSED_PAD src0_sel:BYTE_0 src1_sel:DWORD
	v_or_b32_sdwa v191, v202, v191 dst_sel:WORD_1 dst_unused:UNUSED_PAD src0_sel:BYTE_0 src1_sel:DWORD
	v_ashrrev_i32_e32 v211, s17, v212
	v_or_b32_sdwa v202, v216, v191 dst_sel:DWORD dst_unused:UNUSED_PAD src0_sel:WORD_0 src1_sel:DWORD
	v_ashrrev_i32_e32 v191, s19, v203
	v_lshlrev_b32_e32 v211, 2, v211
	v_and_b32_e32 v203, 0x3030303, v191
	v_bfe_u32 v191, v191, 24, 2
	v_and_b32_e32 v211, 0x4040404, v211
	v_sub_u16_e32 v212, v203, v211
	v_sub_u16_sdwa v216, v203, v211 dst_sel:BYTE_1 dst_unused:UNUSED_PAD src0_sel:BYTE_1 src1_sel:BYTE_1
	v_sub_u16_sdwa v191, v191, v211 dst_sel:BYTE_1 dst_unused:UNUSED_PAD src0_sel:DWORD src1_sel:BYTE_3
	v_sub_u16_sdwa v203, v203, v211 dst_sel:DWORD dst_unused:UNUSED_PAD src0_sel:WORD_1 src1_sel:WORD_1
	v_or_b32_sdwa v212, v212, v216 dst_sel:DWORD dst_unused:UNUSED_PAD src0_sel:BYTE_0 src1_sel:DWORD
	v_or_b32_sdwa v191, v203, v191 dst_sel:WORD_1 dst_unused:UNUSED_PAD src0_sel:BYTE_0 src1_sel:DWORD
	v_or_b32_sdwa v203, v212, v191 dst_sel:DWORD dst_unused:UNUSED_PAD src0_sel:WORD_0 src1_sel:DWORD
	v_add3_u32 v191, s22, v169, v129
	ds_read_b32 v191, v191
	ds_read_b128 v[217:220], v174 offset:1024
	ds_read_b128 v[221:224], v174 offset:1040
	v_dot4_i32_i8 v34, v202, v36, v34
	v_dot4_i32_i8 v34, v203, v37, v34
	v_add_u32_e32 v216, s20, v140
	s_waitcnt lgkmcnt(1)
	v_dot4_i32_i8 v35, v49, v217, 0
	v_dot4_i32_i8 v35, v50, v218, v35
	;; [unrolled: 1-line block ×4, first 2 shown]
	s_waitcnt lgkmcnt(0)
	v_dot4_i32_i8 v35, v53, v221, 0
	v_dot4_i32_i8 v35, v204, v222, v35
	;; [unrolled: 1-line block ×28, first 2 shown]
	ds_read2_b32 v[35:36], v175 offset0:64 offset1:96
	ds_read_b128 v[217:220], v174 offset:2048
	ds_read_b128 v[221:224], v174 offset:2064
	s_add_i32 s17, s17, 1
	s_cmp_lt_u32 s19, 6
	s_waitcnt lgkmcnt(1)
	v_dot4_i32_i8 v39, v49, v217, 0
	v_dot4_i32_i8 v39, v50, v218, v39
	;; [unrolled: 1-line block ×4, first 2 shown]
	s_waitcnt lgkmcnt(0)
	v_dot4_i32_i8 v39, v53, v221, 0
	v_dot4_i32_i8 v39, v204, v222, v39
	;; [unrolled: 1-line block ×24, first 2 shown]
	ds_read_b128 v[217:220], v174 offset:3072
	ds_read_b128 v[225:228], v174 offset:3088
	v_dot4_i32_i8 v39, v199, v221, 0
	v_dot4_i32_i8 v39, v201, v222, v39
	;; [unrolled: 1-line block ×4, first 2 shown]
	s_waitcnt lgkmcnt(1)
	v_dot4_i32_i8 v39, v49, v217, 0
	v_dot4_i32_i8 v39, v50, v218, v39
	;; [unrolled: 1-line block ×4, first 2 shown]
	s_waitcnt lgkmcnt(0)
	v_dot4_i32_i8 v39, v53, v225, 0
	v_dot4_i32_i8 v39, v204, v226, v39
	;; [unrolled: 1-line block ×4, first 2 shown]
	ds_read_u16 v39, v47 offset:2
	s_waitcnt lgkmcnt(0)
	v_lshrrev_b16_e32 v47, 8, v39
	v_bfe_i32 v223, v47, 0, 8
	v_bfe_i32 v224, v39, 0, 8
	v_mul_lo_u32 v41, v41, v223
	v_mul_lo_u32 v37, v37, v224
	;; [unrolled: 1-line block ×4, first 2 shown]
	v_mad_u64_u32 v[211:212], s[20:21], v211, v224, v[41:42]
                                        ; kill: def $vgpr41 killed $sgpr0 killed $exec
	v_mad_u64_u32 v[40:41], s[20:21], v221, v223, v[40:41]
	v_mad_u64_u32 v[221:222], s[20:21], v229, v223, v[37:38]
	;; [unrolled: 1-line block ×3, first 2 shown]
	v_cvt_f32_i32_e32 v207, v221
	v_mul_f32_e32 v37, v176, v46
	v_cvt_f32_i32_e32 v40, v40
	v_mul_f32_e32 v41, v176, v36
	v_fmac_f32_e32 v18, v37, v207
	v_dot4_i32_i8 v37, v177, v217, 0
	v_dot4_i32_i8 v37, v178, v218, v37
	;; [unrolled: 1-line block ×3, first 2 shown]
	v_fma_f32 v20, v41, v40, v20
	v_dot4_i32_i8 v40, v182, v220, v37
	v_dot4_i32_i8 v37, v185, v225, 0
	;; [unrolled: 1-line block ×5, first 2 shown]
	ds_read_u16 v37, v209 offset:2
	v_cvt_f32_i32_e32 v47, v47
	v_cvt_f32_i32_e32 v211, v211
	v_mul_f32_e32 v39, v176, v45
	v_mul_f32_e32 v48, v176, v35
	v_fma_f32 v19, v39, v47, v19
	s_waitcnt lgkmcnt(0)
	v_lshrrev_b16_e32 v39, 8, v37
	v_fma_f32 v21, v48, v211, v21
	v_bfe_i32 v211, v39, 0, 8
	v_bfe_i32 v212, v37, 0, 8
	v_mul_lo_u32 v41, v237, v211
	v_mul_lo_u32 v40, v40, v212
	;; [unrolled: 1-line block ×4, first 2 shown]
	v_mad_u64_u32 v[47:48], s[20:21], v236, v212, v[41:42]
                                        ; kill: def $vgpr41 killed $sgpr0 killed $exec
	v_mul_f32_e32 v48, v179, v35
	v_mad_u64_u32 v[40:41], s[20:21], v207, v211, v[40:41]
	v_mul_f32_e32 v41, v179, v36
	v_cvt_f32_i32_e32 v47, v47
	v_mad_u64_u32 v[207:208], s[20:21], v208, v212, v[39:40]
	v_mad_u64_u32 v[208:209], s[20:21], v231, v211, v[37:38]
	v_mul_f32_e32 v37, v179, v46
	v_cvt_f32_i32_e32 v40, v40
	v_cvt_f32_i32_e32 v208, v208
	;; [unrolled: 1-line block ×3, first 2 shown]
	v_mul_f32_e32 v39, v179, v45
	v_fma_f32 v32, v41, v40, v32
	v_fmac_f32_e32 v30, v37, v208
	v_dot4_i32_i8 v37, v181, v217, 0
	v_dot4_i32_i8 v37, v183, v218, v37
	;; [unrolled: 1-line block ×7, first 2 shown]
	v_fma_f32 v31, v39, v207, v31
	v_dot4_i32_i8 v207, v200, v228, v37
	ds_read_u16 v37, v214 offset:2
	v_fma_f32 v33, v48, v47, v33
	s_waitcnt lgkmcnt(0)
	v_lshrrev_b16_e32 v39, 8, v37
	v_bfe_i32 v209, v39, 0, 8
	v_bfe_i32 v210, v37, 0, 8
	v_mul_lo_u32 v41, v239, v209
	v_mul_lo_u32 v40, v40, v210
	;; [unrolled: 1-line block ×4, first 2 shown]
	v_mad_u64_u32 v[47:48], s[20:21], v238, v210, v[41:42]
                                        ; kill: def $vgpr41 killed $sgpr0 killed $exec
	v_mul_f32_e32 v48, v184, v35
	v_mad_u64_u32 v[40:41], s[20:21], v207, v209, v[40:41]
	v_cvt_f32_i32_e32 v47, v47
	v_mul_f32_e32 v41, v184, v36
	v_mad_u64_u32 v[207:208], s[20:21], v213, v210, v[39:40]
	v_mad_u64_u32 v[213:214], s[20:21], v233, v209, v[37:38]
	v_mul_f32_e32 v37, v184, v46
	v_cvt_f32_i32_e32 v207, v207
	v_cvt_f32_i32_e32 v208, v213
	v_mul_f32_e32 v39, v184, v45
	v_fma_f32 v29, v48, v47, v29
	v_fma_f32 v27, v39, v207, v27
	v_fmac_f32_e32 v26, v37, v208
	v_dot4_i32_i8 v37, v187, v217, 0
	v_dot4_i32_i8 v37, v190, v218, v37
	;; [unrolled: 1-line block ×8, first 2 shown]
	ds_read_u16 v37, v216 offset:2
	v_cvt_f32_i32_e32 v40, v40
	v_mul_f32_e32 v36, v191, v36
	v_fma_f32 v28, v41, v40, v28
	s_waitcnt lgkmcnt(0)
	v_lshrrev_b16_e32 v40, 8, v37
	v_bfe_i32 v207, v40, 0, 8
	v_mul_lo_u32 v40, v241, v207
	v_bfe_i32 v208, v37, 0, 8
                                        ; kill: def $vgpr41 killed $sgpr0 killed $exec
	v_mul_lo_u32 v34, v34, v207
	v_mul_lo_u32 v39, v39, v208
	v_mad_u64_u32 v[40:41], s[20:21], v240, v208, v[40:41]
	v_mul_lo_u32 v37, v234, v208
	v_mad_u64_u32 v[47:48], s[20:21], v47, v207, v[39:40]
	v_mad_u64_u32 v[38:39], s[20:21], v38, v208, v[34:35]
	v_cvt_f32_i32_e32 v41, v47
	v_cvt_f32_i32_e32 v40, v40
	v_mad_u64_u32 v[213:214], s[20:21], v235, v207, v[37:38]
	v_cvt_f32_i32_e32 v38, v38
	v_mul_f32_e32 v34, v191, v46
	v_cvt_f32_i32_e32 v39, v213
	v_mul_f32_e32 v37, v191, v45
	v_mul_f32_e32 v35, v191, v35
	v_fma_f32 v25, v35, v40, v25
	v_fma_f32 v24, v36, v41, v24
	;; [unrolled: 1-line block ×3, first 2 shown]
	v_fmac_f32_e32 v22, v34, v39
	ds_read2_b32 v[45:46], v175 offset0:128 offset1:160
	ds_read_b128 v[34:37], v174 offset:4096
	ds_read_b128 v[38:41], v174 offset:4112
	s_waitcnt lgkmcnt(1)
	v_dot4_i32_i8 v47, v49, v34, 0
	v_dot4_i32_i8 v47, v50, v35, v47
	;; [unrolled: 1-line block ×4, first 2 shown]
	s_waitcnt lgkmcnt(0)
	v_dot4_i32_i8 v47, v53, v38, 0
	v_dot4_i32_i8 v47, v204, v39, v47
	;; [unrolled: 1-line block ×28, first 2 shown]
	ds_read_b128 v[34:37], v174 offset:5120
	ds_read_b128 v[38:41], v174 offset:5136
	s_waitcnt lgkmcnt(1)
	v_dot4_i32_i8 v47, v49, v34, 0
	v_dot4_i32_i8 v47, v50, v35, v47
	;; [unrolled: 1-line block ×4, first 2 shown]
	s_waitcnt lgkmcnt(0)
	v_dot4_i32_i8 v47, v53, v38, 0
	v_dot4_i32_i8 v47, v204, v39, v47
	;; [unrolled: 1-line block ×28, first 2 shown]
	ds_read2_b32 v[47:48], v175 offset0:192 offset1:224
	ds_read_b128 v[34:37], v174 offset:6144
	ds_read_b128 v[38:41], v174 offset:6160
	v_add_u32_e32 v175, 4, v175
	s_waitcnt lgkmcnt(1)
	v_dot4_i32_i8 v225, v49, v34, 0
	v_dot4_i32_i8 v225, v50, v35, v225
	;; [unrolled: 1-line block ×4, first 2 shown]
	s_waitcnt lgkmcnt(0)
	v_dot4_i32_i8 v225, v53, v38, 0
	v_dot4_i32_i8 v225, v204, v39, v225
	;; [unrolled: 1-line block ×28, first 2 shown]
	ds_read_b128 v[38:41], v174 offset:7168
	ds_read_b128 v[34:37], v174 offset:7184
	v_add_u32_e32 v174, 32, v174
	s_waitcnt lgkmcnt(1)
	v_dot4_i32_i8 v49, v49, v38, 0
	v_dot4_i32_i8 v49, v50, v39, v49
	;; [unrolled: 1-line block ×4, first 2 shown]
	s_waitcnt lgkmcnt(0)
	v_dot4_i32_i8 v50, v53, v34, 0
	v_mul_lo_u32 v51, v49, v224
	v_mul_lo_u32 v49, v238, v223
	v_dot4_i32_i8 v50, v204, v35, v50
	v_mul_lo_u32 v52, v234, v223
	v_dot4_i32_i8 v50, v205, v36, v50
	;; [unrolled: 2-line block ×3, first 2 shown]
                                        ; kill: def $vgpr50 killed $sgpr0 killed $exec
	v_mul_f32_e32 v205, v176, v48
	v_mad_u64_u32 v[49:50], s[20:21], v237, v224, v[49:50]
	v_mad_u64_u32 v[50:51], s[20:21], v204, v223, v[51:52]
	;; [unrolled: 1-line block ×4, first 2 shown]
	v_cvt_f32_i32_e32 v49, v49
	v_mul_f32_e32 v53, v176, v46
	v_cvt_f32_i32_e32 v52, v52
	v_mul_f32_e32 v204, v176, v45
	v_mul_f32_e32 v176, v176, v47
	v_cvt_f32_i32_e32 v51, v51
	v_fma_f32 v17, v176, v49, v17
	v_fmac_f32_e32 v14, v53, v52
	v_dot4_i32_i8 v49, v177, v38, 0
	v_mul_lo_u32 v52, v232, v211
	v_cvt_f32_i32_e32 v50, v50
	v_dot4_i32_i8 v49, v178, v39, v49
	v_dot4_i32_i8 v49, v180, v40, v49
	v_fma_f32 v15, v204, v51, v15
	v_dot4_i32_i8 v51, v182, v41, v49
                                        ; kill: def $vgpr53 killed $sgpr0 killed $exec
	v_dot4_i32_i8 v49, v185, v34, 0
	v_mul_lo_u32 v51, v51, v212
	v_mad_u64_u32 v[52:53], s[20:21], v231, v212, v[52:53]
	v_fma_f32 v16, v205, v50, v16
	v_dot4_i32_i8 v49, v188, v35, v49
	v_mul_lo_u32 v50, v222, v211
	v_dot4_i32_i8 v49, v192, v36, v49
	v_dot4_i32_i8 v176, v195, v37, v49
	v_mad_u64_u32 v[176:177], s[20:21], v176, v211, v[51:52]
                                        ; kill: def $vgpr51 killed $sgpr0 killed $exec
	v_mul_lo_u32 v49, v228, v212
	v_mad_u64_u32 v[50:51], s[20:21], v221, v212, v[50:51]
	v_mul_f32_e32 v51, v179, v45
	v_cvt_f32_i32_e32 v176, v176
	v_mad_u64_u32 v[177:178], s[20:21], v227, v211, v[49:50]
	v_mul_f32_e32 v49, v179, v46
	v_cvt_f32_i32_e32 v50, v50
	v_cvt_f32_i32_e32 v177, v177
	;; [unrolled: 1-line block ×3, first 2 shown]
	v_mul_f32_e32 v53, v179, v48
	v_fma_f32 v11, v51, v50, v11
	v_fmac_f32_e32 v10, v49, v177
	v_dot4_i32_i8 v49, v181, v38, 0
	v_dot4_i32_i8 v49, v183, v39, v49
	;; [unrolled: 1-line block ×8, first 2 shown]
	v_mul_f32_e32 v178, v179, v47
	v_dot4_i32_i8 v49, v198, v36, v49
	v_dot4_i32_i8 v38, v187, v38, 0
	;; [unrolled: 1-line block ×3, first 2 shown]
	v_fma_f32 v13, v178, v52, v13
	v_fma_f32 v12, v53, v176, v12
	v_dot4_i32_i8 v176, v200, v37, v49
	v_mul_lo_u32 v52, v230, v209
	v_dot4_i32_i8 v38, v190, v39, v38
	v_dot4_i32_i8 v39, v203, v37, v34
	v_mul_lo_u32 v37, v226, v207
	v_dot4_i32_i8 v38, v194, v40, v38
	v_dot4_i32_i8 v38, v197, v41, v38
                                        ; kill: def $vgpr53 killed $sgpr0 killed $exec
	v_mul_lo_u32 v36, v38, v208
                                        ; kill: def $vgpr38 killed $sgpr0 killed $exec
	v_mul_lo_u32 v51, v51, v210
	v_mad_u64_u32 v[52:53], s[20:21], v229, v210, v[52:53]
	v_mad_u64_u32 v[37:38], s[20:21], v225, v208, v[37:38]
	v_mul_lo_u32 v50, v218, v209
	v_mul_lo_u32 v35, v214, v207
	v_mad_u64_u32 v[176:177], s[20:21], v176, v209, v[51:52]
                                        ; kill: def $vgpr51 killed $sgpr0 killed $exec
	v_mad_u64_u32 v[38:39], s[20:21], v39, v207, v[36:37]
                                        ; kill: def $vgpr36 killed $sgpr0 killed $exec
	v_mul_lo_u32 v49, v220, v210
	v_mad_u64_u32 v[50:51], s[20:21], v217, v210, v[50:51]
	v_mul_lo_u32 v34, v216, v208
	v_mad_u64_u32 v[35:36], s[20:21], v213, v208, v[35:36]
	v_mad_u64_u32 v[177:178], s[20:21], v219, v209, v[49:50]
	;; [unrolled: 1-line block ×3, first 2 shown]
	v_cvt_f32_i32_e32 v177, v177
	v_cvt_f32_i32_e32 v50, v50
	;; [unrolled: 1-line block ×8, first 2 shown]
	v_mul_f32_e32 v49, v184, v46
	v_mul_f32_e32 v51, v184, v45
	;; [unrolled: 1-line block ×8, first 2 shown]
	v_fma_f32 v9, v178, v52, v9
	v_fma_f32 v8, v53, v176, v8
	;; [unrolled: 1-line block ×3, first 2 shown]
	v_fmac_f32_e32 v6, v49, v177
	v_fma_f32 v5, v41, v37, v5
	v_fma_f32 v4, v40, v38, v4
	;; [unrolled: 1-line block ×3, first 2 shown]
	v_fmac_f32_e32 v2, v34, v39
	s_mov_b32 s20, s19
	s_cbranch_scc1 .LBB169_7
; %bb.8:                                ;   in Loop: Header=BB169_6 Depth=1
	v_add_u32_e32 v53, s16, v130
	v_add_u32_e32 v51, 4, v173
	;; [unrolled: 1-line block ×3, first 2 shown]
	v_mad_u64_u32 v[51:52], s[18:19], v51, 36, s[2:3]
	v_mad_i64_i32 v[34:35], s[18:19], v34, 36, v[43:44]
	v_add_u32_e32 v36, v53, v115
	v_mad_i64_i32 v[36:37], s[18:19], v36, 36, v[43:44]
	v_add_u32_e32 v38, v53, v116
	v_add_u32_e32 v40, v53, v117
	v_mad_i64_i32 v[38:39], s[18:19], v38, 36, v[43:44]
	v_mad_i64_i32 v[40:41], s[18:19], v40, 36, v[43:44]
	v_add_u32_e32 v45, v53, v118
	v_add_u32_e32 v47, v53, v119
	;; [unrolled: 1-line block ×4, first 2 shown]
	s_barrier
	v_mad_i64_i32 v[45:46], s[18:19], v45, 36, v[43:44]
	v_mad_i64_i32 v[47:48], s[18:19], v47, 36, v[43:44]
	v_mad_i64_i32 v[49:50], s[18:19], v49, 36, v[43:44]
	v_mad_i64_i32 v[174:175], s[18:19], v53, 36, v[43:44]
	global_load_dword v51, v[51:52], off
	s_nop 0
	global_load_dword v34, v[34:35], off offset:4
	s_nop 0
	global_load_dword v35, v[36:37], off offset:4
	;; [unrolled: 2-line block ×3, first 2 shown]
	global_load_dword v37, v[40:41], off offset:4
	s_nop 0
	global_load_dword v38, v[45:46], off offset:4
	global_load_dword v39, v[47:48], off offset:4
	global_load_dword v40, v[49:50], off offset:4
	global_load_dword v41, v[174:175], off offset:4
	s_mov_b32 s17, 4
	s_mov_b32 s18, 8
	;; [unrolled: 1-line block ×3, first 2 shown]
	v_mov_b32_e32 v174, v142
	v_mov_b32_e32 v175, v141
	s_waitcnt vmcnt(8)
	v_cvt_f32_f16_e32 v45, v51
	s_waitcnt vmcnt(7)
	ds_write_b32 v155, v34
	s_waitcnt vmcnt(6)
	ds_write_b32 v156, v35
	;; [unrolled: 2-line block ×8, first 2 shown]
	ds_write_b32 v113, v45
	s_waitcnt lgkmcnt(0)
	s_barrier
.LBB169_9:                              ;   Parent Loop BB169_6 Depth=1
                                        ; =>  This Inner Loop Header: Depth=2
	s_add_i32 s19, s20, 2
	s_lshr_b32 s24, s19, 4
	s_and_b32 s22, s19, 0x3ffffff8
	v_lshl_add_u32 v203, s22, 2, v122
	s_lshl_b32 s22, s24, 5
	s_addk_i32 s22, 0x4200
	v_add3_u32 v178, s22, v170, v123
	ds_read2_b32 v[45:46], v175 offset1:32
	ds_read_b128 v[38:41], v174
	ds_read_b128 v[34:37], v174 offset:16
	ds_read2_b32 v[49:50], v178 offset1:1
	ds_read2_b32 v[47:48], v203 offset1:1
	v_add3_u32 v197, s22, v166, v126
	s_add_i32 s21, s20, -6
	ds_read2_b32 v[198:199], v197 offset0:6 offset1:7
	s_waitcnt lgkmcnt(2)
	v_ashrrev_i32_e32 v49, s17, v49
	s_waitcnt lgkmcnt(1)
	v_ashrrev_i32_e32 v47, s21, v47
	v_lshlrev_b32_e32 v49, 2, v49
	v_and_b32_e32 v51, 0x3030303, v47
	v_bfe_u32 v47, v47, 24, 2
	v_and_b32_e32 v49, 0x4040404, v49
	v_sub_u16_e32 v52, v51, v49
	v_sub_u16_sdwa v53, v51, v49 dst_sel:BYTE_1 dst_unused:UNUSED_PAD src0_sel:BYTE_1 src1_sel:BYTE_1
	v_sub_u16_sdwa v47, v47, v49 dst_sel:BYTE_1 dst_unused:UNUSED_PAD src0_sel:DWORD src1_sel:BYTE_3
	v_sub_u16_sdwa v49, v51, v49 dst_sel:DWORD dst_unused:UNUSED_PAD src0_sel:WORD_1 src1_sel:WORD_1
	v_or_b32_sdwa v52, v52, v53 dst_sel:DWORD dst_unused:UNUSED_PAD src0_sel:BYTE_0 src1_sel:DWORD
	v_or_b32_sdwa v47, v49, v47 dst_sel:WORD_1 dst_unused:UNUSED_PAD src0_sel:BYTE_0 src1_sel:DWORD
	v_ashrrev_i32_e32 v50, s17, v50
	v_or_b32_sdwa v49, v52, v47 dst_sel:DWORD dst_unused:UNUSED_PAD src0_sel:WORD_0 src1_sel:DWORD
	v_ashrrev_i32_e32 v47, s21, v48
	v_lshlrev_b32_e32 v50, 2, v50
	v_and_b32_e32 v48, 0x3030303, v47
	v_bfe_u32 v47, v47, 24, 2
	v_and_b32_e32 v50, 0x4040404, v50
	v_sub_u16_e32 v51, v48, v50
	v_sub_u16_sdwa v52, v48, v50 dst_sel:BYTE_1 dst_unused:UNUSED_PAD src0_sel:BYTE_1 src1_sel:BYTE_1
	v_sub_u16_sdwa v47, v47, v50 dst_sel:BYTE_1 dst_unused:UNUSED_PAD src0_sel:DWORD src1_sel:BYTE_3
	v_sub_u16_sdwa v48, v48, v50 dst_sel:DWORD dst_unused:UNUSED_PAD src0_sel:WORD_1 src1_sel:WORD_1
	v_or_b32_sdwa v51, v51, v52 dst_sel:DWORD dst_unused:UNUSED_PAD src0_sel:BYTE_0 src1_sel:DWORD
	v_or_b32_sdwa v47, v48, v47 dst_sel:WORD_1 dst_unused:UNUSED_PAD src0_sel:BYTE_0 src1_sel:DWORD
	v_or_b32_sdwa v50, v51, v47 dst_sel:DWORD dst_unused:UNUSED_PAD src0_sel:WORD_0 src1_sel:DWORD
	ds_read2_b32 v[47:48], v203 offset0:2 offset1:3
	ds_read2_b32 v[51:52], v178 offset0:2 offset1:3
	s_and_b32 s23, s18, -16
	s_add_i32 s20, s20, s23
	s_lshl_b32 s23, s24, 2
	s_waitcnt lgkmcnt(1)
	v_ashrrev_i32_e32 v47, s21, v47
	s_waitcnt lgkmcnt(0)
	v_ashrrev_i32_e32 v51, s17, v51
	v_lshlrev_b32_e32 v51, 2, v51
	v_and_b32_e32 v53, 0x3030303, v47
	v_bfe_u32 v47, v47, 24, 2
	v_and_b32_e32 v51, 0x4040404, v51
	v_sub_u16_e32 v176, v53, v51
	v_sub_u16_sdwa v177, v53, v51 dst_sel:BYTE_1 dst_unused:UNUSED_PAD src0_sel:BYTE_1 src1_sel:BYTE_1
	v_sub_u16_sdwa v47, v47, v51 dst_sel:BYTE_1 dst_unused:UNUSED_PAD src0_sel:DWORD src1_sel:BYTE_3
	v_sub_u16_sdwa v51, v53, v51 dst_sel:DWORD dst_unused:UNUSED_PAD src0_sel:WORD_1 src1_sel:WORD_1
	v_or_b32_sdwa v176, v176, v177 dst_sel:DWORD dst_unused:UNUSED_PAD src0_sel:BYTE_0 src1_sel:DWORD
	v_or_b32_sdwa v47, v51, v47 dst_sel:WORD_1 dst_unused:UNUSED_PAD src0_sel:BYTE_0 src1_sel:DWORD
	v_ashrrev_i32_e32 v52, s17, v52
	v_or_b32_sdwa v51, v176, v47 dst_sel:DWORD dst_unused:UNUSED_PAD src0_sel:WORD_0 src1_sel:DWORD
	v_ashrrev_i32_e32 v47, s21, v48
	v_lshlrev_b32_e32 v52, 2, v52
	v_and_b32_e32 v48, 0x3030303, v47
	v_bfe_u32 v47, v47, 24, 2
	v_and_b32_e32 v52, 0x4040404, v52
	v_sub_u16_e32 v53, v48, v52
	v_sub_u16_sdwa v176, v48, v52 dst_sel:BYTE_1 dst_unused:UNUSED_PAD src0_sel:BYTE_1 src1_sel:BYTE_1
	v_sub_u16_sdwa v47, v47, v52 dst_sel:BYTE_1 dst_unused:UNUSED_PAD src0_sel:DWORD src1_sel:BYTE_3
	v_sub_u16_sdwa v48, v48, v52 dst_sel:DWORD dst_unused:UNUSED_PAD src0_sel:WORD_1 src1_sel:WORD_1
	v_or_b32_sdwa v53, v53, v176 dst_sel:DWORD dst_unused:UNUSED_PAD src0_sel:BYTE_0 src1_sel:DWORD
	v_or_b32_sdwa v47, v48, v47 dst_sel:WORD_1 dst_unused:UNUSED_PAD src0_sel:BYTE_0 src1_sel:DWORD
	v_or_b32_sdwa v52, v53, v47 dst_sel:DWORD dst_unused:UNUSED_PAD src0_sel:WORD_0 src1_sel:DWORD
	ds_read2_b32 v[47:48], v203 offset0:4 offset1:5
	ds_read2_b32 v[176:177], v178 offset0:4 offset1:5
	s_add_i32 s23, s23, 0x9380
	v_add3_u32 v187, s22, v164, v124
	v_add3_u32 v216, s22, v168, v128
	s_waitcnt lgkmcnt(1)
	v_ashrrev_i32_e32 v47, s21, v47
	s_waitcnt lgkmcnt(0)
	v_ashrrev_i32_e32 v176, s17, v176
	v_lshlrev_b32_e32 v176, 2, v176
	v_and_b32_e32 v53, 0x3030303, v47
	v_bfe_u32 v47, v47, 24, 2
	v_and_b32_e32 v176, 0x4040404, v176
	v_sub_u16_e32 v179, v53, v176
	v_sub_u16_sdwa v180, v53, v176 dst_sel:BYTE_1 dst_unused:UNUSED_PAD src0_sel:BYTE_1 src1_sel:BYTE_1
	v_sub_u16_sdwa v47, v47, v176 dst_sel:BYTE_1 dst_unused:UNUSED_PAD src0_sel:DWORD src1_sel:BYTE_3
	v_sub_u16_sdwa v53, v53, v176 dst_sel:DWORD dst_unused:UNUSED_PAD src0_sel:WORD_1 src1_sel:WORD_1
	v_or_b32_sdwa v179, v179, v180 dst_sel:DWORD dst_unused:UNUSED_PAD src0_sel:BYTE_0 src1_sel:DWORD
	v_or_b32_sdwa v47, v53, v47 dst_sel:WORD_1 dst_unused:UNUSED_PAD src0_sel:BYTE_0 src1_sel:DWORD
	v_ashrrev_i32_e32 v176, s17, v177
	v_or_b32_sdwa v53, v179, v47 dst_sel:DWORD dst_unused:UNUSED_PAD src0_sel:WORD_0 src1_sel:DWORD
	v_ashrrev_i32_e32 v47, s21, v48
	v_lshlrev_b32_e32 v176, 2, v176
	v_and_b32_e32 v48, 0x3030303, v47
	v_bfe_u32 v47, v47, 24, 2
	v_and_b32_e32 v176, 0x4040404, v176
	v_sub_u16_e32 v177, v48, v176
	v_sub_u16_sdwa v179, v48, v176 dst_sel:BYTE_1 dst_unused:UNUSED_PAD src0_sel:BYTE_1 src1_sel:BYTE_1
	v_sub_u16_sdwa v47, v47, v176 dst_sel:BYTE_1 dst_unused:UNUSED_PAD src0_sel:DWORD src1_sel:BYTE_3
	v_sub_u16_sdwa v48, v48, v176 dst_sel:DWORD dst_unused:UNUSED_PAD src0_sel:WORD_1 src1_sel:WORD_1
	v_or_b32_sdwa v177, v177, v179 dst_sel:DWORD dst_unused:UNUSED_PAD src0_sel:BYTE_0 src1_sel:DWORD
	v_or_b32_sdwa v47, v48, v47 dst_sel:WORD_1 dst_unused:UNUSED_PAD src0_sel:BYTE_0 src1_sel:DWORD
	v_or_b32_sdwa v204, v177, v47 dst_sel:DWORD dst_unused:UNUSED_PAD src0_sel:WORD_0 src1_sel:DWORD
	ds_read2_b32 v[47:48], v203 offset0:6 offset1:7
	ds_read2_b32 v[176:177], v178 offset0:6 offset1:7
	;; [unrolled: 1-line block ×3, first 2 shown]
	v_add_u32_e32 v209, s20, v135
	v_add_u32_e32 v212, s20, v137
	s_waitcnt lgkmcnt(2)
	v_ashrrev_i32_e32 v47, s21, v47
	s_waitcnt lgkmcnt(1)
	v_ashrrev_i32_e32 v176, s17, v176
	v_lshlrev_b32_e32 v176, 2, v176
	v_and_b32_e32 v179, 0x3030303, v47
	v_bfe_u32 v47, v47, 24, 2
	v_and_b32_e32 v176, 0x4040404, v176
	v_sub_u16_e32 v178, v179, v176
	v_sub_u16_sdwa v180, v179, v176 dst_sel:BYTE_1 dst_unused:UNUSED_PAD src0_sel:BYTE_1 src1_sel:BYTE_1
	v_sub_u16_sdwa v47, v47, v176 dst_sel:BYTE_1 dst_unused:UNUSED_PAD src0_sel:DWORD src1_sel:BYTE_3
	v_sub_u16_sdwa v176, v179, v176 dst_sel:DWORD dst_unused:UNUSED_PAD src0_sel:WORD_1 src1_sel:WORD_1
	v_or_b32_sdwa v178, v178, v180 dst_sel:DWORD dst_unused:UNUSED_PAD src0_sel:BYTE_0 src1_sel:DWORD
	v_or_b32_sdwa v47, v176, v47 dst_sel:WORD_1 dst_unused:UNUSED_PAD src0_sel:BYTE_0 src1_sel:DWORD
	v_ashrrev_i32_e32 v176, s17, v177
	v_or_b32_sdwa v205, v178, v47 dst_sel:DWORD dst_unused:UNUSED_PAD src0_sel:WORD_0 src1_sel:DWORD
	v_ashrrev_i32_e32 v47, s21, v48
	v_lshlrev_b32_e32 v176, 2, v176
	v_and_b32_e32 v48, 0x3030303, v47
	v_bfe_u32 v47, v47, 24, 2
	v_and_b32_e32 v176, 0x4040404, v176
	v_sub_u16_e32 v177, v48, v176
	v_sub_u16_sdwa v178, v48, v176 dst_sel:BYTE_1 dst_unused:UNUSED_PAD src0_sel:BYTE_1 src1_sel:BYTE_1
	v_sub_u16_sdwa v47, v47, v176 dst_sel:BYTE_1 dst_unused:UNUSED_PAD src0_sel:DWORD src1_sel:BYTE_3
	v_sub_u16_sdwa v48, v48, v176 dst_sel:DWORD dst_unused:UNUSED_PAD src0_sel:WORD_1 src1_sel:WORD_1
	v_or_b32_sdwa v177, v177, v178 dst_sel:DWORD dst_unused:UNUSED_PAD src0_sel:BYTE_0 src1_sel:DWORD
	v_or_b32_sdwa v47, v48, v47 dst_sel:WORD_1 dst_unused:UNUSED_PAD src0_sel:BYTE_0 src1_sel:DWORD
	v_or_b32_sdwa v206, v177, v47 dst_sel:DWORD dst_unused:UNUSED_PAD src0_sel:WORD_0 src1_sel:DWORD
	v_dot4_i32_i8 v177, v53, v34, 0
	v_dot4_i32_i8 v177, v204, v35, v177
	;; [unrolled: 1-line block ×3, first 2 shown]
	v_add3_u32 v47, s23, v171, v172
	v_dot4_i32_i8 v207, v206, v37, v177
	v_add_u32_e32 v177, 0x1080, v203
	ds_read_b32 v176, v47
	ds_read2_b32 v[177:178], v177 offset1:1
	ds_read2_b32 v[179:180], v187 offset1:1
	v_dot4_i32_i8 v47, v49, v38, 0
	v_dot4_i32_i8 v47, v50, v39, v47
	;; [unrolled: 1-line block ×3, first 2 shown]
	s_waitcnt lgkmcnt(1)
	v_ashrrev_i32_e32 v177, s21, v177
	s_waitcnt lgkmcnt(0)
	v_ashrrev_i32_e32 v179, s17, v179
	v_lshlrev_b32_e32 v179, 2, v179
	v_and_b32_e32 v181, 0x3030303, v177
	v_bfe_u32 v177, v177, 24, 2
	v_and_b32_e32 v179, 0x4040404, v179
	v_ashrrev_i32_e32 v180, s17, v180
	v_sub_u16_e32 v182, v181, v179
	v_sub_u16_sdwa v183, v181, v179 dst_sel:BYTE_1 dst_unused:UNUSED_PAD src0_sel:BYTE_1 src1_sel:BYTE_1
	v_sub_u16_sdwa v177, v177, v179 dst_sel:BYTE_1 dst_unused:UNUSED_PAD src0_sel:DWORD src1_sel:BYTE_3
	v_sub_u16_sdwa v179, v181, v179 dst_sel:DWORD dst_unused:UNUSED_PAD src0_sel:WORD_1 src1_sel:WORD_1
	v_ashrrev_i32_e32 v178, s21, v178
	v_lshlrev_b32_e32 v180, 2, v180
	v_or_b32_sdwa v182, v182, v183 dst_sel:DWORD dst_unused:UNUSED_PAD src0_sel:BYTE_0 src1_sel:DWORD
	v_or_b32_sdwa v177, v179, v177 dst_sel:WORD_1 dst_unused:UNUSED_PAD src0_sel:BYTE_0 src1_sel:DWORD
	v_and_b32_e32 v179, 0x3030303, v178
	v_bfe_u32 v178, v178, 24, 2
	v_and_b32_e32 v180, 0x4040404, v180
	v_or_b32_sdwa v177, v182, v177 dst_sel:DWORD dst_unused:UNUSED_PAD src0_sel:WORD_0 src1_sel:DWORD
	v_sub_u16_e32 v181, v179, v180
	v_sub_u16_sdwa v182, v179, v180 dst_sel:BYTE_1 dst_unused:UNUSED_PAD src0_sel:BYTE_1 src1_sel:BYTE_1
	v_sub_u16_sdwa v178, v178, v180 dst_sel:BYTE_1 dst_unused:UNUSED_PAD src0_sel:DWORD src1_sel:BYTE_3
	v_sub_u16_sdwa v179, v179, v180 dst_sel:DWORD dst_unused:UNUSED_PAD src0_sel:WORD_1 src1_sel:WORD_1
	v_or_b32_sdwa v181, v181, v182 dst_sel:DWORD dst_unused:UNUSED_PAD src0_sel:BYTE_0 src1_sel:DWORD
	v_or_b32_sdwa v178, v179, v178 dst_sel:WORD_1 dst_unused:UNUSED_PAD src0_sel:BYTE_0 src1_sel:DWORD
	v_add_u32_e32 v179, 0x1088, v203
	v_or_b32_sdwa v178, v181, v178 dst_sel:DWORD dst_unused:UNUSED_PAD src0_sel:WORD_0 src1_sel:DWORD
	ds_read2_b32 v[180:181], v179 offset1:1
	ds_read2_b32 v[182:183], v187 offset0:2 offset1:3
	ds_read2_b32 v[201:202], v216 offset1:1
	v_dot4_i32_i8 v47, v52, v41, v47
	v_add_u32_e32 v48, s20, v133
	s_waitcnt lgkmcnt(2)
	v_ashrrev_i32_e32 v179, s21, v180
	s_waitcnt lgkmcnt(1)
	v_ashrrev_i32_e32 v182, s17, v182
	v_lshlrev_b32_e32 v182, 2, v182
	v_and_b32_e32 v180, 0x3030303, v179
	v_bfe_u32 v179, v179, 24, 2
	v_and_b32_e32 v182, 0x4040404, v182
	v_sub_u16_e32 v184, v180, v182
	v_sub_u16_sdwa v185, v180, v182 dst_sel:BYTE_1 dst_unused:UNUSED_PAD src0_sel:BYTE_1 src1_sel:BYTE_1
	v_sub_u16_sdwa v179, v179, v182 dst_sel:BYTE_1 dst_unused:UNUSED_PAD src0_sel:DWORD src1_sel:BYTE_3
	v_sub_u16_sdwa v180, v180, v182 dst_sel:DWORD dst_unused:UNUSED_PAD src0_sel:WORD_1 src1_sel:WORD_1
	v_or_b32_sdwa v184, v184, v185 dst_sel:DWORD dst_unused:UNUSED_PAD src0_sel:BYTE_0 src1_sel:DWORD
	v_or_b32_sdwa v179, v180, v179 dst_sel:WORD_1 dst_unused:UNUSED_PAD src0_sel:BYTE_0 src1_sel:DWORD
	v_ashrrev_i32_e32 v182, s17, v183
	v_or_b32_sdwa v180, v184, v179 dst_sel:DWORD dst_unused:UNUSED_PAD src0_sel:WORD_0 src1_sel:DWORD
	v_ashrrev_i32_e32 v179, s21, v181
	v_lshlrev_b32_e32 v182, 2, v182
	v_and_b32_e32 v181, 0x3030303, v179
	v_bfe_u32 v179, v179, 24, 2
	v_and_b32_e32 v182, 0x4040404, v182
	v_sub_u16_e32 v183, v181, v182
	v_sub_u16_sdwa v184, v181, v182 dst_sel:BYTE_1 dst_unused:UNUSED_PAD src0_sel:BYTE_1 src1_sel:BYTE_1
	v_sub_u16_sdwa v179, v179, v182 dst_sel:BYTE_1 dst_unused:UNUSED_PAD src0_sel:DWORD src1_sel:BYTE_3
	v_sub_u16_sdwa v181, v181, v182 dst_sel:DWORD dst_unused:UNUSED_PAD src0_sel:WORD_1 src1_sel:WORD_1
	v_or_b32_sdwa v183, v183, v184 dst_sel:DWORD dst_unused:UNUSED_PAD src0_sel:BYTE_0 src1_sel:DWORD
	v_or_b32_sdwa v179, v181, v179 dst_sel:WORD_1 dst_unused:UNUSED_PAD src0_sel:BYTE_0 src1_sel:DWORD
	v_or_b32_sdwa v182, v183, v179 dst_sel:DWORD dst_unused:UNUSED_PAD src0_sel:WORD_0 src1_sel:DWORD
	v_add_u32_e32 v179, 0x1090, v203
	ds_read2_b32 v[183:184], v179 offset1:1
	ds_read2_b32 v[185:186], v187 offset0:4 offset1:5
	s_add_i32 s18, s18, 2
	s_waitcnt lgkmcnt(1)
	v_ashrrev_i32_e32 v179, s21, v183
	s_waitcnt lgkmcnt(0)
	v_ashrrev_i32_e32 v183, s17, v185
	v_lshlrev_b32_e32 v183, 2, v183
	v_and_b32_e32 v181, 0x3030303, v179
	v_bfe_u32 v179, v179, 24, 2
	v_and_b32_e32 v183, 0x4040404, v183
	v_sub_u16_e32 v185, v181, v183
	v_sub_u16_sdwa v188, v181, v183 dst_sel:BYTE_1 dst_unused:UNUSED_PAD src0_sel:BYTE_1 src1_sel:BYTE_1
	v_sub_u16_sdwa v179, v179, v183 dst_sel:BYTE_1 dst_unused:UNUSED_PAD src0_sel:DWORD src1_sel:BYTE_3
	v_sub_u16_sdwa v181, v181, v183 dst_sel:DWORD dst_unused:UNUSED_PAD src0_sel:WORD_1 src1_sel:WORD_1
	v_or_b32_sdwa v185, v185, v188 dst_sel:DWORD dst_unused:UNUSED_PAD src0_sel:BYTE_0 src1_sel:DWORD
	v_or_b32_sdwa v179, v181, v179 dst_sel:WORD_1 dst_unused:UNUSED_PAD src0_sel:BYTE_0 src1_sel:DWORD
	v_ashrrev_i32_e32 v183, s17, v186
	v_or_b32_sdwa v185, v185, v179 dst_sel:DWORD dst_unused:UNUSED_PAD src0_sel:WORD_0 src1_sel:DWORD
	v_ashrrev_i32_e32 v179, s21, v184
	v_lshlrev_b32_e32 v183, 2, v183
	v_and_b32_e32 v181, 0x3030303, v179
	v_bfe_u32 v179, v179, 24, 2
	v_and_b32_e32 v183, 0x4040404, v183
	v_sub_u16_e32 v184, v181, v183
	v_sub_u16_sdwa v186, v181, v183 dst_sel:BYTE_1 dst_unused:UNUSED_PAD src0_sel:BYTE_1 src1_sel:BYTE_1
	v_sub_u16_sdwa v179, v179, v183 dst_sel:BYTE_1 dst_unused:UNUSED_PAD src0_sel:DWORD src1_sel:BYTE_3
	v_sub_u16_sdwa v181, v181, v183 dst_sel:DWORD dst_unused:UNUSED_PAD src0_sel:WORD_1 src1_sel:WORD_1
	v_or_b32_sdwa v184, v184, v186 dst_sel:DWORD dst_unused:UNUSED_PAD src0_sel:BYTE_0 src1_sel:DWORD
	v_or_b32_sdwa v179, v181, v179 dst_sel:WORD_1 dst_unused:UNUSED_PAD src0_sel:BYTE_0 src1_sel:DWORD
	v_or_b32_sdwa v188, v184, v179 dst_sel:DWORD dst_unused:UNUSED_PAD src0_sel:WORD_0 src1_sel:DWORD
	v_add_u32_e32 v179, 0x1098, v203
	ds_read2_b32 v[183:184], v179 offset1:1
	ds_read2_b32 v[186:187], v187 offset0:6 offset1:7
	s_waitcnt lgkmcnt(1)
	v_ashrrev_i32_e32 v179, s21, v183
	s_waitcnt lgkmcnt(0)
	v_ashrrev_i32_e32 v183, s17, v186
	v_lshlrev_b32_e32 v183, 2, v183
	v_and_b32_e32 v181, 0x3030303, v179
	v_bfe_u32 v179, v179, 24, 2
	v_and_b32_e32 v183, 0x4040404, v183
	v_sub_u16_e32 v186, v181, v183
	v_sub_u16_sdwa v189, v181, v183 dst_sel:BYTE_1 dst_unused:UNUSED_PAD src0_sel:BYTE_1 src1_sel:BYTE_1
	v_sub_u16_sdwa v179, v179, v183 dst_sel:BYTE_1 dst_unused:UNUSED_PAD src0_sel:DWORD src1_sel:BYTE_3
	v_sub_u16_sdwa v181, v181, v183 dst_sel:DWORD dst_unused:UNUSED_PAD src0_sel:WORD_1 src1_sel:WORD_1
	v_or_b32_sdwa v186, v186, v189 dst_sel:DWORD dst_unused:UNUSED_PAD src0_sel:BYTE_0 src1_sel:DWORD
	v_or_b32_sdwa v179, v181, v179 dst_sel:WORD_1 dst_unused:UNUSED_PAD src0_sel:BYTE_0 src1_sel:DWORD
	v_ashrrev_i32_e32 v183, s17, v187
	v_or_b32_sdwa v192, v186, v179 dst_sel:DWORD dst_unused:UNUSED_PAD src0_sel:WORD_0 src1_sel:DWORD
	v_ashrrev_i32_e32 v179, s21, v184
	v_lshlrev_b32_e32 v183, 2, v183
	v_and_b32_e32 v181, 0x3030303, v179
	v_bfe_u32 v179, v179, 24, 2
	v_and_b32_e32 v183, 0x4040404, v183
	v_sub_u16_e32 v184, v181, v183
	v_sub_u16_sdwa v186, v181, v183 dst_sel:BYTE_1 dst_unused:UNUSED_PAD src0_sel:BYTE_1 src1_sel:BYTE_1
	v_sub_u16_sdwa v179, v179, v183 dst_sel:BYTE_1 dst_unused:UNUSED_PAD src0_sel:DWORD src1_sel:BYTE_3
	v_sub_u16_sdwa v181, v181, v183 dst_sel:DWORD dst_unused:UNUSED_PAD src0_sel:WORD_1 src1_sel:WORD_1
	v_or_b32_sdwa v179, v181, v179 dst_sel:WORD_1 dst_unused:UNUSED_PAD src0_sel:BYTE_0 src1_sel:DWORD
	v_dot4_i32_i8 v181, v177, v38, 0
	v_dot4_i32_i8 v181, v178, v39, v181
	v_dot4_i32_i8 v181, v180, v40, v181
	v_dot4_i32_i8 v208, v182, v41, v181
	v_dot4_i32_i8 v181, v185, v34, 0
	v_or_b32_sdwa v184, v184, v186 dst_sel:DWORD dst_unused:UNUSED_PAD src0_sel:BYTE_0 src1_sel:DWORD
	v_dot4_i32_i8 v181, v188, v35, v181
	v_or_b32_sdwa v195, v184, v179 dst_sel:DWORD dst_unused:UNUSED_PAD src0_sel:WORD_0 src1_sel:DWORD
	v_dot4_i32_i8 v181, v192, v36, v181
	v_add3_u32 v179, s23, v165, v125
	v_dot4_i32_i8 v210, v195, v37, v181
	v_add_u32_e32 v181, 0x2100, v203
	ds_read_b32 v179, v179
	ds_read2_b32 v[183:184], v181 offset1:1
	ds_read2_b32 v[186:187], v197 offset1:1
	s_waitcnt lgkmcnt(1)
	v_ashrrev_i32_e32 v181, s21, v183
	s_waitcnt lgkmcnt(0)
	v_ashrrev_i32_e32 v186, s17, v186
	v_lshlrev_b32_e32 v186, 2, v186
	v_and_b32_e32 v183, 0x3030303, v181
	v_bfe_u32 v181, v181, 24, 2
	v_and_b32_e32 v186, 0x4040404, v186
	v_sub_u16_e32 v189, v183, v186
	v_sub_u16_sdwa v190, v183, v186 dst_sel:BYTE_1 dst_unused:UNUSED_PAD src0_sel:BYTE_1 src1_sel:BYTE_1
	v_sub_u16_sdwa v181, v181, v186 dst_sel:BYTE_1 dst_unused:UNUSED_PAD src0_sel:DWORD src1_sel:BYTE_3
	v_sub_u16_sdwa v183, v183, v186 dst_sel:DWORD dst_unused:UNUSED_PAD src0_sel:WORD_1 src1_sel:WORD_1
	v_ashrrev_i32_e32 v186, s17, v187
	v_or_b32_sdwa v181, v183, v181 dst_sel:WORD_1 dst_unused:UNUSED_PAD src0_sel:BYTE_0 src1_sel:DWORD
	v_ashrrev_i32_e32 v183, s21, v184
	v_lshlrev_b32_e32 v186, 2, v186
	v_or_b32_sdwa v189, v189, v190 dst_sel:DWORD dst_unused:UNUSED_PAD src0_sel:BYTE_0 src1_sel:DWORD
	v_and_b32_e32 v184, 0x3030303, v183
	v_bfe_u32 v183, v183, 24, 2
	v_and_b32_e32 v186, 0x4040404, v186
	v_or_b32_sdwa v181, v189, v181 dst_sel:DWORD dst_unused:UNUSED_PAD src0_sel:WORD_0 src1_sel:DWORD
	v_sub_u16_e32 v187, v184, v186
	v_sub_u16_sdwa v189, v184, v186 dst_sel:BYTE_1 dst_unused:UNUSED_PAD src0_sel:BYTE_1 src1_sel:BYTE_1
	v_sub_u16_sdwa v183, v183, v186 dst_sel:BYTE_1 dst_unused:UNUSED_PAD src0_sel:DWORD src1_sel:BYTE_3
	v_sub_u16_sdwa v184, v184, v186 dst_sel:DWORD dst_unused:UNUSED_PAD src0_sel:WORD_1 src1_sel:WORD_1
	v_or_b32_sdwa v187, v187, v189 dst_sel:DWORD dst_unused:UNUSED_PAD src0_sel:BYTE_0 src1_sel:DWORD
	v_or_b32_sdwa v183, v184, v183 dst_sel:WORD_1 dst_unused:UNUSED_PAD src0_sel:BYTE_0 src1_sel:DWORD
	v_add_u32_e32 v184, 0x2108, v203
	v_or_b32_sdwa v183, v187, v183 dst_sel:DWORD dst_unused:UNUSED_PAD src0_sel:WORD_0 src1_sel:DWORD
	ds_read2_b32 v[186:187], v184 offset1:1
	ds_read2_b32 v[189:190], v197 offset0:2 offset1:3
	s_waitcnt lgkmcnt(1)
	v_ashrrev_i32_e32 v184, s21, v186
	s_waitcnt lgkmcnt(0)
	v_ashrrev_i32_e32 v189, s17, v189
	v_lshlrev_b32_e32 v189, 2, v189
	v_and_b32_e32 v186, 0x3030303, v184
	v_bfe_u32 v184, v184, 24, 2
	v_and_b32_e32 v189, 0x4040404, v189
	v_sub_u16_e32 v191, v186, v189
	v_sub_u16_sdwa v193, v186, v189 dst_sel:BYTE_1 dst_unused:UNUSED_PAD src0_sel:BYTE_1 src1_sel:BYTE_1
	v_sub_u16_sdwa v184, v184, v189 dst_sel:BYTE_1 dst_unused:UNUSED_PAD src0_sel:DWORD src1_sel:BYTE_3
	v_sub_u16_sdwa v186, v186, v189 dst_sel:DWORD dst_unused:UNUSED_PAD src0_sel:WORD_1 src1_sel:WORD_1
	v_or_b32_sdwa v191, v191, v193 dst_sel:DWORD dst_unused:UNUSED_PAD src0_sel:BYTE_0 src1_sel:DWORD
	v_or_b32_sdwa v184, v186, v184 dst_sel:WORD_1 dst_unused:UNUSED_PAD src0_sel:BYTE_0 src1_sel:DWORD
	v_ashrrev_i32_e32 v189, s17, v190
	v_or_b32_sdwa v186, v191, v184 dst_sel:DWORD dst_unused:UNUSED_PAD src0_sel:WORD_0 src1_sel:DWORD
	v_ashrrev_i32_e32 v184, s21, v187
	v_lshlrev_b32_e32 v189, 2, v189
	v_and_b32_e32 v187, 0x3030303, v184
	v_bfe_u32 v184, v184, 24, 2
	v_and_b32_e32 v189, 0x4040404, v189
	v_sub_u16_e32 v190, v187, v189
	v_sub_u16_sdwa v191, v187, v189 dst_sel:BYTE_1 dst_unused:UNUSED_PAD src0_sel:BYTE_1 src1_sel:BYTE_1
	v_sub_u16_sdwa v184, v184, v189 dst_sel:BYTE_1 dst_unused:UNUSED_PAD src0_sel:DWORD src1_sel:BYTE_3
	v_sub_u16_sdwa v187, v187, v189 dst_sel:DWORD dst_unused:UNUSED_PAD src0_sel:WORD_1 src1_sel:WORD_1
	v_or_b32_sdwa v190, v190, v191 dst_sel:DWORD dst_unused:UNUSED_PAD src0_sel:BYTE_0 src1_sel:DWORD
	v_or_b32_sdwa v184, v187, v184 dst_sel:WORD_1 dst_unused:UNUSED_PAD src0_sel:BYTE_0 src1_sel:DWORD
	v_or_b32_sdwa v189, v190, v184 dst_sel:DWORD dst_unused:UNUSED_PAD src0_sel:WORD_0 src1_sel:DWORD
	v_add_u32_e32 v184, 0x2110, v203
	ds_read2_b32 v[190:191], v184 offset1:1
	ds_read2_b32 v[193:194], v197 offset0:4 offset1:5
	s_waitcnt lgkmcnt(1)
	v_ashrrev_i32_e32 v184, s21, v190
	s_waitcnt lgkmcnt(0)
	v_ashrrev_i32_e32 v190, s17, v193
	v_lshlrev_b32_e32 v190, 2, v190
	v_and_b32_e32 v187, 0x3030303, v184
	v_bfe_u32 v184, v184, 24, 2
	v_and_b32_e32 v190, 0x4040404, v190
	v_sub_u16_e32 v193, v187, v190
	v_sub_u16_sdwa v196, v187, v190 dst_sel:BYTE_1 dst_unused:UNUSED_PAD src0_sel:BYTE_1 src1_sel:BYTE_1
	v_sub_u16_sdwa v184, v184, v190 dst_sel:BYTE_1 dst_unused:UNUSED_PAD src0_sel:DWORD src1_sel:BYTE_3
	v_sub_u16_sdwa v187, v187, v190 dst_sel:DWORD dst_unused:UNUSED_PAD src0_sel:WORD_1 src1_sel:WORD_1
	v_or_b32_sdwa v193, v193, v196 dst_sel:DWORD dst_unused:UNUSED_PAD src0_sel:BYTE_0 src1_sel:DWORD
	v_or_b32_sdwa v184, v187, v184 dst_sel:WORD_1 dst_unused:UNUSED_PAD src0_sel:BYTE_0 src1_sel:DWORD
	v_ashrrev_i32_e32 v190, s17, v194
	v_or_b32_sdwa v193, v193, v184 dst_sel:DWORD dst_unused:UNUSED_PAD src0_sel:WORD_0 src1_sel:DWORD
	v_ashrrev_i32_e32 v184, s21, v191
	v_lshlrev_b32_e32 v190, 2, v190
	v_and_b32_e32 v187, 0x3030303, v184
	v_bfe_u32 v184, v184, 24, 2
	v_and_b32_e32 v190, 0x4040404, v190
	v_sub_u16_e32 v191, v187, v190
	v_sub_u16_sdwa v194, v187, v190 dst_sel:BYTE_1 dst_unused:UNUSED_PAD src0_sel:BYTE_1 src1_sel:BYTE_1
	v_sub_u16_sdwa v184, v184, v190 dst_sel:BYTE_1 dst_unused:UNUSED_PAD src0_sel:DWORD src1_sel:BYTE_3
	v_sub_u16_sdwa v187, v187, v190 dst_sel:DWORD dst_unused:UNUSED_PAD src0_sel:WORD_1 src1_sel:WORD_1
	v_or_b32_sdwa v191, v191, v194 dst_sel:DWORD dst_unused:UNUSED_PAD src0_sel:BYTE_0 src1_sel:DWORD
	v_or_b32_sdwa v184, v187, v184 dst_sel:WORD_1 dst_unused:UNUSED_PAD src0_sel:BYTE_0 src1_sel:DWORD
	v_or_b32_sdwa v196, v191, v184 dst_sel:DWORD dst_unused:UNUSED_PAD src0_sel:WORD_0 src1_sel:DWORD
	v_add_u32_e32 v184, 0x2118, v203
	ds_read2_b32 v[190:191], v184 offset1:1
	s_waitcnt lgkmcnt(0)
	v_ashrrev_i32_e32 v184, s21, v190
	v_ashrrev_i32_e32 v190, s17, v198
	v_lshlrev_b32_e32 v190, 2, v190
	v_and_b32_e32 v187, 0x3030303, v184
	v_bfe_u32 v184, v184, 24, 2
	v_and_b32_e32 v190, 0x4040404, v190
	v_sub_u16_e32 v194, v187, v190
	v_sub_u16_sdwa v197, v187, v190 dst_sel:BYTE_1 dst_unused:UNUSED_PAD src0_sel:BYTE_1 src1_sel:BYTE_1
	v_sub_u16_sdwa v184, v184, v190 dst_sel:BYTE_1 dst_unused:UNUSED_PAD src0_sel:DWORD src1_sel:BYTE_3
	v_sub_u16_sdwa v187, v187, v190 dst_sel:DWORD dst_unused:UNUSED_PAD src0_sel:WORD_1 src1_sel:WORD_1
	v_or_b32_sdwa v194, v194, v197 dst_sel:DWORD dst_unused:UNUSED_PAD src0_sel:BYTE_0 src1_sel:DWORD
	v_or_b32_sdwa v184, v187, v184 dst_sel:WORD_1 dst_unused:UNUSED_PAD src0_sel:BYTE_0 src1_sel:DWORD
	v_ashrrev_i32_e32 v190, s17, v199
	v_or_b32_sdwa v198, v194, v184 dst_sel:DWORD dst_unused:UNUSED_PAD src0_sel:WORD_0 src1_sel:DWORD
	v_ashrrev_i32_e32 v184, s21, v191
	v_lshlrev_b32_e32 v190, 2, v190
	v_and_b32_e32 v187, 0x3030303, v184
	v_bfe_u32 v184, v184, 24, 2
	v_and_b32_e32 v190, 0x4040404, v190
	v_sub_u16_e32 v191, v187, v190
	v_sub_u16_sdwa v194, v187, v190 dst_sel:BYTE_1 dst_unused:UNUSED_PAD src0_sel:BYTE_1 src1_sel:BYTE_1
	v_sub_u16_sdwa v184, v184, v190 dst_sel:BYTE_1 dst_unused:UNUSED_PAD src0_sel:DWORD src1_sel:BYTE_3
	v_sub_u16_sdwa v187, v187, v190 dst_sel:DWORD dst_unused:UNUSED_PAD src0_sel:WORD_1 src1_sel:WORD_1
	v_or_b32_sdwa v184, v187, v184 dst_sel:WORD_1 dst_unused:UNUSED_PAD src0_sel:BYTE_0 src1_sel:DWORD
	v_dot4_i32_i8 v187, v181, v38, 0
	v_dot4_i32_i8 v187, v183, v39, v187
	;; [unrolled: 1-line block ×5, first 2 shown]
	v_or_b32_sdwa v191, v191, v194 dst_sel:DWORD dst_unused:UNUSED_PAD src0_sel:BYTE_0 src1_sel:DWORD
	v_dot4_i32_i8 v187, v196, v35, v187
	v_or_b32_sdwa v200, v191, v184 dst_sel:DWORD dst_unused:UNUSED_PAD src0_sel:WORD_0 src1_sel:DWORD
	v_dot4_i32_i8 v187, v198, v36, v187
	v_add3_u32 v184, s23, v167, v127
	v_dot4_i32_i8 v213, v200, v37, v187
	v_add_u32_e32 v187, 0x3180, v203
	ds_read_b32 v184, v184
	ds_read2_b32 v[190:191], v187 offset1:1
	v_ashrrev_i32_e32 v194, s17, v201
	v_lshlrev_b32_e32 v194, 2, v194
	v_and_b32_e32 v194, 0x4040404, v194
	s_waitcnt lgkmcnt(0)
	v_ashrrev_i32_e32 v187, s21, v190
	v_and_b32_e32 v190, 0x3030303, v187
	v_bfe_u32 v187, v187, 24, 2
	v_sub_u16_e32 v197, v190, v194
	v_sub_u16_sdwa v199, v190, v194 dst_sel:BYTE_1 dst_unused:UNUSED_PAD src0_sel:BYTE_1 src1_sel:BYTE_1
	v_sub_u16_sdwa v187, v187, v194 dst_sel:BYTE_1 dst_unused:UNUSED_PAD src0_sel:DWORD src1_sel:BYTE_3
	v_sub_u16_sdwa v190, v190, v194 dst_sel:DWORD dst_unused:UNUSED_PAD src0_sel:WORD_1 src1_sel:WORD_1
	v_ashrrev_i32_e32 v194, s17, v202
	v_or_b32_sdwa v187, v190, v187 dst_sel:WORD_1 dst_unused:UNUSED_PAD src0_sel:BYTE_0 src1_sel:DWORD
	v_ashrrev_i32_e32 v190, s21, v191
	v_lshlrev_b32_e32 v194, 2, v194
	v_or_b32_sdwa v197, v197, v199 dst_sel:DWORD dst_unused:UNUSED_PAD src0_sel:BYTE_0 src1_sel:DWORD
	v_and_b32_e32 v191, 0x3030303, v190
	v_bfe_u32 v190, v190, 24, 2
	v_and_b32_e32 v194, 0x4040404, v194
	v_or_b32_sdwa v187, v197, v187 dst_sel:DWORD dst_unused:UNUSED_PAD src0_sel:WORD_0 src1_sel:DWORD
	v_sub_u16_e32 v197, v191, v194
	v_sub_u16_sdwa v199, v191, v194 dst_sel:BYTE_1 dst_unused:UNUSED_PAD src0_sel:BYTE_1 src1_sel:BYTE_1
	v_sub_u16_sdwa v190, v190, v194 dst_sel:BYTE_1 dst_unused:UNUSED_PAD src0_sel:DWORD src1_sel:BYTE_3
	v_sub_u16_sdwa v191, v191, v194 dst_sel:DWORD dst_unused:UNUSED_PAD src0_sel:WORD_1 src1_sel:WORD_1
	v_or_b32_sdwa v190, v191, v190 dst_sel:WORD_1 dst_unused:UNUSED_PAD src0_sel:BYTE_0 src1_sel:DWORD
	v_add_u32_e32 v191, 0x3188, v203
	ds_read2_b32 v[201:202], v191 offset1:1
	v_or_b32_sdwa v197, v197, v199 dst_sel:DWORD dst_unused:UNUSED_PAD src0_sel:BYTE_0 src1_sel:DWORD
	v_or_b32_sdwa v190, v197, v190 dst_sel:DWORD dst_unused:UNUSED_PAD src0_sel:WORD_0 src1_sel:DWORD
	v_ashrrev_i32_e32 v197, s17, v214
	v_lshlrev_b32_e32 v197, 2, v197
	s_waitcnt lgkmcnt(0)
	v_ashrrev_i32_e32 v191, s21, v201
	v_and_b32_e32 v194, 0x3030303, v191
	v_bfe_u32 v191, v191, 24, 2
	v_and_b32_e32 v197, 0x4040404, v197
	v_sub_u16_e32 v199, v194, v197
	v_sub_u16_sdwa v201, v194, v197 dst_sel:BYTE_1 dst_unused:UNUSED_PAD src0_sel:BYTE_1 src1_sel:BYTE_1
	v_sub_u16_sdwa v191, v191, v197 dst_sel:BYTE_1 dst_unused:UNUSED_PAD src0_sel:DWORD src1_sel:BYTE_3
	v_sub_u16_sdwa v194, v194, v197 dst_sel:DWORD dst_unused:UNUSED_PAD src0_sel:WORD_1 src1_sel:WORD_1
	v_or_b32_sdwa v199, v199, v201 dst_sel:DWORD dst_unused:UNUSED_PAD src0_sel:BYTE_0 src1_sel:DWORD
	v_or_b32_sdwa v191, v194, v191 dst_sel:WORD_1 dst_unused:UNUSED_PAD src0_sel:BYTE_0 src1_sel:DWORD
	v_or_b32_sdwa v194, v199, v191 dst_sel:DWORD dst_unused:UNUSED_PAD src0_sel:WORD_0 src1_sel:DWORD
	v_ashrrev_i32_e32 v199, s17, v215
	v_ashrrev_i32_e32 v191, s21, v202
	v_lshlrev_b32_e32 v199, 2, v199
	v_and_b32_e32 v197, 0x3030303, v191
	v_bfe_u32 v191, v191, 24, 2
	v_and_b32_e32 v199, 0x4040404, v199
	v_sub_u16_e32 v201, v197, v199
	v_sub_u16_sdwa v202, v197, v199 dst_sel:BYTE_1 dst_unused:UNUSED_PAD src0_sel:BYTE_1 src1_sel:BYTE_1
	v_sub_u16_sdwa v191, v191, v199 dst_sel:BYTE_1 dst_unused:UNUSED_PAD src0_sel:DWORD src1_sel:BYTE_3
	v_sub_u16_sdwa v197, v197, v199 dst_sel:DWORD dst_unused:UNUSED_PAD src0_sel:WORD_1 src1_sel:WORD_1
	v_or_b32_sdwa v201, v201, v202 dst_sel:DWORD dst_unused:UNUSED_PAD src0_sel:BYTE_0 src1_sel:DWORD
	v_or_b32_sdwa v191, v197, v191 dst_sel:WORD_1 dst_unused:UNUSED_PAD src0_sel:BYTE_0 src1_sel:DWORD
	v_or_b32_sdwa v197, v201, v191 dst_sel:DWORD dst_unused:UNUSED_PAD src0_sel:WORD_0 src1_sel:DWORD
	v_add_u32_e32 v191, 0x3190, v203
	ds_read2_b32 v[201:202], v191 offset1:1
	ds_read2_b32 v[214:215], v216 offset0:4 offset1:5
	v_dot4_i32_i8 v38, v187, v38, 0
	v_dot4_i32_i8 v38, v190, v39, v38
	;; [unrolled: 1-line block ×3, first 2 shown]
	s_waitcnt lgkmcnt(1)
	v_ashrrev_i32_e32 v191, s21, v201
	s_waitcnt lgkmcnt(0)
	v_ashrrev_i32_e32 v201, s17, v214
	v_lshlrev_b32_e32 v201, 2, v201
	v_and_b32_e32 v199, 0x3030303, v191
	v_bfe_u32 v191, v191, 24, 2
	v_and_b32_e32 v201, 0x4040404, v201
	v_sub_u16_e32 v214, v199, v201
	v_sub_u16_sdwa v217, v199, v201 dst_sel:BYTE_1 dst_unused:UNUSED_PAD src0_sel:BYTE_1 src1_sel:BYTE_1
	v_sub_u16_sdwa v191, v191, v201 dst_sel:BYTE_1 dst_unused:UNUSED_PAD src0_sel:DWORD src1_sel:BYTE_3
	v_sub_u16_sdwa v199, v199, v201 dst_sel:DWORD dst_unused:UNUSED_PAD src0_sel:WORD_1 src1_sel:WORD_1
	v_or_b32_sdwa v214, v214, v217 dst_sel:DWORD dst_unused:UNUSED_PAD src0_sel:BYTE_0 src1_sel:DWORD
	v_or_b32_sdwa v191, v199, v191 dst_sel:WORD_1 dst_unused:UNUSED_PAD src0_sel:BYTE_0 src1_sel:DWORD
	v_or_b32_sdwa v199, v214, v191 dst_sel:DWORD dst_unused:UNUSED_PAD src0_sel:WORD_0 src1_sel:DWORD
	v_ashrrev_i32_e32 v191, s21, v202
	v_ashrrev_i32_e32 v202, s17, v215
	v_lshlrev_b32_e32 v202, 2, v202
	v_and_b32_e32 v201, 0x3030303, v191
	v_bfe_u32 v191, v191, 24, 2
	v_and_b32_e32 v202, 0x4040404, v202
	v_sub_u16_e32 v214, v201, v202
	v_sub_u16_sdwa v215, v201, v202 dst_sel:BYTE_1 dst_unused:UNUSED_PAD src0_sel:BYTE_1 src1_sel:BYTE_1
	v_sub_u16_sdwa v191, v191, v202 dst_sel:BYTE_1 dst_unused:UNUSED_PAD src0_sel:DWORD src1_sel:BYTE_3
	v_sub_u16_sdwa v201, v201, v202 dst_sel:DWORD dst_unused:UNUSED_PAD src0_sel:WORD_1 src1_sel:WORD_1
	v_or_b32_sdwa v214, v214, v215 dst_sel:DWORD dst_unused:UNUSED_PAD src0_sel:BYTE_0 src1_sel:DWORD
	v_or_b32_sdwa v191, v201, v191 dst_sel:WORD_1 dst_unused:UNUSED_PAD src0_sel:BYTE_0 src1_sel:DWORD
	v_or_b32_sdwa v201, v214, v191 dst_sel:DWORD dst_unused:UNUSED_PAD src0_sel:WORD_0 src1_sel:DWORD
	v_add_u32_e32 v191, 0x3198, v203
	ds_read2_b32 v[202:203], v191 offset1:1
	ds_read2_b32 v[214:215], v216 offset0:6 offset1:7
	v_dot4_i32_i8 v34, v199, v34, 0
	v_dot4_i32_i8 v34, v201, v35, v34
	;; [unrolled: 1-line block ×3, first 2 shown]
	s_waitcnt lgkmcnt(1)
	v_ashrrev_i32_e32 v191, s21, v202
	s_waitcnt lgkmcnt(0)
	v_ashrrev_i32_e32 v214, s17, v214
	v_lshlrev_b32_e32 v214, 2, v214
	v_and_b32_e32 v202, 0x3030303, v191
	v_bfe_u32 v191, v191, 24, 2
	v_and_b32_e32 v214, 0x4040404, v214
	v_sub_u16_e32 v216, v202, v214
	v_sub_u16_sdwa v217, v202, v214 dst_sel:BYTE_1 dst_unused:UNUSED_PAD src0_sel:BYTE_1 src1_sel:BYTE_1
	v_sub_u16_sdwa v191, v191, v214 dst_sel:BYTE_1 dst_unused:UNUSED_PAD src0_sel:DWORD src1_sel:BYTE_3
	v_sub_u16_sdwa v202, v202, v214 dst_sel:DWORD dst_unused:UNUSED_PAD src0_sel:WORD_1 src1_sel:WORD_1
	v_or_b32_sdwa v216, v216, v217 dst_sel:DWORD dst_unused:UNUSED_PAD src0_sel:BYTE_0 src1_sel:DWORD
	v_or_b32_sdwa v191, v202, v191 dst_sel:WORD_1 dst_unused:UNUSED_PAD src0_sel:BYTE_0 src1_sel:DWORD
	v_ashrrev_i32_e32 v214, s17, v215
	v_or_b32_sdwa v202, v216, v191 dst_sel:DWORD dst_unused:UNUSED_PAD src0_sel:WORD_0 src1_sel:DWORD
	v_ashrrev_i32_e32 v191, s21, v203
	v_lshlrev_b32_e32 v214, 2, v214
	v_and_b32_e32 v203, 0x3030303, v191
	v_bfe_u32 v191, v191, 24, 2
	v_and_b32_e32 v214, 0x4040404, v214
	v_sub_u16_e32 v215, v203, v214
	v_sub_u16_sdwa v216, v203, v214 dst_sel:BYTE_1 dst_unused:UNUSED_PAD src0_sel:BYTE_1 src1_sel:BYTE_1
	v_sub_u16_sdwa v191, v191, v214 dst_sel:BYTE_1 dst_unused:UNUSED_PAD src0_sel:DWORD src1_sel:BYTE_3
	v_sub_u16_sdwa v203, v203, v214 dst_sel:DWORD dst_unused:UNUSED_PAD src0_sel:WORD_1 src1_sel:WORD_1
	v_or_b32_sdwa v215, v215, v216 dst_sel:DWORD dst_unused:UNUSED_PAD src0_sel:BYTE_0 src1_sel:DWORD
	v_or_b32_sdwa v191, v203, v191 dst_sel:WORD_1 dst_unused:UNUSED_PAD src0_sel:BYTE_0 src1_sel:DWORD
	v_or_b32_sdwa v203, v215, v191 dst_sel:DWORD dst_unused:UNUSED_PAD src0_sel:WORD_0 src1_sel:DWORD
	v_add3_u32 v191, s23, v169, v129
	ds_read_b32 v191, v191
	ds_read_b128 v[215:218], v174 offset:1024
	ds_read_b128 v[219:222], v174 offset:1040
	v_dot4_i32_i8 v34, v202, v36, v34
	v_dot4_i32_i8 v34, v203, v37, v34
	v_add_u32_e32 v214, s20, v139
	s_waitcnt lgkmcnt(1)
	v_dot4_i32_i8 v35, v49, v215, 0
	v_dot4_i32_i8 v35, v50, v216, v35
	;; [unrolled: 1-line block ×4, first 2 shown]
	s_waitcnt lgkmcnt(0)
	v_dot4_i32_i8 v35, v53, v219, 0
	v_dot4_i32_i8 v35, v204, v220, v35
	;; [unrolled: 1-line block ×28, first 2 shown]
	ds_read2_b32 v[35:36], v175 offset0:64 offset1:96
	ds_read_b128 v[215:218], v174 offset:2048
	ds_read_b128 v[219:222], v174 offset:2064
	s_add_i32 s17, s17, 1
	s_cmp_lt_u32 s19, 14
	s_waitcnt lgkmcnt(1)
	v_dot4_i32_i8 v39, v49, v215, 0
	v_dot4_i32_i8 v39, v50, v216, v39
	;; [unrolled: 1-line block ×4, first 2 shown]
	s_waitcnt lgkmcnt(0)
	v_dot4_i32_i8 v39, v53, v219, 0
	v_dot4_i32_i8 v39, v204, v220, v39
	;; [unrolled: 1-line block ×28, first 2 shown]
	ds_read_b128 v[217:220], v174 offset:3072
	ds_read_b128 v[221:224], v174 offset:3088
	s_waitcnt lgkmcnt(1)
	v_dot4_i32_i8 v39, v49, v217, 0
	v_dot4_i32_i8 v39, v50, v218, v39
	;; [unrolled: 1-line block ×4, first 2 shown]
	s_waitcnt lgkmcnt(0)
	v_dot4_i32_i8 v39, v53, v221, 0
	v_dot4_i32_i8 v39, v204, v222, v39
	;; [unrolled: 1-line block ×4, first 2 shown]
	ds_read_u16 v39, v48 offset:33538
	s_waitcnt lgkmcnt(0)
	v_lshrrev_b16_e32 v48, 8, v39
	v_bfe_i32 v227, v48, 0, 8
	v_bfe_i32 v228, v39, 0, 8
	v_mul_lo_u32 v37, v37, v228
	v_mul_lo_u32 v41, v41, v227
	;; [unrolled: 1-line block ×4, first 2 shown]
	v_mad_u64_u32 v[215:216], s[20:21], v226, v228, v[41:42]
	v_mad_u64_u32 v[225:226], s[20:21], v225, v227, v[37:38]
                                        ; kill: def $vgpr41 killed $sgpr0 killed $exec
	v_mul_f32_e32 v37, v176, v46
	v_mad_u64_u32 v[40:41], s[20:21], v241, v227, v[40:41]
	v_cvt_f32_i32_e32 v207, v225
	v_mul_f32_e32 v41, v176, v36
	v_mad_u64_u32 v[47:48], s[20:21], v47, v228, v[39:40]
	v_cvt_f32_i32_e32 v40, v40
	v_fmac_f32_e32 v18, v37, v207
	v_dot4_i32_i8 v37, v177, v217, 0
	v_dot4_i32_i8 v37, v178, v218, v37
	;; [unrolled: 1-line block ×3, first 2 shown]
	v_fma_f32 v20, v41, v40, v20
	v_dot4_i32_i8 v40, v182, v220, v37
	v_dot4_i32_i8 v37, v185, v221, 0
	;; [unrolled: 1-line block ×5, first 2 shown]
	ds_read_u16 v37, v209 offset:34562
	v_cvt_f32_i32_e32 v47, v47
	v_cvt_f32_i32_e32 v215, v215
	v_mul_f32_e32 v39, v176, v45
	v_mul_f32_e32 v48, v176, v35
	v_fma_f32 v19, v39, v47, v19
	s_waitcnt lgkmcnt(0)
	v_lshrrev_b16_e32 v39, 8, v37
	v_fma_f32 v21, v48, v215, v21
	v_bfe_i32 v215, v39, 0, 8
	v_bfe_i32 v216, v37, 0, 8
	v_mul_lo_u32 v41, v236, v215
	v_mul_lo_u32 v40, v40, v216
	v_mul_lo_u32 v39, v210, v215
	v_mul_lo_u32 v37, v229, v216
	v_mad_u64_u32 v[47:48], s[20:21], v235, v216, v[41:42]
                                        ; kill: def $vgpr41 killed $sgpr0 killed $exec
	v_mul_f32_e32 v48, v179, v35
	v_mad_u64_u32 v[40:41], s[20:21], v207, v215, v[40:41]
	v_mul_f32_e32 v41, v179, v36
	v_cvt_f32_i32_e32 v47, v47
	v_mad_u64_u32 v[207:208], s[20:21], v208, v216, v[39:40]
	v_mad_u64_u32 v[208:209], s[20:21], v230, v215, v[37:38]
	v_mul_f32_e32 v37, v179, v46
	v_cvt_f32_i32_e32 v40, v40
	v_cvt_f32_i32_e32 v208, v208
	v_cvt_f32_i32_e32 v207, v207
	v_mul_f32_e32 v39, v179, v45
	v_fma_f32 v32, v41, v40, v32
	v_fmac_f32_e32 v30, v37, v208
	v_dot4_i32_i8 v37, v181, v217, 0
	v_dot4_i32_i8 v37, v183, v218, v37
	;; [unrolled: 1-line block ×7, first 2 shown]
	v_fma_f32 v31, v39, v207, v31
	v_dot4_i32_i8 v207, v200, v224, v37
	ds_read_u16 v37, v212 offset:35586
	v_fma_f32 v33, v48, v47, v33
	s_waitcnt lgkmcnt(0)
	v_lshrrev_b16_e32 v39, 8, v37
	v_bfe_i32 v209, v39, 0, 8
	v_bfe_i32 v210, v37, 0, 8
	v_mul_lo_u32 v41, v238, v209
	v_mul_lo_u32 v40, v40, v210
	;; [unrolled: 1-line block ×4, first 2 shown]
	v_mad_u64_u32 v[47:48], s[20:21], v237, v210, v[41:42]
                                        ; kill: def $vgpr41 killed $sgpr0 killed $exec
	v_mul_f32_e32 v48, v184, v35
	v_mad_u64_u32 v[40:41], s[20:21], v207, v209, v[40:41]
	v_cvt_f32_i32_e32 v47, v47
	v_mul_f32_e32 v41, v184, v36
	v_mad_u64_u32 v[207:208], s[20:21], v211, v210, v[39:40]
	v_mad_u64_u32 v[211:212], s[20:21], v232, v209, v[37:38]
	v_mul_f32_e32 v37, v184, v46
	v_cvt_f32_i32_e32 v207, v207
	v_cvt_f32_i32_e32 v208, v211
	v_mul_f32_e32 v39, v184, v45
	v_fma_f32 v29, v48, v47, v29
	v_fma_f32 v27, v39, v207, v27
	v_fmac_f32_e32 v26, v37, v208
	v_dot4_i32_i8 v37, v187, v217, 0
	v_dot4_i32_i8 v37, v190, v218, v37
	;; [unrolled: 1-line block ×8, first 2 shown]
	ds_read_u16 v37, v214 offset:36610
	v_cvt_f32_i32_e32 v40, v40
	v_mul_f32_e32 v36, v191, v36
	v_fma_f32 v28, v41, v40, v28
	s_waitcnt lgkmcnt(0)
	v_lshrrev_b16_e32 v40, 8, v37
	v_bfe_i32 v207, v40, 0, 8
	v_mul_lo_u32 v40, v240, v207
	v_bfe_i32 v208, v37, 0, 8
                                        ; kill: def $vgpr41 killed $sgpr0 killed $exec
	v_mul_lo_u32 v34, v34, v207
	v_mul_lo_u32 v39, v39, v208
	v_mad_u64_u32 v[40:41], s[20:21], v239, v208, v[40:41]
	v_mul_lo_u32 v37, v233, v208
	v_mad_u64_u32 v[47:48], s[20:21], v47, v207, v[39:40]
	v_mad_u64_u32 v[38:39], s[20:21], v38, v208, v[34:35]
	v_cvt_f32_i32_e32 v41, v47
	v_cvt_f32_i32_e32 v40, v40
	v_mad_u64_u32 v[211:212], s[20:21], v234, v207, v[37:38]
	v_cvt_f32_i32_e32 v38, v38
	v_mul_f32_e32 v34, v191, v46
	v_cvt_f32_i32_e32 v39, v211
	v_mul_f32_e32 v37, v191, v45
	v_mul_f32_e32 v35, v191, v35
	v_fma_f32 v25, v35, v40, v25
	v_fma_f32 v24, v36, v41, v24
	;; [unrolled: 1-line block ×3, first 2 shown]
	v_fmac_f32_e32 v22, v34, v39
	ds_read2_b32 v[45:46], v175 offset0:128 offset1:160
	ds_read_b128 v[34:37], v174 offset:4096
	ds_read_b128 v[38:41], v174 offset:4112
	s_waitcnt lgkmcnt(1)
	v_dot4_i32_i8 v47, v49, v34, 0
	v_dot4_i32_i8 v47, v50, v35, v47
	;; [unrolled: 1-line block ×4, first 2 shown]
	s_waitcnt lgkmcnt(0)
	v_dot4_i32_i8 v47, v53, v38, 0
	v_dot4_i32_i8 v47, v204, v39, v47
	;; [unrolled: 1-line block ×28, first 2 shown]
	ds_read_b128 v[34:37], v174 offset:5120
	ds_read_b128 v[38:41], v174 offset:5136
	s_waitcnt lgkmcnt(1)
	v_dot4_i32_i8 v47, v49, v34, 0
	v_dot4_i32_i8 v47, v50, v35, v47
	;; [unrolled: 1-line block ×4, first 2 shown]
	s_waitcnt lgkmcnt(0)
	v_dot4_i32_i8 v47, v53, v38, 0
	v_dot4_i32_i8 v47, v204, v39, v47
	;; [unrolled: 1-line block ×28, first 2 shown]
	ds_read2_b32 v[47:48], v175 offset0:192 offset1:224
	ds_read_b128 v[34:37], v174 offset:6144
	ds_read_b128 v[38:41], v174 offset:6160
	v_add_u32_e32 v175, 4, v175
	s_waitcnt lgkmcnt(1)
	v_dot4_i32_i8 v223, v49, v34, 0
	v_dot4_i32_i8 v223, v50, v35, v223
	;; [unrolled: 1-line block ×4, first 2 shown]
	s_waitcnt lgkmcnt(0)
	v_dot4_i32_i8 v223, v53, v38, 0
	v_dot4_i32_i8 v223, v204, v39, v223
	;; [unrolled: 1-line block ×28, first 2 shown]
	ds_read_b128 v[38:41], v174 offset:7168
	ds_read_b128 v[34:37], v174 offset:7184
	v_add_u32_e32 v174, 32, v174
	s_waitcnt lgkmcnt(1)
	v_dot4_i32_i8 v49, v49, v38, 0
	v_dot4_i32_i8 v49, v50, v39, v49
	;; [unrolled: 1-line block ×4, first 2 shown]
	s_waitcnt lgkmcnt(0)
	v_dot4_i32_i8 v50, v53, v34, 0
	v_mul_lo_u32 v51, v49, v228
	v_mul_lo_u32 v49, v238, v227
	v_dot4_i32_i8 v50, v204, v35, v50
	v_mul_lo_u32 v52, v234, v227
	v_dot4_i32_i8 v50, v205, v36, v50
	;; [unrolled: 2-line block ×3, first 2 shown]
                                        ; kill: def $vgpr50 killed $sgpr0 killed $exec
	v_mul_f32_e32 v205, v176, v48
	v_mad_u64_u32 v[49:50], s[20:21], v237, v228, v[49:50]
	v_mad_u64_u32 v[50:51], s[20:21], v204, v227, v[51:52]
	;; [unrolled: 1-line block ×4, first 2 shown]
	v_cvt_f32_i32_e32 v49, v49
	v_mul_f32_e32 v53, v176, v46
	v_cvt_f32_i32_e32 v52, v52
	v_mul_f32_e32 v204, v176, v45
	v_mul_f32_e32 v176, v176, v47
	v_cvt_f32_i32_e32 v51, v51
	v_fma_f32 v17, v176, v49, v17
	v_fmac_f32_e32 v14, v53, v52
	v_dot4_i32_i8 v49, v177, v38, 0
	v_mul_lo_u32 v52, v232, v215
	v_cvt_f32_i32_e32 v50, v50
	v_dot4_i32_i8 v49, v178, v39, v49
	v_dot4_i32_i8 v49, v180, v40, v49
	v_fma_f32 v15, v204, v51, v15
	v_dot4_i32_i8 v51, v182, v41, v49
                                        ; kill: def $vgpr53 killed $sgpr0 killed $exec
	v_dot4_i32_i8 v49, v185, v34, 0
	v_mul_lo_u32 v51, v51, v216
	v_mad_u64_u32 v[52:53], s[20:21], v231, v216, v[52:53]
	v_fma_f32 v16, v205, v50, v16
	v_dot4_i32_i8 v49, v188, v35, v49
	v_mul_lo_u32 v50, v222, v215
	v_dot4_i32_i8 v49, v192, v36, v49
	v_dot4_i32_i8 v176, v195, v37, v49
	v_mad_u64_u32 v[176:177], s[20:21], v176, v215, v[51:52]
                                        ; kill: def $vgpr51 killed $sgpr0 killed $exec
	v_mul_lo_u32 v49, v226, v216
	v_mad_u64_u32 v[50:51], s[20:21], v221, v216, v[50:51]
	v_mul_f32_e32 v51, v179, v45
	v_cvt_f32_i32_e32 v176, v176
	v_mad_u64_u32 v[177:178], s[20:21], v225, v215, v[49:50]
	v_mul_f32_e32 v49, v179, v46
	v_cvt_f32_i32_e32 v50, v50
	v_cvt_f32_i32_e32 v177, v177
	;; [unrolled: 1-line block ×3, first 2 shown]
	v_mul_f32_e32 v53, v179, v48
	v_fma_f32 v11, v51, v50, v11
	v_fmac_f32_e32 v10, v49, v177
	v_dot4_i32_i8 v49, v181, v38, 0
	v_dot4_i32_i8 v49, v183, v39, v49
	;; [unrolled: 1-line block ×8, first 2 shown]
	v_mul_f32_e32 v178, v179, v47
	v_dot4_i32_i8 v49, v198, v36, v49
	v_dot4_i32_i8 v38, v187, v38, 0
	;; [unrolled: 1-line block ×3, first 2 shown]
	v_fma_f32 v13, v178, v52, v13
	v_fma_f32 v12, v53, v176, v12
	v_dot4_i32_i8 v176, v200, v37, v49
	v_mul_lo_u32 v52, v230, v209
	v_dot4_i32_i8 v38, v190, v39, v38
	v_dot4_i32_i8 v39, v203, v37, v34
	v_mul_lo_u32 v37, v224, v207
	v_dot4_i32_i8 v38, v194, v40, v38
	v_dot4_i32_i8 v38, v197, v41, v38
                                        ; kill: def $vgpr53 killed $sgpr0 killed $exec
	v_mul_lo_u32 v36, v38, v208
                                        ; kill: def $vgpr38 killed $sgpr0 killed $exec
	v_mul_lo_u32 v51, v51, v210
	v_mad_u64_u32 v[52:53], s[20:21], v229, v210, v[52:53]
	v_mad_u64_u32 v[37:38], s[20:21], v223, v208, v[37:38]
	v_mul_lo_u32 v50, v218, v209
	v_mul_lo_u32 v35, v212, v207
	v_mad_u64_u32 v[176:177], s[20:21], v176, v209, v[51:52]
                                        ; kill: def $vgpr51 killed $sgpr0 killed $exec
	v_mad_u64_u32 v[38:39], s[20:21], v39, v207, v[36:37]
                                        ; kill: def $vgpr36 killed $sgpr0 killed $exec
	v_mul_lo_u32 v49, v220, v210
	v_mad_u64_u32 v[50:51], s[20:21], v217, v210, v[50:51]
	v_mul_lo_u32 v34, v214, v208
	v_mad_u64_u32 v[35:36], s[20:21], v211, v208, v[35:36]
	v_mad_u64_u32 v[177:178], s[20:21], v219, v209, v[49:50]
	;; [unrolled: 1-line block ×3, first 2 shown]
	v_cvt_f32_i32_e32 v177, v177
	v_cvt_f32_i32_e32 v50, v50
	;; [unrolled: 1-line block ×8, first 2 shown]
	v_mul_f32_e32 v49, v184, v46
	v_mul_f32_e32 v51, v184, v45
	;; [unrolled: 1-line block ×8, first 2 shown]
	v_fma_f32 v9, v178, v52, v9
	v_fma_f32 v8, v53, v176, v8
	;; [unrolled: 1-line block ×3, first 2 shown]
	v_fmac_f32_e32 v6, v49, v177
	v_fma_f32 v5, v41, v37, v5
	v_fma_f32 v4, v40, v38, v4
	;; [unrolled: 1-line block ×3, first 2 shown]
	v_fmac_f32_e32 v2, v34, v39
	s_mov_b32 s20, s19
	s_cbranch_scc1 .LBB169_9
; %bb.10:                               ;   in Loop: Header=BB169_6 Depth=1
	s_or_b32 s17, s7, 1
	s_cmp_ge_i32 s17, s4
	s_barrier
	s_cbranch_scc1 .LBB169_5
; %bb.11:                               ;   in Loop: Header=BB169_6 Depth=1
	v_add_u32_e32 v53, s16, v131
	v_add_u32_e32 v51, 8, v173
	v_add_u32_e32 v34, v53, v114
	v_mad_u64_u32 v[51:52], s[18:19], v51, 36, s[2:3]
	v_mad_i64_i32 v[34:35], s[18:19], v34, 36, v[43:44]
	v_add_u32_e32 v36, v53, v115
	v_mad_i64_i32 v[36:37], s[18:19], v36, 36, v[43:44]
	v_add_u32_e32 v38, v53, v116
	v_add_u32_e32 v40, v53, v117
	v_mad_i64_i32 v[38:39], s[18:19], v38, 36, v[43:44]
	v_mad_i64_i32 v[40:41], s[18:19], v40, 36, v[43:44]
	v_add_u32_e32 v45, v53, v118
	v_add_u32_e32 v47, v53, v119
	;; [unrolled: 1-line block ×4, first 2 shown]
	v_mad_i64_i32 v[45:46], s[18:19], v45, 36, v[43:44]
	v_mad_i64_i32 v[47:48], s[18:19], v47, 36, v[43:44]
	;; [unrolled: 1-line block ×4, first 2 shown]
	global_load_dword v51, v[51:52], off
	s_nop 0
	global_load_dword v34, v[34:35], off offset:4
	s_nop 0
	global_load_dword v35, v[36:37], off offset:4
	;; [unrolled: 2-line block ×3, first 2 shown]
	global_load_dword v37, v[40:41], off offset:4
	s_nop 0
	global_load_dword v38, v[45:46], off offset:4
	global_load_dword v39, v[47:48], off offset:4
	;; [unrolled: 1-line block ×4, first 2 shown]
	s_mov_b32 s17, 16
	s_mov_b32 s20, 14
	;; [unrolled: 1-line block ×3, first 2 shown]
	v_mov_b32_e32 v174, v142
	v_mov_b32_e32 v175, v141
	s_waitcnt vmcnt(8)
	v_cvt_f32_f16_e32 v45, v51
	s_waitcnt vmcnt(7)
	ds_write_b32 v155, v34
	s_waitcnt vmcnt(6)
	ds_write_b32 v156, v35
	;; [unrolled: 2-line block ×8, first 2 shown]
	ds_write_b32 v113, v45
	s_waitcnt lgkmcnt(0)
	s_barrier
.LBB169_12:                             ;   Parent Loop BB169_6 Depth=1
                                        ; =>  This Inner Loop Header: Depth=2
	s_add_i32 s19, s20, 2
	s_lshr_b32 s24, s19, 4
	s_and_b32 s22, s19, 0x3ffffff8
	v_lshl_add_u32 v203, s22, 2, v122
	s_lshl_b32 s22, s24, 5
	s_addk_i32 s22, 0x4200
	v_add3_u32 v178, s22, v170, v123
	ds_read2_b32 v[45:46], v175 offset1:32
	ds_read_b128 v[38:41], v174
	ds_read_b128 v[34:37], v174 offset:16
	ds_read2_b32 v[49:50], v178 offset1:1
	ds_read2_b32 v[47:48], v203 offset1:1
	v_add3_u32 v197, s22, v166, v126
	s_add_i32 s21, s20, -14
	ds_read2_b32 v[198:199], v197 offset0:6 offset1:7
	s_waitcnt lgkmcnt(2)
	v_ashrrev_i32_e32 v49, s18, v49
	s_waitcnt lgkmcnt(1)
	v_ashrrev_i32_e32 v47, s21, v47
	v_lshlrev_b32_e32 v49, 2, v49
	v_and_b32_e32 v51, 0x3030303, v47
	v_bfe_u32 v47, v47, 24, 2
	v_and_b32_e32 v49, 0x4040404, v49
	v_sub_u16_e32 v52, v51, v49
	v_sub_u16_sdwa v53, v51, v49 dst_sel:BYTE_1 dst_unused:UNUSED_PAD src0_sel:BYTE_1 src1_sel:BYTE_1
	v_sub_u16_sdwa v47, v47, v49 dst_sel:BYTE_1 dst_unused:UNUSED_PAD src0_sel:DWORD src1_sel:BYTE_3
	v_sub_u16_sdwa v49, v51, v49 dst_sel:DWORD dst_unused:UNUSED_PAD src0_sel:WORD_1 src1_sel:WORD_1
	v_or_b32_sdwa v52, v52, v53 dst_sel:DWORD dst_unused:UNUSED_PAD src0_sel:BYTE_0 src1_sel:DWORD
	v_or_b32_sdwa v47, v49, v47 dst_sel:WORD_1 dst_unused:UNUSED_PAD src0_sel:BYTE_0 src1_sel:DWORD
	v_ashrrev_i32_e32 v50, s18, v50
	v_or_b32_sdwa v49, v52, v47 dst_sel:DWORD dst_unused:UNUSED_PAD src0_sel:WORD_0 src1_sel:DWORD
	v_ashrrev_i32_e32 v47, s21, v48
	v_lshlrev_b32_e32 v50, 2, v50
	v_and_b32_e32 v48, 0x3030303, v47
	v_bfe_u32 v47, v47, 24, 2
	v_and_b32_e32 v50, 0x4040404, v50
	v_sub_u16_e32 v51, v48, v50
	v_sub_u16_sdwa v52, v48, v50 dst_sel:BYTE_1 dst_unused:UNUSED_PAD src0_sel:BYTE_1 src1_sel:BYTE_1
	v_sub_u16_sdwa v47, v47, v50 dst_sel:BYTE_1 dst_unused:UNUSED_PAD src0_sel:DWORD src1_sel:BYTE_3
	v_sub_u16_sdwa v48, v48, v50 dst_sel:DWORD dst_unused:UNUSED_PAD src0_sel:WORD_1 src1_sel:WORD_1
	v_or_b32_sdwa v51, v51, v52 dst_sel:DWORD dst_unused:UNUSED_PAD src0_sel:BYTE_0 src1_sel:DWORD
	v_or_b32_sdwa v47, v48, v47 dst_sel:WORD_1 dst_unused:UNUSED_PAD src0_sel:BYTE_0 src1_sel:DWORD
	v_or_b32_sdwa v50, v51, v47 dst_sel:DWORD dst_unused:UNUSED_PAD src0_sel:WORD_0 src1_sel:DWORD
	ds_read2_b32 v[47:48], v203 offset0:2 offset1:3
	ds_read2_b32 v[51:52], v178 offset0:2 offset1:3
	s_and_b32 s23, s17, -16
	s_add_i32 s20, s20, s23
	s_lshl_b32 s23, s24, 2
	s_waitcnt lgkmcnt(1)
	v_ashrrev_i32_e32 v47, s21, v47
	s_waitcnt lgkmcnt(0)
	v_ashrrev_i32_e32 v51, s18, v51
	v_lshlrev_b32_e32 v51, 2, v51
	v_and_b32_e32 v53, 0x3030303, v47
	v_bfe_u32 v47, v47, 24, 2
	v_and_b32_e32 v51, 0x4040404, v51
	v_sub_u16_e32 v176, v53, v51
	v_sub_u16_sdwa v177, v53, v51 dst_sel:BYTE_1 dst_unused:UNUSED_PAD src0_sel:BYTE_1 src1_sel:BYTE_1
	v_sub_u16_sdwa v47, v47, v51 dst_sel:BYTE_1 dst_unused:UNUSED_PAD src0_sel:DWORD src1_sel:BYTE_3
	v_sub_u16_sdwa v51, v53, v51 dst_sel:DWORD dst_unused:UNUSED_PAD src0_sel:WORD_1 src1_sel:WORD_1
	v_or_b32_sdwa v176, v176, v177 dst_sel:DWORD dst_unused:UNUSED_PAD src0_sel:BYTE_0 src1_sel:DWORD
	v_or_b32_sdwa v47, v51, v47 dst_sel:WORD_1 dst_unused:UNUSED_PAD src0_sel:BYTE_0 src1_sel:DWORD
	v_ashrrev_i32_e32 v52, s18, v52
	v_or_b32_sdwa v51, v176, v47 dst_sel:DWORD dst_unused:UNUSED_PAD src0_sel:WORD_0 src1_sel:DWORD
	v_ashrrev_i32_e32 v47, s21, v48
	v_lshlrev_b32_e32 v52, 2, v52
	v_and_b32_e32 v48, 0x3030303, v47
	v_bfe_u32 v47, v47, 24, 2
	v_and_b32_e32 v52, 0x4040404, v52
	v_sub_u16_e32 v53, v48, v52
	v_sub_u16_sdwa v176, v48, v52 dst_sel:BYTE_1 dst_unused:UNUSED_PAD src0_sel:BYTE_1 src1_sel:BYTE_1
	v_sub_u16_sdwa v47, v47, v52 dst_sel:BYTE_1 dst_unused:UNUSED_PAD src0_sel:DWORD src1_sel:BYTE_3
	v_sub_u16_sdwa v48, v48, v52 dst_sel:DWORD dst_unused:UNUSED_PAD src0_sel:WORD_1 src1_sel:WORD_1
	v_or_b32_sdwa v53, v53, v176 dst_sel:DWORD dst_unused:UNUSED_PAD src0_sel:BYTE_0 src1_sel:DWORD
	v_or_b32_sdwa v47, v48, v47 dst_sel:WORD_1 dst_unused:UNUSED_PAD src0_sel:BYTE_0 src1_sel:DWORD
	v_or_b32_sdwa v52, v53, v47 dst_sel:DWORD dst_unused:UNUSED_PAD src0_sel:WORD_0 src1_sel:DWORD
	ds_read2_b32 v[47:48], v203 offset0:4 offset1:5
	ds_read2_b32 v[176:177], v178 offset0:4 offset1:5
	s_add_i32 s23, s23, 0x9380
	v_add3_u32 v187, s22, v164, v124
	v_add3_u32 v216, s22, v168, v128
	s_waitcnt lgkmcnt(1)
	v_ashrrev_i32_e32 v47, s21, v47
	s_waitcnt lgkmcnt(0)
	v_ashrrev_i32_e32 v176, s18, v176
	v_lshlrev_b32_e32 v176, 2, v176
	v_and_b32_e32 v53, 0x3030303, v47
	v_bfe_u32 v47, v47, 24, 2
	v_and_b32_e32 v176, 0x4040404, v176
	v_sub_u16_e32 v179, v53, v176
	v_sub_u16_sdwa v180, v53, v176 dst_sel:BYTE_1 dst_unused:UNUSED_PAD src0_sel:BYTE_1 src1_sel:BYTE_1
	v_sub_u16_sdwa v47, v47, v176 dst_sel:BYTE_1 dst_unused:UNUSED_PAD src0_sel:DWORD src1_sel:BYTE_3
	v_sub_u16_sdwa v53, v53, v176 dst_sel:DWORD dst_unused:UNUSED_PAD src0_sel:WORD_1 src1_sel:WORD_1
	v_or_b32_sdwa v179, v179, v180 dst_sel:DWORD dst_unused:UNUSED_PAD src0_sel:BYTE_0 src1_sel:DWORD
	v_or_b32_sdwa v47, v53, v47 dst_sel:WORD_1 dst_unused:UNUSED_PAD src0_sel:BYTE_0 src1_sel:DWORD
	v_ashrrev_i32_e32 v176, s18, v177
	v_or_b32_sdwa v53, v179, v47 dst_sel:DWORD dst_unused:UNUSED_PAD src0_sel:WORD_0 src1_sel:DWORD
	v_ashrrev_i32_e32 v47, s21, v48
	v_lshlrev_b32_e32 v176, 2, v176
	v_and_b32_e32 v48, 0x3030303, v47
	v_bfe_u32 v47, v47, 24, 2
	v_and_b32_e32 v176, 0x4040404, v176
	v_sub_u16_e32 v177, v48, v176
	v_sub_u16_sdwa v179, v48, v176 dst_sel:BYTE_1 dst_unused:UNUSED_PAD src0_sel:BYTE_1 src1_sel:BYTE_1
	v_sub_u16_sdwa v47, v47, v176 dst_sel:BYTE_1 dst_unused:UNUSED_PAD src0_sel:DWORD src1_sel:BYTE_3
	v_sub_u16_sdwa v48, v48, v176 dst_sel:DWORD dst_unused:UNUSED_PAD src0_sel:WORD_1 src1_sel:WORD_1
	v_or_b32_sdwa v177, v177, v179 dst_sel:DWORD dst_unused:UNUSED_PAD src0_sel:BYTE_0 src1_sel:DWORD
	v_or_b32_sdwa v47, v48, v47 dst_sel:WORD_1 dst_unused:UNUSED_PAD src0_sel:BYTE_0 src1_sel:DWORD
	v_or_b32_sdwa v204, v177, v47 dst_sel:DWORD dst_unused:UNUSED_PAD src0_sel:WORD_0 src1_sel:DWORD
	ds_read2_b32 v[47:48], v203 offset0:6 offset1:7
	ds_read2_b32 v[176:177], v178 offset0:6 offset1:7
	;; [unrolled: 1-line block ×3, first 2 shown]
	v_add_u32_e32 v209, s20, v135
	v_add_u32_e32 v212, s20, v137
	s_waitcnt lgkmcnt(2)
	v_ashrrev_i32_e32 v47, s21, v47
	s_waitcnt lgkmcnt(1)
	v_ashrrev_i32_e32 v176, s18, v176
	v_lshlrev_b32_e32 v176, 2, v176
	v_and_b32_e32 v179, 0x3030303, v47
	v_bfe_u32 v47, v47, 24, 2
	v_and_b32_e32 v176, 0x4040404, v176
	v_sub_u16_e32 v178, v179, v176
	v_sub_u16_sdwa v180, v179, v176 dst_sel:BYTE_1 dst_unused:UNUSED_PAD src0_sel:BYTE_1 src1_sel:BYTE_1
	v_sub_u16_sdwa v47, v47, v176 dst_sel:BYTE_1 dst_unused:UNUSED_PAD src0_sel:DWORD src1_sel:BYTE_3
	v_sub_u16_sdwa v176, v179, v176 dst_sel:DWORD dst_unused:UNUSED_PAD src0_sel:WORD_1 src1_sel:WORD_1
	v_or_b32_sdwa v178, v178, v180 dst_sel:DWORD dst_unused:UNUSED_PAD src0_sel:BYTE_0 src1_sel:DWORD
	v_or_b32_sdwa v47, v176, v47 dst_sel:WORD_1 dst_unused:UNUSED_PAD src0_sel:BYTE_0 src1_sel:DWORD
	v_ashrrev_i32_e32 v176, s18, v177
	v_or_b32_sdwa v205, v178, v47 dst_sel:DWORD dst_unused:UNUSED_PAD src0_sel:WORD_0 src1_sel:DWORD
	v_ashrrev_i32_e32 v47, s21, v48
	v_lshlrev_b32_e32 v176, 2, v176
	v_and_b32_e32 v48, 0x3030303, v47
	v_bfe_u32 v47, v47, 24, 2
	v_and_b32_e32 v176, 0x4040404, v176
	v_sub_u16_e32 v177, v48, v176
	v_sub_u16_sdwa v178, v48, v176 dst_sel:BYTE_1 dst_unused:UNUSED_PAD src0_sel:BYTE_1 src1_sel:BYTE_1
	v_sub_u16_sdwa v47, v47, v176 dst_sel:BYTE_1 dst_unused:UNUSED_PAD src0_sel:DWORD src1_sel:BYTE_3
	v_sub_u16_sdwa v48, v48, v176 dst_sel:DWORD dst_unused:UNUSED_PAD src0_sel:WORD_1 src1_sel:WORD_1
	v_or_b32_sdwa v177, v177, v178 dst_sel:DWORD dst_unused:UNUSED_PAD src0_sel:BYTE_0 src1_sel:DWORD
	v_or_b32_sdwa v47, v48, v47 dst_sel:WORD_1 dst_unused:UNUSED_PAD src0_sel:BYTE_0 src1_sel:DWORD
	v_or_b32_sdwa v206, v177, v47 dst_sel:DWORD dst_unused:UNUSED_PAD src0_sel:WORD_0 src1_sel:DWORD
	v_dot4_i32_i8 v177, v53, v34, 0
	v_dot4_i32_i8 v177, v204, v35, v177
	;; [unrolled: 1-line block ×3, first 2 shown]
	v_add3_u32 v47, s23, v171, v172
	v_dot4_i32_i8 v207, v206, v37, v177
	v_add_u32_e32 v177, 0x1080, v203
	ds_read_b32 v176, v47
	ds_read2_b32 v[177:178], v177 offset1:1
	ds_read2_b32 v[179:180], v187 offset1:1
	v_dot4_i32_i8 v47, v49, v38, 0
	v_dot4_i32_i8 v47, v50, v39, v47
	;; [unrolled: 1-line block ×3, first 2 shown]
	s_waitcnt lgkmcnt(1)
	v_ashrrev_i32_e32 v177, s21, v177
	s_waitcnt lgkmcnt(0)
	v_ashrrev_i32_e32 v179, s18, v179
	v_lshlrev_b32_e32 v179, 2, v179
	v_and_b32_e32 v181, 0x3030303, v177
	v_bfe_u32 v177, v177, 24, 2
	v_and_b32_e32 v179, 0x4040404, v179
	v_ashrrev_i32_e32 v180, s18, v180
	v_sub_u16_e32 v182, v181, v179
	v_sub_u16_sdwa v183, v181, v179 dst_sel:BYTE_1 dst_unused:UNUSED_PAD src0_sel:BYTE_1 src1_sel:BYTE_1
	v_sub_u16_sdwa v177, v177, v179 dst_sel:BYTE_1 dst_unused:UNUSED_PAD src0_sel:DWORD src1_sel:BYTE_3
	v_sub_u16_sdwa v179, v181, v179 dst_sel:DWORD dst_unused:UNUSED_PAD src0_sel:WORD_1 src1_sel:WORD_1
	v_ashrrev_i32_e32 v178, s21, v178
	v_lshlrev_b32_e32 v180, 2, v180
	v_or_b32_sdwa v182, v182, v183 dst_sel:DWORD dst_unused:UNUSED_PAD src0_sel:BYTE_0 src1_sel:DWORD
	v_or_b32_sdwa v177, v179, v177 dst_sel:WORD_1 dst_unused:UNUSED_PAD src0_sel:BYTE_0 src1_sel:DWORD
	v_and_b32_e32 v179, 0x3030303, v178
	v_bfe_u32 v178, v178, 24, 2
	v_and_b32_e32 v180, 0x4040404, v180
	v_or_b32_sdwa v177, v182, v177 dst_sel:DWORD dst_unused:UNUSED_PAD src0_sel:WORD_0 src1_sel:DWORD
	v_sub_u16_e32 v181, v179, v180
	v_sub_u16_sdwa v182, v179, v180 dst_sel:BYTE_1 dst_unused:UNUSED_PAD src0_sel:BYTE_1 src1_sel:BYTE_1
	v_sub_u16_sdwa v178, v178, v180 dst_sel:BYTE_1 dst_unused:UNUSED_PAD src0_sel:DWORD src1_sel:BYTE_3
	v_sub_u16_sdwa v179, v179, v180 dst_sel:DWORD dst_unused:UNUSED_PAD src0_sel:WORD_1 src1_sel:WORD_1
	v_or_b32_sdwa v181, v181, v182 dst_sel:DWORD dst_unused:UNUSED_PAD src0_sel:BYTE_0 src1_sel:DWORD
	v_or_b32_sdwa v178, v179, v178 dst_sel:WORD_1 dst_unused:UNUSED_PAD src0_sel:BYTE_0 src1_sel:DWORD
	v_add_u32_e32 v179, 0x1088, v203
	v_or_b32_sdwa v178, v181, v178 dst_sel:DWORD dst_unused:UNUSED_PAD src0_sel:WORD_0 src1_sel:DWORD
	ds_read2_b32 v[180:181], v179 offset1:1
	ds_read2_b32 v[182:183], v187 offset0:2 offset1:3
	ds_read2_b32 v[201:202], v216 offset1:1
	v_dot4_i32_i8 v47, v52, v41, v47
	v_add_u32_e32 v48, s20, v133
	s_waitcnt lgkmcnt(2)
	v_ashrrev_i32_e32 v179, s21, v180
	s_waitcnt lgkmcnt(1)
	v_ashrrev_i32_e32 v182, s18, v182
	v_lshlrev_b32_e32 v182, 2, v182
	v_and_b32_e32 v180, 0x3030303, v179
	v_bfe_u32 v179, v179, 24, 2
	v_and_b32_e32 v182, 0x4040404, v182
	v_sub_u16_e32 v184, v180, v182
	v_sub_u16_sdwa v185, v180, v182 dst_sel:BYTE_1 dst_unused:UNUSED_PAD src0_sel:BYTE_1 src1_sel:BYTE_1
	v_sub_u16_sdwa v179, v179, v182 dst_sel:BYTE_1 dst_unused:UNUSED_PAD src0_sel:DWORD src1_sel:BYTE_3
	v_sub_u16_sdwa v180, v180, v182 dst_sel:DWORD dst_unused:UNUSED_PAD src0_sel:WORD_1 src1_sel:WORD_1
	v_or_b32_sdwa v184, v184, v185 dst_sel:DWORD dst_unused:UNUSED_PAD src0_sel:BYTE_0 src1_sel:DWORD
	v_or_b32_sdwa v179, v180, v179 dst_sel:WORD_1 dst_unused:UNUSED_PAD src0_sel:BYTE_0 src1_sel:DWORD
	v_ashrrev_i32_e32 v182, s18, v183
	v_or_b32_sdwa v180, v184, v179 dst_sel:DWORD dst_unused:UNUSED_PAD src0_sel:WORD_0 src1_sel:DWORD
	v_ashrrev_i32_e32 v179, s21, v181
	v_lshlrev_b32_e32 v182, 2, v182
	v_and_b32_e32 v181, 0x3030303, v179
	v_bfe_u32 v179, v179, 24, 2
	v_and_b32_e32 v182, 0x4040404, v182
	v_sub_u16_e32 v183, v181, v182
	v_sub_u16_sdwa v184, v181, v182 dst_sel:BYTE_1 dst_unused:UNUSED_PAD src0_sel:BYTE_1 src1_sel:BYTE_1
	v_sub_u16_sdwa v179, v179, v182 dst_sel:BYTE_1 dst_unused:UNUSED_PAD src0_sel:DWORD src1_sel:BYTE_3
	v_sub_u16_sdwa v181, v181, v182 dst_sel:DWORD dst_unused:UNUSED_PAD src0_sel:WORD_1 src1_sel:WORD_1
	v_or_b32_sdwa v183, v183, v184 dst_sel:DWORD dst_unused:UNUSED_PAD src0_sel:BYTE_0 src1_sel:DWORD
	v_or_b32_sdwa v179, v181, v179 dst_sel:WORD_1 dst_unused:UNUSED_PAD src0_sel:BYTE_0 src1_sel:DWORD
	v_or_b32_sdwa v182, v183, v179 dst_sel:DWORD dst_unused:UNUSED_PAD src0_sel:WORD_0 src1_sel:DWORD
	v_add_u32_e32 v179, 0x1090, v203
	ds_read2_b32 v[183:184], v179 offset1:1
	ds_read2_b32 v[185:186], v187 offset0:4 offset1:5
	s_add_i32 s17, s17, 2
	s_waitcnt lgkmcnt(1)
	v_ashrrev_i32_e32 v179, s21, v183
	s_waitcnt lgkmcnt(0)
	v_ashrrev_i32_e32 v183, s18, v185
	v_lshlrev_b32_e32 v183, 2, v183
	v_and_b32_e32 v181, 0x3030303, v179
	v_bfe_u32 v179, v179, 24, 2
	v_and_b32_e32 v183, 0x4040404, v183
	v_sub_u16_e32 v185, v181, v183
	v_sub_u16_sdwa v188, v181, v183 dst_sel:BYTE_1 dst_unused:UNUSED_PAD src0_sel:BYTE_1 src1_sel:BYTE_1
	v_sub_u16_sdwa v179, v179, v183 dst_sel:BYTE_1 dst_unused:UNUSED_PAD src0_sel:DWORD src1_sel:BYTE_3
	v_sub_u16_sdwa v181, v181, v183 dst_sel:DWORD dst_unused:UNUSED_PAD src0_sel:WORD_1 src1_sel:WORD_1
	v_or_b32_sdwa v185, v185, v188 dst_sel:DWORD dst_unused:UNUSED_PAD src0_sel:BYTE_0 src1_sel:DWORD
	v_or_b32_sdwa v179, v181, v179 dst_sel:WORD_1 dst_unused:UNUSED_PAD src0_sel:BYTE_0 src1_sel:DWORD
	v_ashrrev_i32_e32 v183, s18, v186
	v_or_b32_sdwa v185, v185, v179 dst_sel:DWORD dst_unused:UNUSED_PAD src0_sel:WORD_0 src1_sel:DWORD
	v_ashrrev_i32_e32 v179, s21, v184
	v_lshlrev_b32_e32 v183, 2, v183
	v_and_b32_e32 v181, 0x3030303, v179
	v_bfe_u32 v179, v179, 24, 2
	v_and_b32_e32 v183, 0x4040404, v183
	v_sub_u16_e32 v184, v181, v183
	v_sub_u16_sdwa v186, v181, v183 dst_sel:BYTE_1 dst_unused:UNUSED_PAD src0_sel:BYTE_1 src1_sel:BYTE_1
	v_sub_u16_sdwa v179, v179, v183 dst_sel:BYTE_1 dst_unused:UNUSED_PAD src0_sel:DWORD src1_sel:BYTE_3
	v_sub_u16_sdwa v181, v181, v183 dst_sel:DWORD dst_unused:UNUSED_PAD src0_sel:WORD_1 src1_sel:WORD_1
	v_or_b32_sdwa v184, v184, v186 dst_sel:DWORD dst_unused:UNUSED_PAD src0_sel:BYTE_0 src1_sel:DWORD
	v_or_b32_sdwa v179, v181, v179 dst_sel:WORD_1 dst_unused:UNUSED_PAD src0_sel:BYTE_0 src1_sel:DWORD
	v_or_b32_sdwa v188, v184, v179 dst_sel:DWORD dst_unused:UNUSED_PAD src0_sel:WORD_0 src1_sel:DWORD
	v_add_u32_e32 v179, 0x1098, v203
	ds_read2_b32 v[183:184], v179 offset1:1
	ds_read2_b32 v[186:187], v187 offset0:6 offset1:7
	s_waitcnt lgkmcnt(1)
	v_ashrrev_i32_e32 v179, s21, v183
	s_waitcnt lgkmcnt(0)
	v_ashrrev_i32_e32 v183, s18, v186
	v_lshlrev_b32_e32 v183, 2, v183
	v_and_b32_e32 v181, 0x3030303, v179
	v_bfe_u32 v179, v179, 24, 2
	v_and_b32_e32 v183, 0x4040404, v183
	v_sub_u16_e32 v186, v181, v183
	v_sub_u16_sdwa v189, v181, v183 dst_sel:BYTE_1 dst_unused:UNUSED_PAD src0_sel:BYTE_1 src1_sel:BYTE_1
	v_sub_u16_sdwa v179, v179, v183 dst_sel:BYTE_1 dst_unused:UNUSED_PAD src0_sel:DWORD src1_sel:BYTE_3
	v_sub_u16_sdwa v181, v181, v183 dst_sel:DWORD dst_unused:UNUSED_PAD src0_sel:WORD_1 src1_sel:WORD_1
	v_or_b32_sdwa v186, v186, v189 dst_sel:DWORD dst_unused:UNUSED_PAD src0_sel:BYTE_0 src1_sel:DWORD
	v_or_b32_sdwa v179, v181, v179 dst_sel:WORD_1 dst_unused:UNUSED_PAD src0_sel:BYTE_0 src1_sel:DWORD
	v_ashrrev_i32_e32 v183, s18, v187
	v_or_b32_sdwa v192, v186, v179 dst_sel:DWORD dst_unused:UNUSED_PAD src0_sel:WORD_0 src1_sel:DWORD
	v_ashrrev_i32_e32 v179, s21, v184
	v_lshlrev_b32_e32 v183, 2, v183
	v_and_b32_e32 v181, 0x3030303, v179
	v_bfe_u32 v179, v179, 24, 2
	v_and_b32_e32 v183, 0x4040404, v183
	v_sub_u16_e32 v184, v181, v183
	v_sub_u16_sdwa v186, v181, v183 dst_sel:BYTE_1 dst_unused:UNUSED_PAD src0_sel:BYTE_1 src1_sel:BYTE_1
	v_sub_u16_sdwa v179, v179, v183 dst_sel:BYTE_1 dst_unused:UNUSED_PAD src0_sel:DWORD src1_sel:BYTE_3
	v_sub_u16_sdwa v181, v181, v183 dst_sel:DWORD dst_unused:UNUSED_PAD src0_sel:WORD_1 src1_sel:WORD_1
	v_or_b32_sdwa v179, v181, v179 dst_sel:WORD_1 dst_unused:UNUSED_PAD src0_sel:BYTE_0 src1_sel:DWORD
	v_dot4_i32_i8 v181, v177, v38, 0
	v_dot4_i32_i8 v181, v178, v39, v181
	;; [unrolled: 1-line block ×5, first 2 shown]
	v_or_b32_sdwa v184, v184, v186 dst_sel:DWORD dst_unused:UNUSED_PAD src0_sel:BYTE_0 src1_sel:DWORD
	v_dot4_i32_i8 v181, v188, v35, v181
	v_or_b32_sdwa v195, v184, v179 dst_sel:DWORD dst_unused:UNUSED_PAD src0_sel:WORD_0 src1_sel:DWORD
	v_dot4_i32_i8 v181, v192, v36, v181
	v_add3_u32 v179, s23, v165, v125
	v_dot4_i32_i8 v210, v195, v37, v181
	v_add_u32_e32 v181, 0x2100, v203
	ds_read_b32 v179, v179
	ds_read2_b32 v[183:184], v181 offset1:1
	ds_read2_b32 v[186:187], v197 offset1:1
	s_waitcnt lgkmcnt(1)
	v_ashrrev_i32_e32 v181, s21, v183
	s_waitcnt lgkmcnt(0)
	v_ashrrev_i32_e32 v186, s18, v186
	v_lshlrev_b32_e32 v186, 2, v186
	v_and_b32_e32 v183, 0x3030303, v181
	v_bfe_u32 v181, v181, 24, 2
	v_and_b32_e32 v186, 0x4040404, v186
	v_sub_u16_e32 v189, v183, v186
	v_sub_u16_sdwa v190, v183, v186 dst_sel:BYTE_1 dst_unused:UNUSED_PAD src0_sel:BYTE_1 src1_sel:BYTE_1
	v_sub_u16_sdwa v181, v181, v186 dst_sel:BYTE_1 dst_unused:UNUSED_PAD src0_sel:DWORD src1_sel:BYTE_3
	v_sub_u16_sdwa v183, v183, v186 dst_sel:DWORD dst_unused:UNUSED_PAD src0_sel:WORD_1 src1_sel:WORD_1
	v_ashrrev_i32_e32 v186, s18, v187
	v_or_b32_sdwa v181, v183, v181 dst_sel:WORD_1 dst_unused:UNUSED_PAD src0_sel:BYTE_0 src1_sel:DWORD
	v_ashrrev_i32_e32 v183, s21, v184
	v_lshlrev_b32_e32 v186, 2, v186
	v_or_b32_sdwa v189, v189, v190 dst_sel:DWORD dst_unused:UNUSED_PAD src0_sel:BYTE_0 src1_sel:DWORD
	v_and_b32_e32 v184, 0x3030303, v183
	v_bfe_u32 v183, v183, 24, 2
	v_and_b32_e32 v186, 0x4040404, v186
	v_or_b32_sdwa v181, v189, v181 dst_sel:DWORD dst_unused:UNUSED_PAD src0_sel:WORD_0 src1_sel:DWORD
	v_sub_u16_e32 v187, v184, v186
	v_sub_u16_sdwa v189, v184, v186 dst_sel:BYTE_1 dst_unused:UNUSED_PAD src0_sel:BYTE_1 src1_sel:BYTE_1
	v_sub_u16_sdwa v183, v183, v186 dst_sel:BYTE_1 dst_unused:UNUSED_PAD src0_sel:DWORD src1_sel:BYTE_3
	v_sub_u16_sdwa v184, v184, v186 dst_sel:DWORD dst_unused:UNUSED_PAD src0_sel:WORD_1 src1_sel:WORD_1
	v_or_b32_sdwa v187, v187, v189 dst_sel:DWORD dst_unused:UNUSED_PAD src0_sel:BYTE_0 src1_sel:DWORD
	v_or_b32_sdwa v183, v184, v183 dst_sel:WORD_1 dst_unused:UNUSED_PAD src0_sel:BYTE_0 src1_sel:DWORD
	v_add_u32_e32 v184, 0x2108, v203
	v_or_b32_sdwa v183, v187, v183 dst_sel:DWORD dst_unused:UNUSED_PAD src0_sel:WORD_0 src1_sel:DWORD
	ds_read2_b32 v[186:187], v184 offset1:1
	ds_read2_b32 v[189:190], v197 offset0:2 offset1:3
	s_waitcnt lgkmcnt(1)
	v_ashrrev_i32_e32 v184, s21, v186
	s_waitcnt lgkmcnt(0)
	v_ashrrev_i32_e32 v189, s18, v189
	v_lshlrev_b32_e32 v189, 2, v189
	v_and_b32_e32 v186, 0x3030303, v184
	v_bfe_u32 v184, v184, 24, 2
	v_and_b32_e32 v189, 0x4040404, v189
	v_sub_u16_e32 v191, v186, v189
	v_sub_u16_sdwa v193, v186, v189 dst_sel:BYTE_1 dst_unused:UNUSED_PAD src0_sel:BYTE_1 src1_sel:BYTE_1
	v_sub_u16_sdwa v184, v184, v189 dst_sel:BYTE_1 dst_unused:UNUSED_PAD src0_sel:DWORD src1_sel:BYTE_3
	v_sub_u16_sdwa v186, v186, v189 dst_sel:DWORD dst_unused:UNUSED_PAD src0_sel:WORD_1 src1_sel:WORD_1
	v_or_b32_sdwa v191, v191, v193 dst_sel:DWORD dst_unused:UNUSED_PAD src0_sel:BYTE_0 src1_sel:DWORD
	v_or_b32_sdwa v184, v186, v184 dst_sel:WORD_1 dst_unused:UNUSED_PAD src0_sel:BYTE_0 src1_sel:DWORD
	v_ashrrev_i32_e32 v189, s18, v190
	v_or_b32_sdwa v186, v191, v184 dst_sel:DWORD dst_unused:UNUSED_PAD src0_sel:WORD_0 src1_sel:DWORD
	v_ashrrev_i32_e32 v184, s21, v187
	v_lshlrev_b32_e32 v189, 2, v189
	v_and_b32_e32 v187, 0x3030303, v184
	v_bfe_u32 v184, v184, 24, 2
	v_and_b32_e32 v189, 0x4040404, v189
	v_sub_u16_e32 v190, v187, v189
	v_sub_u16_sdwa v191, v187, v189 dst_sel:BYTE_1 dst_unused:UNUSED_PAD src0_sel:BYTE_1 src1_sel:BYTE_1
	v_sub_u16_sdwa v184, v184, v189 dst_sel:BYTE_1 dst_unused:UNUSED_PAD src0_sel:DWORD src1_sel:BYTE_3
	v_sub_u16_sdwa v187, v187, v189 dst_sel:DWORD dst_unused:UNUSED_PAD src0_sel:WORD_1 src1_sel:WORD_1
	v_or_b32_sdwa v190, v190, v191 dst_sel:DWORD dst_unused:UNUSED_PAD src0_sel:BYTE_0 src1_sel:DWORD
	v_or_b32_sdwa v184, v187, v184 dst_sel:WORD_1 dst_unused:UNUSED_PAD src0_sel:BYTE_0 src1_sel:DWORD
	v_or_b32_sdwa v189, v190, v184 dst_sel:DWORD dst_unused:UNUSED_PAD src0_sel:WORD_0 src1_sel:DWORD
	v_add_u32_e32 v184, 0x2110, v203
	ds_read2_b32 v[190:191], v184 offset1:1
	ds_read2_b32 v[193:194], v197 offset0:4 offset1:5
	s_waitcnt lgkmcnt(1)
	v_ashrrev_i32_e32 v184, s21, v190
	s_waitcnt lgkmcnt(0)
	v_ashrrev_i32_e32 v190, s18, v193
	v_lshlrev_b32_e32 v190, 2, v190
	v_and_b32_e32 v187, 0x3030303, v184
	v_bfe_u32 v184, v184, 24, 2
	v_and_b32_e32 v190, 0x4040404, v190
	v_sub_u16_e32 v193, v187, v190
	v_sub_u16_sdwa v196, v187, v190 dst_sel:BYTE_1 dst_unused:UNUSED_PAD src0_sel:BYTE_1 src1_sel:BYTE_1
	v_sub_u16_sdwa v184, v184, v190 dst_sel:BYTE_1 dst_unused:UNUSED_PAD src0_sel:DWORD src1_sel:BYTE_3
	v_sub_u16_sdwa v187, v187, v190 dst_sel:DWORD dst_unused:UNUSED_PAD src0_sel:WORD_1 src1_sel:WORD_1
	v_or_b32_sdwa v193, v193, v196 dst_sel:DWORD dst_unused:UNUSED_PAD src0_sel:BYTE_0 src1_sel:DWORD
	v_or_b32_sdwa v184, v187, v184 dst_sel:WORD_1 dst_unused:UNUSED_PAD src0_sel:BYTE_0 src1_sel:DWORD
	v_ashrrev_i32_e32 v190, s18, v194
	v_or_b32_sdwa v193, v193, v184 dst_sel:DWORD dst_unused:UNUSED_PAD src0_sel:WORD_0 src1_sel:DWORD
	v_ashrrev_i32_e32 v184, s21, v191
	v_lshlrev_b32_e32 v190, 2, v190
	v_and_b32_e32 v187, 0x3030303, v184
	v_bfe_u32 v184, v184, 24, 2
	v_and_b32_e32 v190, 0x4040404, v190
	v_sub_u16_e32 v191, v187, v190
	v_sub_u16_sdwa v194, v187, v190 dst_sel:BYTE_1 dst_unused:UNUSED_PAD src0_sel:BYTE_1 src1_sel:BYTE_1
	v_sub_u16_sdwa v184, v184, v190 dst_sel:BYTE_1 dst_unused:UNUSED_PAD src0_sel:DWORD src1_sel:BYTE_3
	v_sub_u16_sdwa v187, v187, v190 dst_sel:DWORD dst_unused:UNUSED_PAD src0_sel:WORD_1 src1_sel:WORD_1
	v_or_b32_sdwa v191, v191, v194 dst_sel:DWORD dst_unused:UNUSED_PAD src0_sel:BYTE_0 src1_sel:DWORD
	v_or_b32_sdwa v184, v187, v184 dst_sel:WORD_1 dst_unused:UNUSED_PAD src0_sel:BYTE_0 src1_sel:DWORD
	v_or_b32_sdwa v196, v191, v184 dst_sel:DWORD dst_unused:UNUSED_PAD src0_sel:WORD_0 src1_sel:DWORD
	v_add_u32_e32 v184, 0x2118, v203
	ds_read2_b32 v[190:191], v184 offset1:1
	s_waitcnt lgkmcnt(0)
	v_ashrrev_i32_e32 v184, s21, v190
	v_ashrrev_i32_e32 v190, s18, v198
	v_lshlrev_b32_e32 v190, 2, v190
	v_and_b32_e32 v187, 0x3030303, v184
	v_bfe_u32 v184, v184, 24, 2
	v_and_b32_e32 v190, 0x4040404, v190
	v_sub_u16_e32 v194, v187, v190
	v_sub_u16_sdwa v197, v187, v190 dst_sel:BYTE_1 dst_unused:UNUSED_PAD src0_sel:BYTE_1 src1_sel:BYTE_1
	v_sub_u16_sdwa v184, v184, v190 dst_sel:BYTE_1 dst_unused:UNUSED_PAD src0_sel:DWORD src1_sel:BYTE_3
	v_sub_u16_sdwa v187, v187, v190 dst_sel:DWORD dst_unused:UNUSED_PAD src0_sel:WORD_1 src1_sel:WORD_1
	v_or_b32_sdwa v194, v194, v197 dst_sel:DWORD dst_unused:UNUSED_PAD src0_sel:BYTE_0 src1_sel:DWORD
	v_or_b32_sdwa v184, v187, v184 dst_sel:WORD_1 dst_unused:UNUSED_PAD src0_sel:BYTE_0 src1_sel:DWORD
	v_ashrrev_i32_e32 v190, s18, v199
	v_or_b32_sdwa v198, v194, v184 dst_sel:DWORD dst_unused:UNUSED_PAD src0_sel:WORD_0 src1_sel:DWORD
	v_ashrrev_i32_e32 v184, s21, v191
	v_lshlrev_b32_e32 v190, 2, v190
	v_and_b32_e32 v187, 0x3030303, v184
	v_bfe_u32 v184, v184, 24, 2
	v_and_b32_e32 v190, 0x4040404, v190
	v_sub_u16_e32 v191, v187, v190
	v_sub_u16_sdwa v194, v187, v190 dst_sel:BYTE_1 dst_unused:UNUSED_PAD src0_sel:BYTE_1 src1_sel:BYTE_1
	v_sub_u16_sdwa v184, v184, v190 dst_sel:BYTE_1 dst_unused:UNUSED_PAD src0_sel:DWORD src1_sel:BYTE_3
	v_sub_u16_sdwa v187, v187, v190 dst_sel:DWORD dst_unused:UNUSED_PAD src0_sel:WORD_1 src1_sel:WORD_1
	v_or_b32_sdwa v184, v187, v184 dst_sel:WORD_1 dst_unused:UNUSED_PAD src0_sel:BYTE_0 src1_sel:DWORD
	v_dot4_i32_i8 v187, v181, v38, 0
	v_dot4_i32_i8 v187, v183, v39, v187
	;; [unrolled: 1-line block ×5, first 2 shown]
	v_or_b32_sdwa v191, v191, v194 dst_sel:DWORD dst_unused:UNUSED_PAD src0_sel:BYTE_0 src1_sel:DWORD
	v_dot4_i32_i8 v187, v196, v35, v187
	v_or_b32_sdwa v200, v191, v184 dst_sel:DWORD dst_unused:UNUSED_PAD src0_sel:WORD_0 src1_sel:DWORD
	v_dot4_i32_i8 v187, v198, v36, v187
	v_add3_u32 v184, s23, v167, v127
	v_dot4_i32_i8 v213, v200, v37, v187
	v_add_u32_e32 v187, 0x3180, v203
	ds_read_b32 v184, v184
	ds_read2_b32 v[190:191], v187 offset1:1
	v_ashrrev_i32_e32 v194, s18, v201
	v_lshlrev_b32_e32 v194, 2, v194
	v_and_b32_e32 v194, 0x4040404, v194
	s_waitcnt lgkmcnt(0)
	v_ashrrev_i32_e32 v187, s21, v190
	v_and_b32_e32 v190, 0x3030303, v187
	v_bfe_u32 v187, v187, 24, 2
	v_sub_u16_e32 v197, v190, v194
	v_sub_u16_sdwa v199, v190, v194 dst_sel:BYTE_1 dst_unused:UNUSED_PAD src0_sel:BYTE_1 src1_sel:BYTE_1
	v_sub_u16_sdwa v187, v187, v194 dst_sel:BYTE_1 dst_unused:UNUSED_PAD src0_sel:DWORD src1_sel:BYTE_3
	v_sub_u16_sdwa v190, v190, v194 dst_sel:DWORD dst_unused:UNUSED_PAD src0_sel:WORD_1 src1_sel:WORD_1
	v_ashrrev_i32_e32 v194, s18, v202
	v_or_b32_sdwa v187, v190, v187 dst_sel:WORD_1 dst_unused:UNUSED_PAD src0_sel:BYTE_0 src1_sel:DWORD
	v_ashrrev_i32_e32 v190, s21, v191
	v_lshlrev_b32_e32 v194, 2, v194
	v_or_b32_sdwa v197, v197, v199 dst_sel:DWORD dst_unused:UNUSED_PAD src0_sel:BYTE_0 src1_sel:DWORD
	v_and_b32_e32 v191, 0x3030303, v190
	v_bfe_u32 v190, v190, 24, 2
	v_and_b32_e32 v194, 0x4040404, v194
	v_or_b32_sdwa v187, v197, v187 dst_sel:DWORD dst_unused:UNUSED_PAD src0_sel:WORD_0 src1_sel:DWORD
	v_sub_u16_e32 v197, v191, v194
	v_sub_u16_sdwa v199, v191, v194 dst_sel:BYTE_1 dst_unused:UNUSED_PAD src0_sel:BYTE_1 src1_sel:BYTE_1
	v_sub_u16_sdwa v190, v190, v194 dst_sel:BYTE_1 dst_unused:UNUSED_PAD src0_sel:DWORD src1_sel:BYTE_3
	v_sub_u16_sdwa v191, v191, v194 dst_sel:DWORD dst_unused:UNUSED_PAD src0_sel:WORD_1 src1_sel:WORD_1
	v_or_b32_sdwa v190, v191, v190 dst_sel:WORD_1 dst_unused:UNUSED_PAD src0_sel:BYTE_0 src1_sel:DWORD
	v_add_u32_e32 v191, 0x3188, v203
	ds_read2_b32 v[201:202], v191 offset1:1
	v_or_b32_sdwa v197, v197, v199 dst_sel:DWORD dst_unused:UNUSED_PAD src0_sel:BYTE_0 src1_sel:DWORD
	v_or_b32_sdwa v190, v197, v190 dst_sel:DWORD dst_unused:UNUSED_PAD src0_sel:WORD_0 src1_sel:DWORD
	v_ashrrev_i32_e32 v197, s18, v214
	v_lshlrev_b32_e32 v197, 2, v197
	s_waitcnt lgkmcnt(0)
	v_ashrrev_i32_e32 v191, s21, v201
	v_and_b32_e32 v194, 0x3030303, v191
	v_bfe_u32 v191, v191, 24, 2
	v_and_b32_e32 v197, 0x4040404, v197
	v_sub_u16_e32 v199, v194, v197
	v_sub_u16_sdwa v201, v194, v197 dst_sel:BYTE_1 dst_unused:UNUSED_PAD src0_sel:BYTE_1 src1_sel:BYTE_1
	v_sub_u16_sdwa v191, v191, v197 dst_sel:BYTE_1 dst_unused:UNUSED_PAD src0_sel:DWORD src1_sel:BYTE_3
	v_sub_u16_sdwa v194, v194, v197 dst_sel:DWORD dst_unused:UNUSED_PAD src0_sel:WORD_1 src1_sel:WORD_1
	v_or_b32_sdwa v199, v199, v201 dst_sel:DWORD dst_unused:UNUSED_PAD src0_sel:BYTE_0 src1_sel:DWORD
	v_or_b32_sdwa v191, v194, v191 dst_sel:WORD_1 dst_unused:UNUSED_PAD src0_sel:BYTE_0 src1_sel:DWORD
	v_or_b32_sdwa v194, v199, v191 dst_sel:DWORD dst_unused:UNUSED_PAD src0_sel:WORD_0 src1_sel:DWORD
	v_ashrrev_i32_e32 v199, s18, v215
	v_ashrrev_i32_e32 v191, s21, v202
	v_lshlrev_b32_e32 v199, 2, v199
	v_and_b32_e32 v197, 0x3030303, v191
	v_bfe_u32 v191, v191, 24, 2
	v_and_b32_e32 v199, 0x4040404, v199
	v_sub_u16_e32 v201, v197, v199
	v_sub_u16_sdwa v202, v197, v199 dst_sel:BYTE_1 dst_unused:UNUSED_PAD src0_sel:BYTE_1 src1_sel:BYTE_1
	v_sub_u16_sdwa v191, v191, v199 dst_sel:BYTE_1 dst_unused:UNUSED_PAD src0_sel:DWORD src1_sel:BYTE_3
	v_sub_u16_sdwa v197, v197, v199 dst_sel:DWORD dst_unused:UNUSED_PAD src0_sel:WORD_1 src1_sel:WORD_1
	v_or_b32_sdwa v201, v201, v202 dst_sel:DWORD dst_unused:UNUSED_PAD src0_sel:BYTE_0 src1_sel:DWORD
	v_or_b32_sdwa v191, v197, v191 dst_sel:WORD_1 dst_unused:UNUSED_PAD src0_sel:BYTE_0 src1_sel:DWORD
	v_or_b32_sdwa v197, v201, v191 dst_sel:DWORD dst_unused:UNUSED_PAD src0_sel:WORD_0 src1_sel:DWORD
	v_add_u32_e32 v191, 0x3190, v203
	ds_read2_b32 v[201:202], v191 offset1:1
	ds_read2_b32 v[214:215], v216 offset0:4 offset1:5
	v_dot4_i32_i8 v38, v187, v38, 0
	v_dot4_i32_i8 v38, v190, v39, v38
	;; [unrolled: 1-line block ×3, first 2 shown]
	s_waitcnt lgkmcnt(1)
	v_ashrrev_i32_e32 v191, s21, v201
	s_waitcnt lgkmcnt(0)
	v_ashrrev_i32_e32 v201, s18, v214
	v_lshlrev_b32_e32 v201, 2, v201
	v_and_b32_e32 v199, 0x3030303, v191
	v_bfe_u32 v191, v191, 24, 2
	v_and_b32_e32 v201, 0x4040404, v201
	v_sub_u16_e32 v214, v199, v201
	v_sub_u16_sdwa v217, v199, v201 dst_sel:BYTE_1 dst_unused:UNUSED_PAD src0_sel:BYTE_1 src1_sel:BYTE_1
	v_sub_u16_sdwa v191, v191, v201 dst_sel:BYTE_1 dst_unused:UNUSED_PAD src0_sel:DWORD src1_sel:BYTE_3
	v_sub_u16_sdwa v199, v199, v201 dst_sel:DWORD dst_unused:UNUSED_PAD src0_sel:WORD_1 src1_sel:WORD_1
	v_or_b32_sdwa v214, v214, v217 dst_sel:DWORD dst_unused:UNUSED_PAD src0_sel:BYTE_0 src1_sel:DWORD
	v_or_b32_sdwa v191, v199, v191 dst_sel:WORD_1 dst_unused:UNUSED_PAD src0_sel:BYTE_0 src1_sel:DWORD
	v_or_b32_sdwa v199, v214, v191 dst_sel:DWORD dst_unused:UNUSED_PAD src0_sel:WORD_0 src1_sel:DWORD
	v_ashrrev_i32_e32 v191, s21, v202
	v_ashrrev_i32_e32 v202, s18, v215
	v_lshlrev_b32_e32 v202, 2, v202
	v_and_b32_e32 v201, 0x3030303, v191
	v_bfe_u32 v191, v191, 24, 2
	v_and_b32_e32 v202, 0x4040404, v202
	v_sub_u16_e32 v214, v201, v202
	v_sub_u16_sdwa v215, v201, v202 dst_sel:BYTE_1 dst_unused:UNUSED_PAD src0_sel:BYTE_1 src1_sel:BYTE_1
	v_sub_u16_sdwa v191, v191, v202 dst_sel:BYTE_1 dst_unused:UNUSED_PAD src0_sel:DWORD src1_sel:BYTE_3
	v_sub_u16_sdwa v201, v201, v202 dst_sel:DWORD dst_unused:UNUSED_PAD src0_sel:WORD_1 src1_sel:WORD_1
	v_or_b32_sdwa v214, v214, v215 dst_sel:DWORD dst_unused:UNUSED_PAD src0_sel:BYTE_0 src1_sel:DWORD
	v_or_b32_sdwa v191, v201, v191 dst_sel:WORD_1 dst_unused:UNUSED_PAD src0_sel:BYTE_0 src1_sel:DWORD
	v_or_b32_sdwa v201, v214, v191 dst_sel:DWORD dst_unused:UNUSED_PAD src0_sel:WORD_0 src1_sel:DWORD
	v_add_u32_e32 v191, 0x3198, v203
	ds_read2_b32 v[202:203], v191 offset1:1
	ds_read2_b32 v[214:215], v216 offset0:6 offset1:7
	v_dot4_i32_i8 v34, v199, v34, 0
	v_dot4_i32_i8 v34, v201, v35, v34
	;; [unrolled: 1-line block ×3, first 2 shown]
	s_waitcnt lgkmcnt(1)
	v_ashrrev_i32_e32 v191, s21, v202
	s_waitcnt lgkmcnt(0)
	v_ashrrev_i32_e32 v214, s18, v214
	v_lshlrev_b32_e32 v214, 2, v214
	v_and_b32_e32 v202, 0x3030303, v191
	v_bfe_u32 v191, v191, 24, 2
	v_and_b32_e32 v214, 0x4040404, v214
	v_sub_u16_e32 v216, v202, v214
	v_sub_u16_sdwa v217, v202, v214 dst_sel:BYTE_1 dst_unused:UNUSED_PAD src0_sel:BYTE_1 src1_sel:BYTE_1
	v_sub_u16_sdwa v191, v191, v214 dst_sel:BYTE_1 dst_unused:UNUSED_PAD src0_sel:DWORD src1_sel:BYTE_3
	v_sub_u16_sdwa v202, v202, v214 dst_sel:DWORD dst_unused:UNUSED_PAD src0_sel:WORD_1 src1_sel:WORD_1
	v_or_b32_sdwa v216, v216, v217 dst_sel:DWORD dst_unused:UNUSED_PAD src0_sel:BYTE_0 src1_sel:DWORD
	v_or_b32_sdwa v191, v202, v191 dst_sel:WORD_1 dst_unused:UNUSED_PAD src0_sel:BYTE_0 src1_sel:DWORD
	v_ashrrev_i32_e32 v214, s18, v215
	v_or_b32_sdwa v202, v216, v191 dst_sel:DWORD dst_unused:UNUSED_PAD src0_sel:WORD_0 src1_sel:DWORD
	v_ashrrev_i32_e32 v191, s21, v203
	v_lshlrev_b32_e32 v214, 2, v214
	v_and_b32_e32 v203, 0x3030303, v191
	v_bfe_u32 v191, v191, 24, 2
	v_and_b32_e32 v214, 0x4040404, v214
	v_sub_u16_e32 v215, v203, v214
	v_sub_u16_sdwa v216, v203, v214 dst_sel:BYTE_1 dst_unused:UNUSED_PAD src0_sel:BYTE_1 src1_sel:BYTE_1
	v_sub_u16_sdwa v191, v191, v214 dst_sel:BYTE_1 dst_unused:UNUSED_PAD src0_sel:DWORD src1_sel:BYTE_3
	v_sub_u16_sdwa v203, v203, v214 dst_sel:DWORD dst_unused:UNUSED_PAD src0_sel:WORD_1 src1_sel:WORD_1
	v_or_b32_sdwa v215, v215, v216 dst_sel:DWORD dst_unused:UNUSED_PAD src0_sel:BYTE_0 src1_sel:DWORD
	v_or_b32_sdwa v191, v203, v191 dst_sel:WORD_1 dst_unused:UNUSED_PAD src0_sel:BYTE_0 src1_sel:DWORD
	v_or_b32_sdwa v203, v215, v191 dst_sel:DWORD dst_unused:UNUSED_PAD src0_sel:WORD_0 src1_sel:DWORD
	v_add3_u32 v191, s23, v169, v129
	ds_read_b32 v191, v191
	ds_read_b128 v[215:218], v174 offset:1024
	ds_read_b128 v[219:222], v174 offset:1040
	v_dot4_i32_i8 v34, v202, v36, v34
	v_dot4_i32_i8 v34, v203, v37, v34
	v_add_u32_e32 v214, s20, v139
	s_waitcnt lgkmcnt(1)
	v_dot4_i32_i8 v35, v49, v215, 0
	v_dot4_i32_i8 v35, v50, v216, v35
	;; [unrolled: 1-line block ×4, first 2 shown]
	s_waitcnt lgkmcnt(0)
	v_dot4_i32_i8 v35, v53, v219, 0
	v_dot4_i32_i8 v35, v204, v220, v35
	;; [unrolled: 1-line block ×28, first 2 shown]
	ds_read2_b32 v[35:36], v175 offset0:64 offset1:96
	ds_read_b128 v[215:218], v174 offset:2048
	ds_read_b128 v[219:222], v174 offset:2064
	s_add_i32 s18, s18, 1
	s_cmp_lt_u32 s19, 22
	s_waitcnt lgkmcnt(1)
	v_dot4_i32_i8 v39, v49, v215, 0
	v_dot4_i32_i8 v39, v50, v216, v39
	;; [unrolled: 1-line block ×4, first 2 shown]
	s_waitcnt lgkmcnt(0)
	v_dot4_i32_i8 v39, v53, v219, 0
	v_dot4_i32_i8 v39, v204, v220, v39
	v_dot4_i32_i8 v39, v205, v221, v39
	v_dot4_i32_i8 v41, v206, v222, v39
	v_dot4_i32_i8 v39, v177, v215, 0
	v_dot4_i32_i8 v39, v178, v216, v39
	v_dot4_i32_i8 v39, v180, v217, v39
	v_dot4_i32_i8 v235, v182, v218, v39
	v_dot4_i32_i8 v39, v185, v219, 0
	v_dot4_i32_i8 v39, v188, v220, v39
	v_dot4_i32_i8 v39, v192, v221, v39
	v_dot4_i32_i8 v236, v195, v222, v39
	v_dot4_i32_i8 v39, v181, v215, 0
	v_dot4_i32_i8 v39, v183, v216, v39
	v_dot4_i32_i8 v39, v186, v217, v39
	v_dot4_i32_i8 v237, v189, v218, v39
	v_dot4_i32_i8 v39, v193, v219, 0
	v_dot4_i32_i8 v39, v196, v220, v39
	v_dot4_i32_i8 v39, v198, v221, v39
	v_dot4_i32_i8 v238, v200, v222, v39
	v_dot4_i32_i8 v39, v187, v215, 0
	v_dot4_i32_i8 v39, v190, v216, v39
	v_dot4_i32_i8 v39, v194, v217, v39
	v_dot4_i32_i8 v239, v197, v218, v39
	v_dot4_i32_i8 v39, v199, v219, 0
	v_dot4_i32_i8 v39, v201, v220, v39
	v_dot4_i32_i8 v39, v202, v221, v39
	v_dot4_i32_i8 v240, v203, v222, v39
	ds_read_b128 v[217:220], v174 offset:3072
	ds_read_b128 v[221:224], v174 offset:3088
	s_waitcnt lgkmcnt(1)
	v_dot4_i32_i8 v39, v49, v217, 0
	v_dot4_i32_i8 v39, v50, v218, v39
	;; [unrolled: 1-line block ×4, first 2 shown]
	s_waitcnt lgkmcnt(0)
	v_dot4_i32_i8 v39, v53, v221, 0
	v_dot4_i32_i8 v39, v204, v222, v39
	;; [unrolled: 1-line block ×4, first 2 shown]
	ds_read_u16 v39, v48 offset:33522
	s_waitcnt lgkmcnt(0)
	v_lshrrev_b16_e32 v48, 8, v39
	v_bfe_i32 v227, v48, 0, 8
	v_bfe_i32 v228, v39, 0, 8
	v_mul_lo_u32 v37, v37, v228
	v_mul_lo_u32 v41, v41, v227
	v_mul_lo_u32 v40, v40, v228
	v_mul_lo_u32 v39, v207, v227
	v_mad_u64_u32 v[215:216], s[20:21], v226, v228, v[41:42]
	v_mad_u64_u32 v[225:226], s[20:21], v225, v227, v[37:38]
                                        ; kill: def $vgpr41 killed $sgpr0 killed $exec
	v_mul_f32_e32 v37, v176, v46
	v_mad_u64_u32 v[40:41], s[20:21], v241, v227, v[40:41]
	v_cvt_f32_i32_e32 v207, v225
	v_mul_f32_e32 v41, v176, v36
	v_mad_u64_u32 v[47:48], s[20:21], v47, v228, v[39:40]
	v_cvt_f32_i32_e32 v40, v40
	v_fmac_f32_e32 v18, v37, v207
	v_dot4_i32_i8 v37, v177, v217, 0
	v_dot4_i32_i8 v37, v178, v218, v37
	;; [unrolled: 1-line block ×3, first 2 shown]
	v_fma_f32 v20, v41, v40, v20
	v_dot4_i32_i8 v40, v182, v220, v37
	v_dot4_i32_i8 v37, v185, v221, 0
	;; [unrolled: 1-line block ×5, first 2 shown]
	ds_read_u16 v37, v209 offset:34546
	v_cvt_f32_i32_e32 v47, v47
	v_cvt_f32_i32_e32 v215, v215
	v_mul_f32_e32 v39, v176, v45
	v_mul_f32_e32 v48, v176, v35
	v_fma_f32 v19, v39, v47, v19
	s_waitcnt lgkmcnt(0)
	v_lshrrev_b16_e32 v39, 8, v37
	v_fma_f32 v21, v48, v215, v21
	v_bfe_i32 v215, v39, 0, 8
	v_bfe_i32 v216, v37, 0, 8
	v_mul_lo_u32 v41, v236, v215
	v_mul_lo_u32 v40, v40, v216
	;; [unrolled: 1-line block ×4, first 2 shown]
	v_mad_u64_u32 v[47:48], s[20:21], v235, v216, v[41:42]
                                        ; kill: def $vgpr41 killed $sgpr0 killed $exec
	v_mul_f32_e32 v48, v179, v35
	v_mad_u64_u32 v[40:41], s[20:21], v207, v215, v[40:41]
	v_mul_f32_e32 v41, v179, v36
	v_cvt_f32_i32_e32 v47, v47
	v_mad_u64_u32 v[207:208], s[20:21], v208, v216, v[39:40]
	v_mad_u64_u32 v[208:209], s[20:21], v230, v215, v[37:38]
	v_mul_f32_e32 v37, v179, v46
	v_cvt_f32_i32_e32 v40, v40
	v_cvt_f32_i32_e32 v208, v208
	;; [unrolled: 1-line block ×3, first 2 shown]
	v_mul_f32_e32 v39, v179, v45
	v_fma_f32 v32, v41, v40, v32
	v_fmac_f32_e32 v30, v37, v208
	v_dot4_i32_i8 v37, v181, v217, 0
	v_dot4_i32_i8 v37, v183, v218, v37
	;; [unrolled: 1-line block ×7, first 2 shown]
	v_fma_f32 v31, v39, v207, v31
	v_dot4_i32_i8 v207, v200, v224, v37
	ds_read_u16 v37, v212 offset:35570
	v_fma_f32 v33, v48, v47, v33
	s_waitcnt lgkmcnt(0)
	v_lshrrev_b16_e32 v39, 8, v37
	v_bfe_i32 v209, v39, 0, 8
	v_bfe_i32 v210, v37, 0, 8
	v_mul_lo_u32 v41, v238, v209
	v_mul_lo_u32 v40, v40, v210
	;; [unrolled: 1-line block ×4, first 2 shown]
	v_mad_u64_u32 v[47:48], s[20:21], v237, v210, v[41:42]
                                        ; kill: def $vgpr41 killed $sgpr0 killed $exec
	v_mul_f32_e32 v48, v184, v35
	v_mad_u64_u32 v[40:41], s[20:21], v207, v209, v[40:41]
	v_cvt_f32_i32_e32 v47, v47
	v_mul_f32_e32 v41, v184, v36
	v_mad_u64_u32 v[207:208], s[20:21], v211, v210, v[39:40]
	v_mad_u64_u32 v[211:212], s[20:21], v232, v209, v[37:38]
	v_mul_f32_e32 v37, v184, v46
	v_cvt_f32_i32_e32 v207, v207
	v_cvt_f32_i32_e32 v208, v211
	v_mul_f32_e32 v39, v184, v45
	v_fma_f32 v29, v48, v47, v29
	v_fma_f32 v27, v39, v207, v27
	v_fmac_f32_e32 v26, v37, v208
	v_dot4_i32_i8 v37, v187, v217, 0
	v_dot4_i32_i8 v37, v190, v218, v37
	v_dot4_i32_i8 v37, v194, v219, v37
	v_dot4_i32_i8 v39, v197, v220, v37
	v_dot4_i32_i8 v37, v199, v221, 0
	v_dot4_i32_i8 v37, v201, v222, v37
	v_dot4_i32_i8 v37, v202, v223, v37
	v_dot4_i32_i8 v47, v203, v224, v37
	ds_read_u16 v37, v214 offset:36594
	v_cvt_f32_i32_e32 v40, v40
	v_mul_f32_e32 v36, v191, v36
	v_fma_f32 v28, v41, v40, v28
	s_waitcnt lgkmcnt(0)
	v_lshrrev_b16_e32 v40, 8, v37
	v_bfe_i32 v207, v40, 0, 8
	v_mul_lo_u32 v40, v240, v207
	v_bfe_i32 v208, v37, 0, 8
                                        ; kill: def $vgpr41 killed $sgpr0 killed $exec
	v_mul_lo_u32 v34, v34, v207
	v_mul_lo_u32 v39, v39, v208
	v_mad_u64_u32 v[40:41], s[20:21], v239, v208, v[40:41]
	v_mul_lo_u32 v37, v233, v208
	v_mad_u64_u32 v[47:48], s[20:21], v47, v207, v[39:40]
	v_mad_u64_u32 v[38:39], s[20:21], v38, v208, v[34:35]
	v_cvt_f32_i32_e32 v41, v47
	v_cvt_f32_i32_e32 v40, v40
	v_mad_u64_u32 v[211:212], s[20:21], v234, v207, v[37:38]
	v_cvt_f32_i32_e32 v38, v38
	v_mul_f32_e32 v34, v191, v46
	v_cvt_f32_i32_e32 v39, v211
	v_mul_f32_e32 v37, v191, v45
	v_mul_f32_e32 v35, v191, v35
	v_fma_f32 v25, v35, v40, v25
	v_fma_f32 v24, v36, v41, v24
	;; [unrolled: 1-line block ×3, first 2 shown]
	v_fmac_f32_e32 v22, v34, v39
	ds_read2_b32 v[45:46], v175 offset0:128 offset1:160
	ds_read_b128 v[34:37], v174 offset:4096
	ds_read_b128 v[38:41], v174 offset:4112
	s_waitcnt lgkmcnt(1)
	v_dot4_i32_i8 v47, v49, v34, 0
	v_dot4_i32_i8 v47, v50, v35, v47
	;; [unrolled: 1-line block ×4, first 2 shown]
	s_waitcnt lgkmcnt(0)
	v_dot4_i32_i8 v47, v53, v38, 0
	v_dot4_i32_i8 v47, v204, v39, v47
	;; [unrolled: 1-line block ×28, first 2 shown]
	ds_read_b128 v[34:37], v174 offset:5120
	ds_read_b128 v[38:41], v174 offset:5136
	s_waitcnt lgkmcnt(1)
	v_dot4_i32_i8 v47, v49, v34, 0
	v_dot4_i32_i8 v47, v50, v35, v47
	;; [unrolled: 1-line block ×4, first 2 shown]
	s_waitcnt lgkmcnt(0)
	v_dot4_i32_i8 v47, v53, v38, 0
	v_dot4_i32_i8 v47, v204, v39, v47
	;; [unrolled: 1-line block ×28, first 2 shown]
	ds_read2_b32 v[47:48], v175 offset0:192 offset1:224
	ds_read_b128 v[34:37], v174 offset:6144
	ds_read_b128 v[38:41], v174 offset:6160
	v_add_u32_e32 v175, 4, v175
	s_waitcnt lgkmcnt(1)
	v_dot4_i32_i8 v223, v49, v34, 0
	v_dot4_i32_i8 v223, v50, v35, v223
	;; [unrolled: 1-line block ×4, first 2 shown]
	s_waitcnt lgkmcnt(0)
	v_dot4_i32_i8 v223, v53, v38, 0
	v_dot4_i32_i8 v223, v204, v39, v223
	;; [unrolled: 1-line block ×28, first 2 shown]
	ds_read_b128 v[38:41], v174 offset:7168
	ds_read_b128 v[34:37], v174 offset:7184
	v_add_u32_e32 v174, 32, v174
	s_waitcnt lgkmcnt(1)
	v_dot4_i32_i8 v49, v49, v38, 0
	v_dot4_i32_i8 v49, v50, v39, v49
	;; [unrolled: 1-line block ×4, first 2 shown]
	s_waitcnt lgkmcnt(0)
	v_dot4_i32_i8 v50, v53, v34, 0
	v_mul_lo_u32 v51, v49, v228
	v_mul_lo_u32 v49, v238, v227
	v_dot4_i32_i8 v50, v204, v35, v50
	v_mul_lo_u32 v52, v234, v227
	v_dot4_i32_i8 v50, v205, v36, v50
	;; [unrolled: 2-line block ×3, first 2 shown]
                                        ; kill: def $vgpr50 killed $sgpr0 killed $exec
	v_mul_f32_e32 v205, v176, v48
	v_mad_u64_u32 v[49:50], s[20:21], v237, v228, v[49:50]
	v_mad_u64_u32 v[50:51], s[20:21], v204, v227, v[51:52]
	;; [unrolled: 1-line block ×4, first 2 shown]
	v_cvt_f32_i32_e32 v49, v49
	v_mul_f32_e32 v53, v176, v46
	v_cvt_f32_i32_e32 v52, v52
	v_mul_f32_e32 v204, v176, v45
	v_mul_f32_e32 v176, v176, v47
	v_cvt_f32_i32_e32 v51, v51
	v_fma_f32 v17, v176, v49, v17
	v_fmac_f32_e32 v14, v53, v52
	v_dot4_i32_i8 v49, v177, v38, 0
	v_mul_lo_u32 v52, v232, v215
	v_cvt_f32_i32_e32 v50, v50
	v_dot4_i32_i8 v49, v178, v39, v49
	v_dot4_i32_i8 v49, v180, v40, v49
	v_fma_f32 v15, v204, v51, v15
	v_dot4_i32_i8 v51, v182, v41, v49
                                        ; kill: def $vgpr53 killed $sgpr0 killed $exec
	v_dot4_i32_i8 v49, v185, v34, 0
	v_mul_lo_u32 v51, v51, v216
	v_mad_u64_u32 v[52:53], s[20:21], v231, v216, v[52:53]
	v_fma_f32 v16, v205, v50, v16
	v_dot4_i32_i8 v49, v188, v35, v49
	v_mul_lo_u32 v50, v222, v215
	v_dot4_i32_i8 v49, v192, v36, v49
	v_dot4_i32_i8 v176, v195, v37, v49
	v_mad_u64_u32 v[176:177], s[20:21], v176, v215, v[51:52]
                                        ; kill: def $vgpr51 killed $sgpr0 killed $exec
	v_mul_lo_u32 v49, v226, v216
	v_mad_u64_u32 v[50:51], s[20:21], v221, v216, v[50:51]
	v_mul_f32_e32 v51, v179, v45
	v_cvt_f32_i32_e32 v176, v176
	v_mad_u64_u32 v[177:178], s[20:21], v225, v215, v[49:50]
	v_mul_f32_e32 v49, v179, v46
	v_cvt_f32_i32_e32 v50, v50
	v_cvt_f32_i32_e32 v177, v177
	v_cvt_f32_i32_e32 v52, v52
	v_mul_f32_e32 v53, v179, v48
	v_fma_f32 v11, v51, v50, v11
	v_fmac_f32_e32 v10, v49, v177
	v_dot4_i32_i8 v49, v181, v38, 0
	v_dot4_i32_i8 v49, v183, v39, v49
	;; [unrolled: 1-line block ×8, first 2 shown]
	v_mul_f32_e32 v178, v179, v47
	v_dot4_i32_i8 v49, v198, v36, v49
	v_dot4_i32_i8 v38, v187, v38, 0
	;; [unrolled: 1-line block ×3, first 2 shown]
	v_fma_f32 v13, v178, v52, v13
	v_fma_f32 v12, v53, v176, v12
	v_dot4_i32_i8 v176, v200, v37, v49
	v_mul_lo_u32 v52, v230, v209
	v_dot4_i32_i8 v38, v190, v39, v38
	v_dot4_i32_i8 v39, v203, v37, v34
	v_mul_lo_u32 v37, v224, v207
	v_dot4_i32_i8 v38, v194, v40, v38
	v_dot4_i32_i8 v38, v197, v41, v38
                                        ; kill: def $vgpr53 killed $sgpr0 killed $exec
	v_mul_lo_u32 v36, v38, v208
                                        ; kill: def $vgpr38 killed $sgpr0 killed $exec
	v_mul_lo_u32 v51, v51, v210
	v_mad_u64_u32 v[52:53], s[20:21], v229, v210, v[52:53]
	v_mad_u64_u32 v[37:38], s[20:21], v223, v208, v[37:38]
	v_mul_lo_u32 v50, v218, v209
	v_mul_lo_u32 v35, v212, v207
	v_mad_u64_u32 v[176:177], s[20:21], v176, v209, v[51:52]
                                        ; kill: def $vgpr51 killed $sgpr0 killed $exec
	v_mad_u64_u32 v[38:39], s[20:21], v39, v207, v[36:37]
                                        ; kill: def $vgpr36 killed $sgpr0 killed $exec
	v_mul_lo_u32 v49, v220, v210
	v_mad_u64_u32 v[50:51], s[20:21], v217, v210, v[50:51]
	v_mul_lo_u32 v34, v214, v208
	v_mad_u64_u32 v[35:36], s[20:21], v211, v208, v[35:36]
	v_mad_u64_u32 v[177:178], s[20:21], v219, v209, v[49:50]
	;; [unrolled: 1-line block ×3, first 2 shown]
	v_cvt_f32_i32_e32 v177, v177
	v_cvt_f32_i32_e32 v50, v50
	;; [unrolled: 1-line block ×8, first 2 shown]
	v_mul_f32_e32 v49, v184, v46
	v_mul_f32_e32 v51, v184, v45
	;; [unrolled: 1-line block ×8, first 2 shown]
	v_fma_f32 v9, v178, v52, v9
	v_fma_f32 v8, v53, v176, v8
	;; [unrolled: 1-line block ×3, first 2 shown]
	v_fmac_f32_e32 v6, v49, v177
	v_fma_f32 v5, v41, v37, v5
	v_fma_f32 v4, v40, v38, v4
	;; [unrolled: 1-line block ×3, first 2 shown]
	v_fmac_f32_e32 v2, v34, v39
	s_mov_b32 s20, s19
	s_cbranch_scc1 .LBB169_12
; %bb.13:                               ;   in Loop: Header=BB169_6 Depth=1
	v_add_u32_e32 v53, s16, v132
	v_add_u32_e32 v51, 12, v173
	;; [unrolled: 1-line block ×3, first 2 shown]
	v_mad_u64_u32 v[51:52], s[16:17], v51, 36, s[2:3]
	v_mad_i64_i32 v[34:35], s[16:17], v34, 36, v[43:44]
	v_add_u32_e32 v36, v53, v115
	v_mad_i64_i32 v[36:37], s[16:17], v36, 36, v[43:44]
	v_add_u32_e32 v38, v53, v116
	v_add_u32_e32 v40, v53, v117
	v_mad_i64_i32 v[38:39], s[16:17], v38, 36, v[43:44]
	v_mad_i64_i32 v[40:41], s[16:17], v40, 36, v[43:44]
	v_add_u32_e32 v45, v53, v118
	v_add_u32_e32 v47, v53, v119
	;; [unrolled: 1-line block ×4, first 2 shown]
	s_barrier
	v_mad_i64_i32 v[45:46], s[16:17], v45, 36, v[43:44]
	v_mad_i64_i32 v[47:48], s[16:17], v47, 36, v[43:44]
	;; [unrolled: 1-line block ×4, first 2 shown]
	global_load_dword v51, v[51:52], off
	s_nop 0
	global_load_dword v34, v[34:35], off offset:4
	s_nop 0
	global_load_dword v35, v[36:37], off offset:4
	;; [unrolled: 2-line block ×3, first 2 shown]
	global_load_dword v37, v[40:41], off offset:4
	s_nop 0
	global_load_dword v38, v[45:46], off offset:4
	global_load_dword v39, v[47:48], off offset:4
	;; [unrolled: 1-line block ×4, first 2 shown]
	s_mov_b32 s16, 24
	s_mov_b32 s19, 22
	;; [unrolled: 1-line block ×3, first 2 shown]
	v_mov_b32_e32 v173, v142
	v_mov_b32_e32 v174, v141
	s_waitcnt vmcnt(8)
	v_cvt_f32_f16_e32 v45, v51
	s_waitcnt vmcnt(7)
	ds_write_b32 v155, v34
	s_waitcnt vmcnt(6)
	ds_write_b32 v156, v35
	;; [unrolled: 2-line block ×8, first 2 shown]
	ds_write_b32 v113, v45
	s_waitcnt lgkmcnt(0)
	s_barrier
.LBB169_14:                             ;   Parent Loop BB169_6 Depth=1
                                        ; =>  This Inner Loop Header: Depth=2
	s_add_i32 s18, s19, 2
	s_lshr_b32 s23, s18, 4
	s_and_b32 s21, s18, 0x3ffffff8
	v_lshl_add_u32 v202, s21, 2, v122
	s_lshl_b32 s21, s23, 5
	s_addk_i32 s21, 0x4200
	v_add3_u32 v177, s21, v170, v123
	ds_read2_b32 v[45:46], v174 offset1:32
	ds_read_b128 v[38:41], v173
	ds_read_b128 v[34:37], v173 offset:16
	ds_read2_b32 v[49:50], v177 offset1:1
	ds_read2_b32 v[47:48], v202 offset1:1
	v_add3_u32 v196, s21, v166, v126
	s_sub_i32 s20, s19, 22
	ds_read2_b32 v[197:198], v196 offset0:6 offset1:7
	s_waitcnt lgkmcnt(2)
	v_ashrrev_i32_e32 v49, s17, v49
	s_waitcnt lgkmcnt(1)
	v_ashrrev_i32_e32 v47, s20, v47
	v_lshlrev_b32_e32 v49, 2, v49
	v_and_b32_e32 v51, 0x3030303, v47
	v_bfe_u32 v47, v47, 24, 2
	v_and_b32_e32 v49, 0x4040404, v49
	v_sub_u16_e32 v52, v51, v49
	v_sub_u16_sdwa v53, v51, v49 dst_sel:BYTE_1 dst_unused:UNUSED_PAD src0_sel:BYTE_1 src1_sel:BYTE_1
	v_sub_u16_sdwa v47, v47, v49 dst_sel:BYTE_1 dst_unused:UNUSED_PAD src0_sel:DWORD src1_sel:BYTE_3
	v_sub_u16_sdwa v49, v51, v49 dst_sel:DWORD dst_unused:UNUSED_PAD src0_sel:WORD_1 src1_sel:WORD_1
	v_or_b32_sdwa v52, v52, v53 dst_sel:DWORD dst_unused:UNUSED_PAD src0_sel:BYTE_0 src1_sel:DWORD
	v_or_b32_sdwa v47, v49, v47 dst_sel:WORD_1 dst_unused:UNUSED_PAD src0_sel:BYTE_0 src1_sel:DWORD
	v_ashrrev_i32_e32 v50, s17, v50
	v_or_b32_sdwa v49, v52, v47 dst_sel:DWORD dst_unused:UNUSED_PAD src0_sel:WORD_0 src1_sel:DWORD
	v_ashrrev_i32_e32 v47, s20, v48
	v_lshlrev_b32_e32 v50, 2, v50
	v_and_b32_e32 v48, 0x3030303, v47
	v_bfe_u32 v47, v47, 24, 2
	v_and_b32_e32 v50, 0x4040404, v50
	v_sub_u16_e32 v51, v48, v50
	v_sub_u16_sdwa v52, v48, v50 dst_sel:BYTE_1 dst_unused:UNUSED_PAD src0_sel:BYTE_1 src1_sel:BYTE_1
	v_sub_u16_sdwa v47, v47, v50 dst_sel:BYTE_1 dst_unused:UNUSED_PAD src0_sel:DWORD src1_sel:BYTE_3
	v_sub_u16_sdwa v48, v48, v50 dst_sel:DWORD dst_unused:UNUSED_PAD src0_sel:WORD_1 src1_sel:WORD_1
	v_or_b32_sdwa v51, v51, v52 dst_sel:DWORD dst_unused:UNUSED_PAD src0_sel:BYTE_0 src1_sel:DWORD
	v_or_b32_sdwa v47, v48, v47 dst_sel:WORD_1 dst_unused:UNUSED_PAD src0_sel:BYTE_0 src1_sel:DWORD
	v_or_b32_sdwa v50, v51, v47 dst_sel:DWORD dst_unused:UNUSED_PAD src0_sel:WORD_0 src1_sel:DWORD
	ds_read2_b32 v[47:48], v202 offset0:2 offset1:3
	ds_read2_b32 v[51:52], v177 offset0:2 offset1:3
	s_and_b32 s22, s16, -16
	s_add_i32 s19, s19, s22
	s_lshl_b32 s22, s23, 2
	s_waitcnt lgkmcnt(1)
	v_ashrrev_i32_e32 v47, s20, v47
	s_waitcnt lgkmcnt(0)
	v_ashrrev_i32_e32 v51, s17, v51
	v_lshlrev_b32_e32 v51, 2, v51
	v_and_b32_e32 v53, 0x3030303, v47
	v_bfe_u32 v47, v47, 24, 2
	v_and_b32_e32 v51, 0x4040404, v51
	v_sub_u16_e32 v175, v53, v51
	v_sub_u16_sdwa v176, v53, v51 dst_sel:BYTE_1 dst_unused:UNUSED_PAD src0_sel:BYTE_1 src1_sel:BYTE_1
	v_sub_u16_sdwa v47, v47, v51 dst_sel:BYTE_1 dst_unused:UNUSED_PAD src0_sel:DWORD src1_sel:BYTE_3
	v_sub_u16_sdwa v51, v53, v51 dst_sel:DWORD dst_unused:UNUSED_PAD src0_sel:WORD_1 src1_sel:WORD_1
	v_or_b32_sdwa v175, v175, v176 dst_sel:DWORD dst_unused:UNUSED_PAD src0_sel:BYTE_0 src1_sel:DWORD
	v_or_b32_sdwa v47, v51, v47 dst_sel:WORD_1 dst_unused:UNUSED_PAD src0_sel:BYTE_0 src1_sel:DWORD
	v_ashrrev_i32_e32 v52, s17, v52
	v_or_b32_sdwa v51, v175, v47 dst_sel:DWORD dst_unused:UNUSED_PAD src0_sel:WORD_0 src1_sel:DWORD
	v_ashrrev_i32_e32 v47, s20, v48
	v_lshlrev_b32_e32 v52, 2, v52
	v_and_b32_e32 v48, 0x3030303, v47
	v_bfe_u32 v47, v47, 24, 2
	v_and_b32_e32 v52, 0x4040404, v52
	v_sub_u16_e32 v53, v48, v52
	v_sub_u16_sdwa v175, v48, v52 dst_sel:BYTE_1 dst_unused:UNUSED_PAD src0_sel:BYTE_1 src1_sel:BYTE_1
	v_sub_u16_sdwa v47, v47, v52 dst_sel:BYTE_1 dst_unused:UNUSED_PAD src0_sel:DWORD src1_sel:BYTE_3
	v_sub_u16_sdwa v48, v48, v52 dst_sel:DWORD dst_unused:UNUSED_PAD src0_sel:WORD_1 src1_sel:WORD_1
	v_or_b32_sdwa v53, v53, v175 dst_sel:DWORD dst_unused:UNUSED_PAD src0_sel:BYTE_0 src1_sel:DWORD
	v_or_b32_sdwa v47, v48, v47 dst_sel:WORD_1 dst_unused:UNUSED_PAD src0_sel:BYTE_0 src1_sel:DWORD
	v_or_b32_sdwa v52, v53, v47 dst_sel:DWORD dst_unused:UNUSED_PAD src0_sel:WORD_0 src1_sel:DWORD
	ds_read2_b32 v[47:48], v202 offset0:4 offset1:5
	ds_read2_b32 v[175:176], v177 offset0:4 offset1:5
	s_add_i32 s22, s22, 0x9380
	v_add3_u32 v186, s21, v164, v124
	v_add3_u32 v215, s21, v168, v128
	s_waitcnt lgkmcnt(1)
	v_ashrrev_i32_e32 v47, s20, v47
	s_waitcnt lgkmcnt(0)
	v_ashrrev_i32_e32 v175, s17, v175
	v_lshlrev_b32_e32 v175, 2, v175
	v_and_b32_e32 v53, 0x3030303, v47
	v_bfe_u32 v47, v47, 24, 2
	v_and_b32_e32 v175, 0x4040404, v175
	v_sub_u16_e32 v178, v53, v175
	v_sub_u16_sdwa v179, v53, v175 dst_sel:BYTE_1 dst_unused:UNUSED_PAD src0_sel:BYTE_1 src1_sel:BYTE_1
	v_sub_u16_sdwa v47, v47, v175 dst_sel:BYTE_1 dst_unused:UNUSED_PAD src0_sel:DWORD src1_sel:BYTE_3
	v_sub_u16_sdwa v53, v53, v175 dst_sel:DWORD dst_unused:UNUSED_PAD src0_sel:WORD_1 src1_sel:WORD_1
	v_or_b32_sdwa v178, v178, v179 dst_sel:DWORD dst_unused:UNUSED_PAD src0_sel:BYTE_0 src1_sel:DWORD
	v_or_b32_sdwa v47, v53, v47 dst_sel:WORD_1 dst_unused:UNUSED_PAD src0_sel:BYTE_0 src1_sel:DWORD
	v_ashrrev_i32_e32 v175, s17, v176
	v_or_b32_sdwa v53, v178, v47 dst_sel:DWORD dst_unused:UNUSED_PAD src0_sel:WORD_0 src1_sel:DWORD
	v_ashrrev_i32_e32 v47, s20, v48
	v_lshlrev_b32_e32 v175, 2, v175
	v_and_b32_e32 v48, 0x3030303, v47
	v_bfe_u32 v47, v47, 24, 2
	v_and_b32_e32 v175, 0x4040404, v175
	v_sub_u16_e32 v176, v48, v175
	v_sub_u16_sdwa v178, v48, v175 dst_sel:BYTE_1 dst_unused:UNUSED_PAD src0_sel:BYTE_1 src1_sel:BYTE_1
	v_sub_u16_sdwa v47, v47, v175 dst_sel:BYTE_1 dst_unused:UNUSED_PAD src0_sel:DWORD src1_sel:BYTE_3
	v_sub_u16_sdwa v48, v48, v175 dst_sel:DWORD dst_unused:UNUSED_PAD src0_sel:WORD_1 src1_sel:WORD_1
	v_or_b32_sdwa v176, v176, v178 dst_sel:DWORD dst_unused:UNUSED_PAD src0_sel:BYTE_0 src1_sel:DWORD
	v_or_b32_sdwa v47, v48, v47 dst_sel:WORD_1 dst_unused:UNUSED_PAD src0_sel:BYTE_0 src1_sel:DWORD
	v_or_b32_sdwa v203, v176, v47 dst_sel:DWORD dst_unused:UNUSED_PAD src0_sel:WORD_0 src1_sel:DWORD
	ds_read2_b32 v[47:48], v202 offset0:6 offset1:7
	ds_read2_b32 v[175:176], v177 offset0:6 offset1:7
	;; [unrolled: 1-line block ×3, first 2 shown]
	v_add_u32_e32 v208, s19, v135
	v_add_u32_e32 v211, s19, v137
	s_waitcnt lgkmcnt(2)
	v_ashrrev_i32_e32 v47, s20, v47
	s_waitcnt lgkmcnt(1)
	v_ashrrev_i32_e32 v175, s17, v175
	v_lshlrev_b32_e32 v175, 2, v175
	v_and_b32_e32 v178, 0x3030303, v47
	v_bfe_u32 v47, v47, 24, 2
	v_and_b32_e32 v175, 0x4040404, v175
	v_sub_u16_e32 v177, v178, v175
	v_sub_u16_sdwa v179, v178, v175 dst_sel:BYTE_1 dst_unused:UNUSED_PAD src0_sel:BYTE_1 src1_sel:BYTE_1
	v_sub_u16_sdwa v47, v47, v175 dst_sel:BYTE_1 dst_unused:UNUSED_PAD src0_sel:DWORD src1_sel:BYTE_3
	v_sub_u16_sdwa v175, v178, v175 dst_sel:DWORD dst_unused:UNUSED_PAD src0_sel:WORD_1 src1_sel:WORD_1
	v_or_b32_sdwa v177, v177, v179 dst_sel:DWORD dst_unused:UNUSED_PAD src0_sel:BYTE_0 src1_sel:DWORD
	v_or_b32_sdwa v47, v175, v47 dst_sel:WORD_1 dst_unused:UNUSED_PAD src0_sel:BYTE_0 src1_sel:DWORD
	v_ashrrev_i32_e32 v175, s17, v176
	v_or_b32_sdwa v204, v177, v47 dst_sel:DWORD dst_unused:UNUSED_PAD src0_sel:WORD_0 src1_sel:DWORD
	v_ashrrev_i32_e32 v47, s20, v48
	v_lshlrev_b32_e32 v175, 2, v175
	v_and_b32_e32 v48, 0x3030303, v47
	v_bfe_u32 v47, v47, 24, 2
	v_and_b32_e32 v175, 0x4040404, v175
	v_sub_u16_e32 v176, v48, v175
	v_sub_u16_sdwa v177, v48, v175 dst_sel:BYTE_1 dst_unused:UNUSED_PAD src0_sel:BYTE_1 src1_sel:BYTE_1
	v_sub_u16_sdwa v47, v47, v175 dst_sel:BYTE_1 dst_unused:UNUSED_PAD src0_sel:DWORD src1_sel:BYTE_3
	v_sub_u16_sdwa v48, v48, v175 dst_sel:DWORD dst_unused:UNUSED_PAD src0_sel:WORD_1 src1_sel:WORD_1
	v_or_b32_sdwa v176, v176, v177 dst_sel:DWORD dst_unused:UNUSED_PAD src0_sel:BYTE_0 src1_sel:DWORD
	v_or_b32_sdwa v47, v48, v47 dst_sel:WORD_1 dst_unused:UNUSED_PAD src0_sel:BYTE_0 src1_sel:DWORD
	v_or_b32_sdwa v205, v176, v47 dst_sel:DWORD dst_unused:UNUSED_PAD src0_sel:WORD_0 src1_sel:DWORD
	v_dot4_i32_i8 v176, v53, v34, 0
	v_dot4_i32_i8 v176, v203, v35, v176
	;; [unrolled: 1-line block ×3, first 2 shown]
	v_add3_u32 v47, s22, v171, v172
	v_dot4_i32_i8 v206, v205, v37, v176
	v_add_u32_e32 v176, 0x1080, v202
	ds_read_b32 v175, v47
	ds_read2_b32 v[176:177], v176 offset1:1
	ds_read2_b32 v[178:179], v186 offset1:1
	v_dot4_i32_i8 v47, v49, v38, 0
	v_dot4_i32_i8 v47, v50, v39, v47
	;; [unrolled: 1-line block ×3, first 2 shown]
	s_waitcnt lgkmcnt(1)
	v_ashrrev_i32_e32 v176, s20, v176
	s_waitcnt lgkmcnt(0)
	v_ashrrev_i32_e32 v178, s17, v178
	v_lshlrev_b32_e32 v178, 2, v178
	v_and_b32_e32 v180, 0x3030303, v176
	v_bfe_u32 v176, v176, 24, 2
	v_and_b32_e32 v178, 0x4040404, v178
	v_ashrrev_i32_e32 v179, s17, v179
	v_sub_u16_e32 v181, v180, v178
	v_sub_u16_sdwa v182, v180, v178 dst_sel:BYTE_1 dst_unused:UNUSED_PAD src0_sel:BYTE_1 src1_sel:BYTE_1
	v_sub_u16_sdwa v176, v176, v178 dst_sel:BYTE_1 dst_unused:UNUSED_PAD src0_sel:DWORD src1_sel:BYTE_3
	v_sub_u16_sdwa v178, v180, v178 dst_sel:DWORD dst_unused:UNUSED_PAD src0_sel:WORD_1 src1_sel:WORD_1
	v_ashrrev_i32_e32 v177, s20, v177
	v_lshlrev_b32_e32 v179, 2, v179
	v_or_b32_sdwa v181, v181, v182 dst_sel:DWORD dst_unused:UNUSED_PAD src0_sel:BYTE_0 src1_sel:DWORD
	v_or_b32_sdwa v176, v178, v176 dst_sel:WORD_1 dst_unused:UNUSED_PAD src0_sel:BYTE_0 src1_sel:DWORD
	v_and_b32_e32 v178, 0x3030303, v177
	v_bfe_u32 v177, v177, 24, 2
	v_and_b32_e32 v179, 0x4040404, v179
	v_or_b32_sdwa v176, v181, v176 dst_sel:DWORD dst_unused:UNUSED_PAD src0_sel:WORD_0 src1_sel:DWORD
	v_sub_u16_e32 v180, v178, v179
	v_sub_u16_sdwa v181, v178, v179 dst_sel:BYTE_1 dst_unused:UNUSED_PAD src0_sel:BYTE_1 src1_sel:BYTE_1
	v_sub_u16_sdwa v177, v177, v179 dst_sel:BYTE_1 dst_unused:UNUSED_PAD src0_sel:DWORD src1_sel:BYTE_3
	v_sub_u16_sdwa v178, v178, v179 dst_sel:DWORD dst_unused:UNUSED_PAD src0_sel:WORD_1 src1_sel:WORD_1
	v_or_b32_sdwa v180, v180, v181 dst_sel:DWORD dst_unused:UNUSED_PAD src0_sel:BYTE_0 src1_sel:DWORD
	v_or_b32_sdwa v177, v178, v177 dst_sel:WORD_1 dst_unused:UNUSED_PAD src0_sel:BYTE_0 src1_sel:DWORD
	v_add_u32_e32 v178, 0x1088, v202
	v_or_b32_sdwa v177, v180, v177 dst_sel:DWORD dst_unused:UNUSED_PAD src0_sel:WORD_0 src1_sel:DWORD
	ds_read2_b32 v[179:180], v178 offset1:1
	ds_read2_b32 v[181:182], v186 offset0:2 offset1:3
	ds_read2_b32 v[200:201], v215 offset1:1
	v_dot4_i32_i8 v47, v52, v41, v47
	v_add_u32_e32 v48, s19, v133
	s_waitcnt lgkmcnt(2)
	v_ashrrev_i32_e32 v178, s20, v179
	s_waitcnt lgkmcnt(1)
	v_ashrrev_i32_e32 v181, s17, v181
	v_lshlrev_b32_e32 v181, 2, v181
	v_and_b32_e32 v179, 0x3030303, v178
	v_bfe_u32 v178, v178, 24, 2
	v_and_b32_e32 v181, 0x4040404, v181
	v_sub_u16_e32 v183, v179, v181
	v_sub_u16_sdwa v184, v179, v181 dst_sel:BYTE_1 dst_unused:UNUSED_PAD src0_sel:BYTE_1 src1_sel:BYTE_1
	v_sub_u16_sdwa v178, v178, v181 dst_sel:BYTE_1 dst_unused:UNUSED_PAD src0_sel:DWORD src1_sel:BYTE_3
	v_sub_u16_sdwa v179, v179, v181 dst_sel:DWORD dst_unused:UNUSED_PAD src0_sel:WORD_1 src1_sel:WORD_1
	v_or_b32_sdwa v183, v183, v184 dst_sel:DWORD dst_unused:UNUSED_PAD src0_sel:BYTE_0 src1_sel:DWORD
	v_or_b32_sdwa v178, v179, v178 dst_sel:WORD_1 dst_unused:UNUSED_PAD src0_sel:BYTE_0 src1_sel:DWORD
	v_ashrrev_i32_e32 v181, s17, v182
	v_or_b32_sdwa v179, v183, v178 dst_sel:DWORD dst_unused:UNUSED_PAD src0_sel:WORD_0 src1_sel:DWORD
	v_ashrrev_i32_e32 v178, s20, v180
	v_lshlrev_b32_e32 v181, 2, v181
	v_and_b32_e32 v180, 0x3030303, v178
	v_bfe_u32 v178, v178, 24, 2
	v_and_b32_e32 v181, 0x4040404, v181
	v_sub_u16_e32 v182, v180, v181
	v_sub_u16_sdwa v183, v180, v181 dst_sel:BYTE_1 dst_unused:UNUSED_PAD src0_sel:BYTE_1 src1_sel:BYTE_1
	v_sub_u16_sdwa v178, v178, v181 dst_sel:BYTE_1 dst_unused:UNUSED_PAD src0_sel:DWORD src1_sel:BYTE_3
	v_sub_u16_sdwa v180, v180, v181 dst_sel:DWORD dst_unused:UNUSED_PAD src0_sel:WORD_1 src1_sel:WORD_1
	v_or_b32_sdwa v182, v182, v183 dst_sel:DWORD dst_unused:UNUSED_PAD src0_sel:BYTE_0 src1_sel:DWORD
	v_or_b32_sdwa v178, v180, v178 dst_sel:WORD_1 dst_unused:UNUSED_PAD src0_sel:BYTE_0 src1_sel:DWORD
	v_or_b32_sdwa v181, v182, v178 dst_sel:DWORD dst_unused:UNUSED_PAD src0_sel:WORD_0 src1_sel:DWORD
	v_add_u32_e32 v178, 0x1090, v202
	ds_read2_b32 v[182:183], v178 offset1:1
	ds_read2_b32 v[184:185], v186 offset0:4 offset1:5
	s_add_i32 s16, s16, 2
	s_waitcnt lgkmcnt(1)
	v_ashrrev_i32_e32 v178, s20, v182
	s_waitcnt lgkmcnt(0)
	v_ashrrev_i32_e32 v182, s17, v184
	v_lshlrev_b32_e32 v182, 2, v182
	v_and_b32_e32 v180, 0x3030303, v178
	v_bfe_u32 v178, v178, 24, 2
	v_and_b32_e32 v182, 0x4040404, v182
	v_sub_u16_e32 v184, v180, v182
	v_sub_u16_sdwa v187, v180, v182 dst_sel:BYTE_1 dst_unused:UNUSED_PAD src0_sel:BYTE_1 src1_sel:BYTE_1
	v_sub_u16_sdwa v178, v178, v182 dst_sel:BYTE_1 dst_unused:UNUSED_PAD src0_sel:DWORD src1_sel:BYTE_3
	v_sub_u16_sdwa v180, v180, v182 dst_sel:DWORD dst_unused:UNUSED_PAD src0_sel:WORD_1 src1_sel:WORD_1
	v_or_b32_sdwa v184, v184, v187 dst_sel:DWORD dst_unused:UNUSED_PAD src0_sel:BYTE_0 src1_sel:DWORD
	v_or_b32_sdwa v178, v180, v178 dst_sel:WORD_1 dst_unused:UNUSED_PAD src0_sel:BYTE_0 src1_sel:DWORD
	v_ashrrev_i32_e32 v182, s17, v185
	v_or_b32_sdwa v184, v184, v178 dst_sel:DWORD dst_unused:UNUSED_PAD src0_sel:WORD_0 src1_sel:DWORD
	v_ashrrev_i32_e32 v178, s20, v183
	v_lshlrev_b32_e32 v182, 2, v182
	v_and_b32_e32 v180, 0x3030303, v178
	v_bfe_u32 v178, v178, 24, 2
	v_and_b32_e32 v182, 0x4040404, v182
	v_sub_u16_e32 v183, v180, v182
	v_sub_u16_sdwa v185, v180, v182 dst_sel:BYTE_1 dst_unused:UNUSED_PAD src0_sel:BYTE_1 src1_sel:BYTE_1
	v_sub_u16_sdwa v178, v178, v182 dst_sel:BYTE_1 dst_unused:UNUSED_PAD src0_sel:DWORD src1_sel:BYTE_3
	v_sub_u16_sdwa v180, v180, v182 dst_sel:DWORD dst_unused:UNUSED_PAD src0_sel:WORD_1 src1_sel:WORD_1
	v_or_b32_sdwa v183, v183, v185 dst_sel:DWORD dst_unused:UNUSED_PAD src0_sel:BYTE_0 src1_sel:DWORD
	v_or_b32_sdwa v178, v180, v178 dst_sel:WORD_1 dst_unused:UNUSED_PAD src0_sel:BYTE_0 src1_sel:DWORD
	v_or_b32_sdwa v187, v183, v178 dst_sel:DWORD dst_unused:UNUSED_PAD src0_sel:WORD_0 src1_sel:DWORD
	v_add_u32_e32 v178, 0x1098, v202
	ds_read2_b32 v[182:183], v178 offset1:1
	ds_read2_b32 v[185:186], v186 offset0:6 offset1:7
	s_waitcnt lgkmcnt(1)
	v_ashrrev_i32_e32 v178, s20, v182
	s_waitcnt lgkmcnt(0)
	v_ashrrev_i32_e32 v182, s17, v185
	v_lshlrev_b32_e32 v182, 2, v182
	v_and_b32_e32 v180, 0x3030303, v178
	v_bfe_u32 v178, v178, 24, 2
	v_and_b32_e32 v182, 0x4040404, v182
	v_sub_u16_e32 v185, v180, v182
	v_sub_u16_sdwa v188, v180, v182 dst_sel:BYTE_1 dst_unused:UNUSED_PAD src0_sel:BYTE_1 src1_sel:BYTE_1
	v_sub_u16_sdwa v178, v178, v182 dst_sel:BYTE_1 dst_unused:UNUSED_PAD src0_sel:DWORD src1_sel:BYTE_3
	v_sub_u16_sdwa v180, v180, v182 dst_sel:DWORD dst_unused:UNUSED_PAD src0_sel:WORD_1 src1_sel:WORD_1
	v_or_b32_sdwa v185, v185, v188 dst_sel:DWORD dst_unused:UNUSED_PAD src0_sel:BYTE_0 src1_sel:DWORD
	v_or_b32_sdwa v178, v180, v178 dst_sel:WORD_1 dst_unused:UNUSED_PAD src0_sel:BYTE_0 src1_sel:DWORD
	v_ashrrev_i32_e32 v182, s17, v186
	v_or_b32_sdwa v191, v185, v178 dst_sel:DWORD dst_unused:UNUSED_PAD src0_sel:WORD_0 src1_sel:DWORD
	v_ashrrev_i32_e32 v178, s20, v183
	v_lshlrev_b32_e32 v182, 2, v182
	v_and_b32_e32 v180, 0x3030303, v178
	v_bfe_u32 v178, v178, 24, 2
	v_and_b32_e32 v182, 0x4040404, v182
	v_sub_u16_e32 v183, v180, v182
	v_sub_u16_sdwa v185, v180, v182 dst_sel:BYTE_1 dst_unused:UNUSED_PAD src0_sel:BYTE_1 src1_sel:BYTE_1
	v_sub_u16_sdwa v178, v178, v182 dst_sel:BYTE_1 dst_unused:UNUSED_PAD src0_sel:DWORD src1_sel:BYTE_3
	v_sub_u16_sdwa v180, v180, v182 dst_sel:DWORD dst_unused:UNUSED_PAD src0_sel:WORD_1 src1_sel:WORD_1
	v_or_b32_sdwa v178, v180, v178 dst_sel:WORD_1 dst_unused:UNUSED_PAD src0_sel:BYTE_0 src1_sel:DWORD
	v_dot4_i32_i8 v180, v176, v38, 0
	v_dot4_i32_i8 v180, v177, v39, v180
	;; [unrolled: 1-line block ×5, first 2 shown]
	v_or_b32_sdwa v183, v183, v185 dst_sel:DWORD dst_unused:UNUSED_PAD src0_sel:BYTE_0 src1_sel:DWORD
	v_dot4_i32_i8 v180, v187, v35, v180
	v_or_b32_sdwa v194, v183, v178 dst_sel:DWORD dst_unused:UNUSED_PAD src0_sel:WORD_0 src1_sel:DWORD
	v_dot4_i32_i8 v180, v191, v36, v180
	v_add3_u32 v178, s22, v165, v125
	v_dot4_i32_i8 v209, v194, v37, v180
	v_add_u32_e32 v180, 0x2100, v202
	ds_read_b32 v178, v178
	ds_read2_b32 v[182:183], v180 offset1:1
	ds_read2_b32 v[185:186], v196 offset1:1
	s_waitcnt lgkmcnt(1)
	v_ashrrev_i32_e32 v180, s20, v182
	s_waitcnt lgkmcnt(0)
	v_ashrrev_i32_e32 v185, s17, v185
	v_lshlrev_b32_e32 v185, 2, v185
	v_and_b32_e32 v182, 0x3030303, v180
	v_bfe_u32 v180, v180, 24, 2
	v_and_b32_e32 v185, 0x4040404, v185
	v_sub_u16_e32 v188, v182, v185
	v_sub_u16_sdwa v189, v182, v185 dst_sel:BYTE_1 dst_unused:UNUSED_PAD src0_sel:BYTE_1 src1_sel:BYTE_1
	v_sub_u16_sdwa v180, v180, v185 dst_sel:BYTE_1 dst_unused:UNUSED_PAD src0_sel:DWORD src1_sel:BYTE_3
	v_sub_u16_sdwa v182, v182, v185 dst_sel:DWORD dst_unused:UNUSED_PAD src0_sel:WORD_1 src1_sel:WORD_1
	v_ashrrev_i32_e32 v185, s17, v186
	v_or_b32_sdwa v180, v182, v180 dst_sel:WORD_1 dst_unused:UNUSED_PAD src0_sel:BYTE_0 src1_sel:DWORD
	v_ashrrev_i32_e32 v182, s20, v183
	v_lshlrev_b32_e32 v185, 2, v185
	v_or_b32_sdwa v188, v188, v189 dst_sel:DWORD dst_unused:UNUSED_PAD src0_sel:BYTE_0 src1_sel:DWORD
	v_and_b32_e32 v183, 0x3030303, v182
	v_bfe_u32 v182, v182, 24, 2
	v_and_b32_e32 v185, 0x4040404, v185
	v_or_b32_sdwa v180, v188, v180 dst_sel:DWORD dst_unused:UNUSED_PAD src0_sel:WORD_0 src1_sel:DWORD
	v_sub_u16_e32 v186, v183, v185
	v_sub_u16_sdwa v188, v183, v185 dst_sel:BYTE_1 dst_unused:UNUSED_PAD src0_sel:BYTE_1 src1_sel:BYTE_1
	v_sub_u16_sdwa v182, v182, v185 dst_sel:BYTE_1 dst_unused:UNUSED_PAD src0_sel:DWORD src1_sel:BYTE_3
	v_sub_u16_sdwa v183, v183, v185 dst_sel:DWORD dst_unused:UNUSED_PAD src0_sel:WORD_1 src1_sel:WORD_1
	v_or_b32_sdwa v186, v186, v188 dst_sel:DWORD dst_unused:UNUSED_PAD src0_sel:BYTE_0 src1_sel:DWORD
	v_or_b32_sdwa v182, v183, v182 dst_sel:WORD_1 dst_unused:UNUSED_PAD src0_sel:BYTE_0 src1_sel:DWORD
	v_add_u32_e32 v183, 0x2108, v202
	v_or_b32_sdwa v182, v186, v182 dst_sel:DWORD dst_unused:UNUSED_PAD src0_sel:WORD_0 src1_sel:DWORD
	ds_read2_b32 v[185:186], v183 offset1:1
	ds_read2_b32 v[188:189], v196 offset0:2 offset1:3
	s_waitcnt lgkmcnt(1)
	v_ashrrev_i32_e32 v183, s20, v185
	s_waitcnt lgkmcnt(0)
	v_ashrrev_i32_e32 v188, s17, v188
	v_lshlrev_b32_e32 v188, 2, v188
	v_and_b32_e32 v185, 0x3030303, v183
	v_bfe_u32 v183, v183, 24, 2
	v_and_b32_e32 v188, 0x4040404, v188
	v_sub_u16_e32 v190, v185, v188
	v_sub_u16_sdwa v192, v185, v188 dst_sel:BYTE_1 dst_unused:UNUSED_PAD src0_sel:BYTE_1 src1_sel:BYTE_1
	v_sub_u16_sdwa v183, v183, v188 dst_sel:BYTE_1 dst_unused:UNUSED_PAD src0_sel:DWORD src1_sel:BYTE_3
	v_sub_u16_sdwa v185, v185, v188 dst_sel:DWORD dst_unused:UNUSED_PAD src0_sel:WORD_1 src1_sel:WORD_1
	v_or_b32_sdwa v190, v190, v192 dst_sel:DWORD dst_unused:UNUSED_PAD src0_sel:BYTE_0 src1_sel:DWORD
	v_or_b32_sdwa v183, v185, v183 dst_sel:WORD_1 dst_unused:UNUSED_PAD src0_sel:BYTE_0 src1_sel:DWORD
	v_ashrrev_i32_e32 v188, s17, v189
	v_or_b32_sdwa v185, v190, v183 dst_sel:DWORD dst_unused:UNUSED_PAD src0_sel:WORD_0 src1_sel:DWORD
	v_ashrrev_i32_e32 v183, s20, v186
	v_lshlrev_b32_e32 v188, 2, v188
	v_and_b32_e32 v186, 0x3030303, v183
	v_bfe_u32 v183, v183, 24, 2
	v_and_b32_e32 v188, 0x4040404, v188
	v_sub_u16_e32 v189, v186, v188
	v_sub_u16_sdwa v190, v186, v188 dst_sel:BYTE_1 dst_unused:UNUSED_PAD src0_sel:BYTE_1 src1_sel:BYTE_1
	v_sub_u16_sdwa v183, v183, v188 dst_sel:BYTE_1 dst_unused:UNUSED_PAD src0_sel:DWORD src1_sel:BYTE_3
	v_sub_u16_sdwa v186, v186, v188 dst_sel:DWORD dst_unused:UNUSED_PAD src0_sel:WORD_1 src1_sel:WORD_1
	v_or_b32_sdwa v189, v189, v190 dst_sel:DWORD dst_unused:UNUSED_PAD src0_sel:BYTE_0 src1_sel:DWORD
	v_or_b32_sdwa v183, v186, v183 dst_sel:WORD_1 dst_unused:UNUSED_PAD src0_sel:BYTE_0 src1_sel:DWORD
	v_or_b32_sdwa v188, v189, v183 dst_sel:DWORD dst_unused:UNUSED_PAD src0_sel:WORD_0 src1_sel:DWORD
	v_add_u32_e32 v183, 0x2110, v202
	ds_read2_b32 v[189:190], v183 offset1:1
	ds_read2_b32 v[192:193], v196 offset0:4 offset1:5
	s_waitcnt lgkmcnt(1)
	v_ashrrev_i32_e32 v183, s20, v189
	s_waitcnt lgkmcnt(0)
	v_ashrrev_i32_e32 v189, s17, v192
	v_lshlrev_b32_e32 v189, 2, v189
	v_and_b32_e32 v186, 0x3030303, v183
	v_bfe_u32 v183, v183, 24, 2
	v_and_b32_e32 v189, 0x4040404, v189
	v_sub_u16_e32 v192, v186, v189
	v_sub_u16_sdwa v195, v186, v189 dst_sel:BYTE_1 dst_unused:UNUSED_PAD src0_sel:BYTE_1 src1_sel:BYTE_1
	v_sub_u16_sdwa v183, v183, v189 dst_sel:BYTE_1 dst_unused:UNUSED_PAD src0_sel:DWORD src1_sel:BYTE_3
	v_sub_u16_sdwa v186, v186, v189 dst_sel:DWORD dst_unused:UNUSED_PAD src0_sel:WORD_1 src1_sel:WORD_1
	v_or_b32_sdwa v192, v192, v195 dst_sel:DWORD dst_unused:UNUSED_PAD src0_sel:BYTE_0 src1_sel:DWORD
	v_or_b32_sdwa v183, v186, v183 dst_sel:WORD_1 dst_unused:UNUSED_PAD src0_sel:BYTE_0 src1_sel:DWORD
	v_ashrrev_i32_e32 v189, s17, v193
	v_or_b32_sdwa v192, v192, v183 dst_sel:DWORD dst_unused:UNUSED_PAD src0_sel:WORD_0 src1_sel:DWORD
	v_ashrrev_i32_e32 v183, s20, v190
	v_lshlrev_b32_e32 v189, 2, v189
	v_and_b32_e32 v186, 0x3030303, v183
	v_bfe_u32 v183, v183, 24, 2
	v_and_b32_e32 v189, 0x4040404, v189
	v_sub_u16_e32 v190, v186, v189
	v_sub_u16_sdwa v193, v186, v189 dst_sel:BYTE_1 dst_unused:UNUSED_PAD src0_sel:BYTE_1 src1_sel:BYTE_1
	v_sub_u16_sdwa v183, v183, v189 dst_sel:BYTE_1 dst_unused:UNUSED_PAD src0_sel:DWORD src1_sel:BYTE_3
	v_sub_u16_sdwa v186, v186, v189 dst_sel:DWORD dst_unused:UNUSED_PAD src0_sel:WORD_1 src1_sel:WORD_1
	v_or_b32_sdwa v190, v190, v193 dst_sel:DWORD dst_unused:UNUSED_PAD src0_sel:BYTE_0 src1_sel:DWORD
	v_or_b32_sdwa v183, v186, v183 dst_sel:WORD_1 dst_unused:UNUSED_PAD src0_sel:BYTE_0 src1_sel:DWORD
	v_or_b32_sdwa v195, v190, v183 dst_sel:DWORD dst_unused:UNUSED_PAD src0_sel:WORD_0 src1_sel:DWORD
	v_add_u32_e32 v183, 0x2118, v202
	ds_read2_b32 v[189:190], v183 offset1:1
	s_waitcnt lgkmcnt(0)
	v_ashrrev_i32_e32 v183, s20, v189
	v_ashrrev_i32_e32 v189, s17, v197
	v_lshlrev_b32_e32 v189, 2, v189
	v_and_b32_e32 v186, 0x3030303, v183
	v_bfe_u32 v183, v183, 24, 2
	v_and_b32_e32 v189, 0x4040404, v189
	v_sub_u16_e32 v193, v186, v189
	v_sub_u16_sdwa v196, v186, v189 dst_sel:BYTE_1 dst_unused:UNUSED_PAD src0_sel:BYTE_1 src1_sel:BYTE_1
	v_sub_u16_sdwa v183, v183, v189 dst_sel:BYTE_1 dst_unused:UNUSED_PAD src0_sel:DWORD src1_sel:BYTE_3
	v_sub_u16_sdwa v186, v186, v189 dst_sel:DWORD dst_unused:UNUSED_PAD src0_sel:WORD_1 src1_sel:WORD_1
	v_or_b32_sdwa v193, v193, v196 dst_sel:DWORD dst_unused:UNUSED_PAD src0_sel:BYTE_0 src1_sel:DWORD
	v_or_b32_sdwa v183, v186, v183 dst_sel:WORD_1 dst_unused:UNUSED_PAD src0_sel:BYTE_0 src1_sel:DWORD
	v_ashrrev_i32_e32 v189, s17, v198
	v_or_b32_sdwa v197, v193, v183 dst_sel:DWORD dst_unused:UNUSED_PAD src0_sel:WORD_0 src1_sel:DWORD
	v_ashrrev_i32_e32 v183, s20, v190
	v_lshlrev_b32_e32 v189, 2, v189
	v_and_b32_e32 v186, 0x3030303, v183
	v_bfe_u32 v183, v183, 24, 2
	v_and_b32_e32 v189, 0x4040404, v189
	v_sub_u16_e32 v190, v186, v189
	v_sub_u16_sdwa v193, v186, v189 dst_sel:BYTE_1 dst_unused:UNUSED_PAD src0_sel:BYTE_1 src1_sel:BYTE_1
	v_sub_u16_sdwa v183, v183, v189 dst_sel:BYTE_1 dst_unused:UNUSED_PAD src0_sel:DWORD src1_sel:BYTE_3
	v_sub_u16_sdwa v186, v186, v189 dst_sel:DWORD dst_unused:UNUSED_PAD src0_sel:WORD_1 src1_sel:WORD_1
	v_or_b32_sdwa v183, v186, v183 dst_sel:WORD_1 dst_unused:UNUSED_PAD src0_sel:BYTE_0 src1_sel:DWORD
	v_dot4_i32_i8 v186, v180, v38, 0
	v_dot4_i32_i8 v186, v182, v39, v186
	;; [unrolled: 1-line block ×5, first 2 shown]
	v_or_b32_sdwa v190, v190, v193 dst_sel:DWORD dst_unused:UNUSED_PAD src0_sel:BYTE_0 src1_sel:DWORD
	v_dot4_i32_i8 v186, v195, v35, v186
	v_or_b32_sdwa v199, v190, v183 dst_sel:DWORD dst_unused:UNUSED_PAD src0_sel:WORD_0 src1_sel:DWORD
	v_dot4_i32_i8 v186, v197, v36, v186
	v_add3_u32 v183, s22, v167, v127
	v_dot4_i32_i8 v212, v199, v37, v186
	v_add_u32_e32 v186, 0x3180, v202
	ds_read_b32 v183, v183
	ds_read2_b32 v[189:190], v186 offset1:1
	v_ashrrev_i32_e32 v193, s17, v200
	v_lshlrev_b32_e32 v193, 2, v193
	v_and_b32_e32 v193, 0x4040404, v193
	s_waitcnt lgkmcnt(0)
	v_ashrrev_i32_e32 v186, s20, v189
	v_and_b32_e32 v189, 0x3030303, v186
	v_bfe_u32 v186, v186, 24, 2
	v_sub_u16_e32 v196, v189, v193
	v_sub_u16_sdwa v198, v189, v193 dst_sel:BYTE_1 dst_unused:UNUSED_PAD src0_sel:BYTE_1 src1_sel:BYTE_1
	v_sub_u16_sdwa v186, v186, v193 dst_sel:BYTE_1 dst_unused:UNUSED_PAD src0_sel:DWORD src1_sel:BYTE_3
	v_sub_u16_sdwa v189, v189, v193 dst_sel:DWORD dst_unused:UNUSED_PAD src0_sel:WORD_1 src1_sel:WORD_1
	v_ashrrev_i32_e32 v193, s17, v201
	v_or_b32_sdwa v186, v189, v186 dst_sel:WORD_1 dst_unused:UNUSED_PAD src0_sel:BYTE_0 src1_sel:DWORD
	v_ashrrev_i32_e32 v189, s20, v190
	v_lshlrev_b32_e32 v193, 2, v193
	v_or_b32_sdwa v196, v196, v198 dst_sel:DWORD dst_unused:UNUSED_PAD src0_sel:BYTE_0 src1_sel:DWORD
	v_and_b32_e32 v190, 0x3030303, v189
	v_bfe_u32 v189, v189, 24, 2
	v_and_b32_e32 v193, 0x4040404, v193
	v_or_b32_sdwa v186, v196, v186 dst_sel:DWORD dst_unused:UNUSED_PAD src0_sel:WORD_0 src1_sel:DWORD
	v_sub_u16_e32 v196, v190, v193
	v_sub_u16_sdwa v198, v190, v193 dst_sel:BYTE_1 dst_unused:UNUSED_PAD src0_sel:BYTE_1 src1_sel:BYTE_1
	v_sub_u16_sdwa v189, v189, v193 dst_sel:BYTE_1 dst_unused:UNUSED_PAD src0_sel:DWORD src1_sel:BYTE_3
	v_sub_u16_sdwa v190, v190, v193 dst_sel:DWORD dst_unused:UNUSED_PAD src0_sel:WORD_1 src1_sel:WORD_1
	v_or_b32_sdwa v189, v190, v189 dst_sel:WORD_1 dst_unused:UNUSED_PAD src0_sel:BYTE_0 src1_sel:DWORD
	v_add_u32_e32 v190, 0x3188, v202
	ds_read2_b32 v[200:201], v190 offset1:1
	v_or_b32_sdwa v196, v196, v198 dst_sel:DWORD dst_unused:UNUSED_PAD src0_sel:BYTE_0 src1_sel:DWORD
	v_or_b32_sdwa v189, v196, v189 dst_sel:DWORD dst_unused:UNUSED_PAD src0_sel:WORD_0 src1_sel:DWORD
	v_ashrrev_i32_e32 v196, s17, v213
	v_lshlrev_b32_e32 v196, 2, v196
	s_waitcnt lgkmcnt(0)
	v_ashrrev_i32_e32 v190, s20, v200
	v_and_b32_e32 v193, 0x3030303, v190
	v_bfe_u32 v190, v190, 24, 2
	v_and_b32_e32 v196, 0x4040404, v196
	v_sub_u16_e32 v198, v193, v196
	v_sub_u16_sdwa v200, v193, v196 dst_sel:BYTE_1 dst_unused:UNUSED_PAD src0_sel:BYTE_1 src1_sel:BYTE_1
	v_sub_u16_sdwa v190, v190, v196 dst_sel:BYTE_1 dst_unused:UNUSED_PAD src0_sel:DWORD src1_sel:BYTE_3
	v_sub_u16_sdwa v193, v193, v196 dst_sel:DWORD dst_unused:UNUSED_PAD src0_sel:WORD_1 src1_sel:WORD_1
	v_or_b32_sdwa v198, v198, v200 dst_sel:DWORD dst_unused:UNUSED_PAD src0_sel:BYTE_0 src1_sel:DWORD
	v_or_b32_sdwa v190, v193, v190 dst_sel:WORD_1 dst_unused:UNUSED_PAD src0_sel:BYTE_0 src1_sel:DWORD
	v_or_b32_sdwa v193, v198, v190 dst_sel:DWORD dst_unused:UNUSED_PAD src0_sel:WORD_0 src1_sel:DWORD
	v_ashrrev_i32_e32 v198, s17, v214
	v_ashrrev_i32_e32 v190, s20, v201
	v_lshlrev_b32_e32 v198, 2, v198
	v_and_b32_e32 v196, 0x3030303, v190
	v_bfe_u32 v190, v190, 24, 2
	v_and_b32_e32 v198, 0x4040404, v198
	v_sub_u16_e32 v200, v196, v198
	v_sub_u16_sdwa v201, v196, v198 dst_sel:BYTE_1 dst_unused:UNUSED_PAD src0_sel:BYTE_1 src1_sel:BYTE_1
	v_sub_u16_sdwa v190, v190, v198 dst_sel:BYTE_1 dst_unused:UNUSED_PAD src0_sel:DWORD src1_sel:BYTE_3
	v_sub_u16_sdwa v196, v196, v198 dst_sel:DWORD dst_unused:UNUSED_PAD src0_sel:WORD_1 src1_sel:WORD_1
	v_or_b32_sdwa v200, v200, v201 dst_sel:DWORD dst_unused:UNUSED_PAD src0_sel:BYTE_0 src1_sel:DWORD
	v_or_b32_sdwa v190, v196, v190 dst_sel:WORD_1 dst_unused:UNUSED_PAD src0_sel:BYTE_0 src1_sel:DWORD
	v_or_b32_sdwa v196, v200, v190 dst_sel:DWORD dst_unused:UNUSED_PAD src0_sel:WORD_0 src1_sel:DWORD
	v_add_u32_e32 v190, 0x3190, v202
	ds_read2_b32 v[200:201], v190 offset1:1
	ds_read2_b32 v[213:214], v215 offset0:4 offset1:5
	v_dot4_i32_i8 v38, v186, v38, 0
	v_dot4_i32_i8 v38, v189, v39, v38
	;; [unrolled: 1-line block ×3, first 2 shown]
	s_waitcnt lgkmcnt(1)
	v_ashrrev_i32_e32 v190, s20, v200
	s_waitcnt lgkmcnt(0)
	v_ashrrev_i32_e32 v200, s17, v213
	v_lshlrev_b32_e32 v200, 2, v200
	v_and_b32_e32 v198, 0x3030303, v190
	v_bfe_u32 v190, v190, 24, 2
	v_and_b32_e32 v200, 0x4040404, v200
	v_sub_u16_e32 v213, v198, v200
	v_sub_u16_sdwa v216, v198, v200 dst_sel:BYTE_1 dst_unused:UNUSED_PAD src0_sel:BYTE_1 src1_sel:BYTE_1
	v_sub_u16_sdwa v190, v190, v200 dst_sel:BYTE_1 dst_unused:UNUSED_PAD src0_sel:DWORD src1_sel:BYTE_3
	v_sub_u16_sdwa v198, v198, v200 dst_sel:DWORD dst_unused:UNUSED_PAD src0_sel:WORD_1 src1_sel:WORD_1
	v_or_b32_sdwa v213, v213, v216 dst_sel:DWORD dst_unused:UNUSED_PAD src0_sel:BYTE_0 src1_sel:DWORD
	v_or_b32_sdwa v190, v198, v190 dst_sel:WORD_1 dst_unused:UNUSED_PAD src0_sel:BYTE_0 src1_sel:DWORD
	v_or_b32_sdwa v198, v213, v190 dst_sel:DWORD dst_unused:UNUSED_PAD src0_sel:WORD_0 src1_sel:DWORD
	v_ashrrev_i32_e32 v190, s20, v201
	v_ashrrev_i32_e32 v201, s17, v214
	v_lshlrev_b32_e32 v201, 2, v201
	v_and_b32_e32 v200, 0x3030303, v190
	v_bfe_u32 v190, v190, 24, 2
	v_and_b32_e32 v201, 0x4040404, v201
	v_sub_u16_e32 v213, v200, v201
	v_sub_u16_sdwa v214, v200, v201 dst_sel:BYTE_1 dst_unused:UNUSED_PAD src0_sel:BYTE_1 src1_sel:BYTE_1
	v_sub_u16_sdwa v190, v190, v201 dst_sel:BYTE_1 dst_unused:UNUSED_PAD src0_sel:DWORD src1_sel:BYTE_3
	v_sub_u16_sdwa v200, v200, v201 dst_sel:DWORD dst_unused:UNUSED_PAD src0_sel:WORD_1 src1_sel:WORD_1
	v_or_b32_sdwa v213, v213, v214 dst_sel:DWORD dst_unused:UNUSED_PAD src0_sel:BYTE_0 src1_sel:DWORD
	v_or_b32_sdwa v190, v200, v190 dst_sel:WORD_1 dst_unused:UNUSED_PAD src0_sel:BYTE_0 src1_sel:DWORD
	v_or_b32_sdwa v200, v213, v190 dst_sel:DWORD dst_unused:UNUSED_PAD src0_sel:WORD_0 src1_sel:DWORD
	v_add_u32_e32 v190, 0x3198, v202
	ds_read2_b32 v[201:202], v190 offset1:1
	ds_read2_b32 v[213:214], v215 offset0:6 offset1:7
	v_dot4_i32_i8 v34, v198, v34, 0
	v_dot4_i32_i8 v34, v200, v35, v34
	;; [unrolled: 1-line block ×3, first 2 shown]
	s_waitcnt lgkmcnt(1)
	v_ashrrev_i32_e32 v190, s20, v201
	s_waitcnt lgkmcnt(0)
	v_ashrrev_i32_e32 v213, s17, v213
	v_lshlrev_b32_e32 v213, 2, v213
	v_and_b32_e32 v201, 0x3030303, v190
	v_bfe_u32 v190, v190, 24, 2
	v_and_b32_e32 v213, 0x4040404, v213
	v_sub_u16_e32 v215, v201, v213
	v_sub_u16_sdwa v216, v201, v213 dst_sel:BYTE_1 dst_unused:UNUSED_PAD src0_sel:BYTE_1 src1_sel:BYTE_1
	v_sub_u16_sdwa v190, v190, v213 dst_sel:BYTE_1 dst_unused:UNUSED_PAD src0_sel:DWORD src1_sel:BYTE_3
	v_sub_u16_sdwa v201, v201, v213 dst_sel:DWORD dst_unused:UNUSED_PAD src0_sel:WORD_1 src1_sel:WORD_1
	v_or_b32_sdwa v215, v215, v216 dst_sel:DWORD dst_unused:UNUSED_PAD src0_sel:BYTE_0 src1_sel:DWORD
	v_or_b32_sdwa v190, v201, v190 dst_sel:WORD_1 dst_unused:UNUSED_PAD src0_sel:BYTE_0 src1_sel:DWORD
	v_ashrrev_i32_e32 v213, s17, v214
	v_or_b32_sdwa v201, v215, v190 dst_sel:DWORD dst_unused:UNUSED_PAD src0_sel:WORD_0 src1_sel:DWORD
	v_ashrrev_i32_e32 v190, s20, v202
	v_lshlrev_b32_e32 v213, 2, v213
	v_and_b32_e32 v202, 0x3030303, v190
	v_bfe_u32 v190, v190, 24, 2
	v_and_b32_e32 v213, 0x4040404, v213
	v_sub_u16_e32 v214, v202, v213
	v_sub_u16_sdwa v215, v202, v213 dst_sel:BYTE_1 dst_unused:UNUSED_PAD src0_sel:BYTE_1 src1_sel:BYTE_1
	v_sub_u16_sdwa v190, v190, v213 dst_sel:BYTE_1 dst_unused:UNUSED_PAD src0_sel:DWORD src1_sel:BYTE_3
	v_sub_u16_sdwa v202, v202, v213 dst_sel:DWORD dst_unused:UNUSED_PAD src0_sel:WORD_1 src1_sel:WORD_1
	v_or_b32_sdwa v214, v214, v215 dst_sel:DWORD dst_unused:UNUSED_PAD src0_sel:BYTE_0 src1_sel:DWORD
	v_or_b32_sdwa v190, v202, v190 dst_sel:WORD_1 dst_unused:UNUSED_PAD src0_sel:BYTE_0 src1_sel:DWORD
	v_or_b32_sdwa v202, v214, v190 dst_sel:DWORD dst_unused:UNUSED_PAD src0_sel:WORD_0 src1_sel:DWORD
	v_add3_u32 v190, s22, v169, v129
	ds_read_b32 v190, v190
	ds_read_b128 v[214:217], v173 offset:1024
	ds_read_b128 v[218:221], v173 offset:1040
	v_dot4_i32_i8 v34, v201, v36, v34
	v_dot4_i32_i8 v34, v202, v37, v34
	v_add_u32_e32 v213, s19, v139
	s_waitcnt lgkmcnt(1)
	v_dot4_i32_i8 v35, v49, v214, 0
	v_dot4_i32_i8 v35, v50, v215, v35
	;; [unrolled: 1-line block ×4, first 2 shown]
	s_waitcnt lgkmcnt(0)
	v_dot4_i32_i8 v35, v53, v218, 0
	v_dot4_i32_i8 v35, v203, v219, v35
	;; [unrolled: 1-line block ×28, first 2 shown]
	ds_read2_b32 v[35:36], v174 offset0:64 offset1:96
	ds_read_b128 v[214:217], v173 offset:2048
	ds_read_b128 v[218:221], v173 offset:2064
	s_add_i32 s17, s17, 1
	s_cmp_lt_u32 s18, 30
	s_mov_b32 s19, s18
	s_waitcnt lgkmcnt(1)
	v_dot4_i32_i8 v39, v49, v214, 0
	v_dot4_i32_i8 v39, v50, v215, v39
	v_dot4_i32_i8 v39, v51, v216, v39
	v_dot4_i32_i8 v225, v52, v217, v39
	s_waitcnt lgkmcnt(0)
	v_dot4_i32_i8 v39, v53, v218, 0
	v_dot4_i32_i8 v39, v203, v219, v39
	;; [unrolled: 1-line block ×28, first 2 shown]
	ds_read_b128 v[216:219], v173 offset:3072
	ds_read_b128 v[220:223], v173 offset:3088
	s_waitcnt lgkmcnt(1)
	v_dot4_i32_i8 v39, v49, v216, 0
	v_dot4_i32_i8 v39, v50, v217, v39
	;; [unrolled: 1-line block ×4, first 2 shown]
	s_waitcnt lgkmcnt(0)
	v_dot4_i32_i8 v39, v53, v220, 0
	v_dot4_i32_i8 v39, v203, v221, v39
	;; [unrolled: 1-line block ×4, first 2 shown]
	ds_read_u16 v39, v48 offset:33522
	s_waitcnt lgkmcnt(0)
	v_lshrrev_b16_e32 v48, 8, v39
	v_bfe_i32 v226, v48, 0, 8
	v_bfe_i32 v227, v39, 0, 8
	v_mul_lo_u32 v37, v37, v227
	v_mul_lo_u32 v41, v41, v226
	;; [unrolled: 1-line block ×4, first 2 shown]
	v_mad_u64_u32 v[214:215], s[20:21], v225, v227, v[41:42]
	v_mad_u64_u32 v[224:225], s[20:21], v224, v226, v[37:38]
                                        ; kill: def $vgpr41 killed $sgpr0 killed $exec
	v_mul_f32_e32 v37, v175, v46
	v_mad_u64_u32 v[40:41], s[20:21], v240, v226, v[40:41]
	v_cvt_f32_i32_e32 v206, v224
	v_mul_f32_e32 v41, v175, v36
	v_mad_u64_u32 v[47:48], s[20:21], v47, v227, v[39:40]
	v_cvt_f32_i32_e32 v40, v40
	v_fmac_f32_e32 v18, v37, v206
	v_dot4_i32_i8 v37, v176, v216, 0
	v_dot4_i32_i8 v37, v177, v217, v37
	;; [unrolled: 1-line block ×3, first 2 shown]
	v_fma_f32 v20, v41, v40, v20
	v_dot4_i32_i8 v40, v181, v219, v37
	v_dot4_i32_i8 v37, v184, v220, 0
	;; [unrolled: 1-line block ×5, first 2 shown]
	ds_read_u16 v37, v208 offset:34546
	v_cvt_f32_i32_e32 v47, v47
	v_cvt_f32_i32_e32 v214, v214
	v_mul_f32_e32 v39, v175, v45
	v_mul_f32_e32 v48, v175, v35
	v_fma_f32 v19, v39, v47, v19
	s_waitcnt lgkmcnt(0)
	v_lshrrev_b16_e32 v39, 8, v37
	v_fma_f32 v21, v48, v214, v21
	v_bfe_i32 v214, v39, 0, 8
	v_bfe_i32 v215, v37, 0, 8
	v_mul_lo_u32 v41, v235, v214
	v_mul_lo_u32 v40, v40, v215
	;; [unrolled: 1-line block ×4, first 2 shown]
	v_mad_u64_u32 v[47:48], s[20:21], v234, v215, v[41:42]
                                        ; kill: def $vgpr41 killed $sgpr0 killed $exec
	v_mul_f32_e32 v48, v178, v35
	v_mad_u64_u32 v[40:41], s[20:21], v206, v214, v[40:41]
	v_mul_f32_e32 v41, v178, v36
	v_cvt_f32_i32_e32 v47, v47
	v_mad_u64_u32 v[206:207], s[20:21], v207, v215, v[39:40]
	v_mad_u64_u32 v[207:208], s[20:21], v229, v214, v[37:38]
	v_mul_f32_e32 v37, v178, v46
	v_cvt_f32_i32_e32 v40, v40
	v_cvt_f32_i32_e32 v207, v207
	;; [unrolled: 1-line block ×3, first 2 shown]
	v_mul_f32_e32 v39, v178, v45
	v_fma_f32 v32, v41, v40, v32
	v_fmac_f32_e32 v30, v37, v207
	v_dot4_i32_i8 v37, v180, v216, 0
	v_dot4_i32_i8 v37, v182, v217, v37
	;; [unrolled: 1-line block ×7, first 2 shown]
	v_fma_f32 v31, v39, v206, v31
	v_dot4_i32_i8 v206, v199, v223, v37
	ds_read_u16 v37, v211 offset:35570
	v_fma_f32 v33, v48, v47, v33
	s_waitcnt lgkmcnt(0)
	v_lshrrev_b16_e32 v39, 8, v37
	v_bfe_i32 v208, v39, 0, 8
	v_bfe_i32 v209, v37, 0, 8
	v_mul_lo_u32 v41, v237, v208
	v_mul_lo_u32 v40, v40, v209
	;; [unrolled: 1-line block ×4, first 2 shown]
	v_mad_u64_u32 v[47:48], s[20:21], v236, v209, v[41:42]
                                        ; kill: def $vgpr41 killed $sgpr0 killed $exec
	v_mul_f32_e32 v48, v183, v35
	v_mad_u64_u32 v[40:41], s[20:21], v206, v208, v[40:41]
	v_cvt_f32_i32_e32 v47, v47
	v_mul_f32_e32 v41, v183, v36
	v_mad_u64_u32 v[206:207], s[20:21], v210, v209, v[39:40]
	v_mad_u64_u32 v[210:211], s[20:21], v231, v208, v[37:38]
	v_mul_f32_e32 v37, v183, v46
	v_cvt_f32_i32_e32 v206, v206
	v_cvt_f32_i32_e32 v207, v210
	v_mul_f32_e32 v39, v183, v45
	v_fma_f32 v29, v48, v47, v29
	v_fma_f32 v27, v39, v206, v27
	v_fmac_f32_e32 v26, v37, v207
	v_dot4_i32_i8 v37, v186, v216, 0
	v_dot4_i32_i8 v37, v189, v217, v37
	;; [unrolled: 1-line block ×8, first 2 shown]
	ds_read_u16 v37, v213 offset:36594
	v_cvt_f32_i32_e32 v40, v40
	v_mul_f32_e32 v36, v190, v36
	v_fma_f32 v28, v41, v40, v28
	s_waitcnt lgkmcnt(0)
	v_lshrrev_b16_e32 v40, 8, v37
	v_bfe_i32 v206, v40, 0, 8
	v_mul_lo_u32 v40, v239, v206
	v_bfe_i32 v207, v37, 0, 8
                                        ; kill: def $vgpr41 killed $sgpr0 killed $exec
	v_mul_lo_u32 v34, v34, v206
	v_mul_lo_u32 v39, v39, v207
	v_mad_u64_u32 v[40:41], s[20:21], v238, v207, v[40:41]
	v_mul_lo_u32 v37, v232, v207
	v_mad_u64_u32 v[47:48], s[20:21], v47, v206, v[39:40]
	v_mad_u64_u32 v[38:39], s[20:21], v38, v207, v[34:35]
	v_cvt_f32_i32_e32 v41, v47
	v_cvt_f32_i32_e32 v40, v40
	v_mad_u64_u32 v[210:211], s[20:21], v233, v206, v[37:38]
	v_cvt_f32_i32_e32 v38, v38
	v_mul_f32_e32 v34, v190, v46
	v_cvt_f32_i32_e32 v39, v210
	v_mul_f32_e32 v37, v190, v45
	v_mul_f32_e32 v35, v190, v35
	v_fma_f32 v25, v35, v40, v25
	v_fma_f32 v24, v36, v41, v24
	;; [unrolled: 1-line block ×3, first 2 shown]
	v_fmac_f32_e32 v22, v34, v39
	ds_read2_b32 v[45:46], v174 offset0:128 offset1:160
	ds_read_b128 v[34:37], v173 offset:4096
	ds_read_b128 v[38:41], v173 offset:4112
	s_waitcnt lgkmcnt(1)
	v_dot4_i32_i8 v47, v49, v34, 0
	v_dot4_i32_i8 v47, v50, v35, v47
	;; [unrolled: 1-line block ×4, first 2 shown]
	s_waitcnt lgkmcnt(0)
	v_dot4_i32_i8 v47, v53, v38, 0
	v_dot4_i32_i8 v47, v203, v39, v47
	;; [unrolled: 1-line block ×28, first 2 shown]
	ds_read_b128 v[34:37], v173 offset:5120
	ds_read_b128 v[38:41], v173 offset:5136
	s_waitcnt lgkmcnt(1)
	v_dot4_i32_i8 v47, v49, v34, 0
	v_dot4_i32_i8 v47, v50, v35, v47
	;; [unrolled: 1-line block ×4, first 2 shown]
	s_waitcnt lgkmcnt(0)
	v_dot4_i32_i8 v47, v53, v38, 0
	v_dot4_i32_i8 v47, v203, v39, v47
	;; [unrolled: 1-line block ×28, first 2 shown]
	ds_read2_b32 v[47:48], v174 offset0:192 offset1:224
	ds_read_b128 v[34:37], v173 offset:6144
	ds_read_b128 v[38:41], v173 offset:6160
	v_add_u32_e32 v174, 4, v174
	s_waitcnt lgkmcnt(1)
	v_dot4_i32_i8 v222, v49, v34, 0
	v_dot4_i32_i8 v222, v50, v35, v222
	;; [unrolled: 1-line block ×4, first 2 shown]
	s_waitcnt lgkmcnt(0)
	v_dot4_i32_i8 v222, v53, v38, 0
	v_dot4_i32_i8 v222, v203, v39, v222
	;; [unrolled: 1-line block ×28, first 2 shown]
	ds_read_b128 v[38:41], v173 offset:7168
	ds_read_b128 v[34:37], v173 offset:7184
	v_add_u32_e32 v173, 32, v173
	s_waitcnt lgkmcnt(1)
	v_dot4_i32_i8 v49, v49, v38, 0
	v_dot4_i32_i8 v49, v50, v39, v49
	;; [unrolled: 1-line block ×4, first 2 shown]
	s_waitcnt lgkmcnt(0)
	v_dot4_i32_i8 v50, v53, v34, 0
	v_mul_lo_u32 v51, v49, v227
	v_mul_lo_u32 v49, v237, v226
	v_dot4_i32_i8 v50, v203, v35, v50
	v_mul_lo_u32 v52, v233, v226
	v_dot4_i32_i8 v50, v204, v36, v50
	;; [unrolled: 2-line block ×3, first 2 shown]
                                        ; kill: def $vgpr50 killed $sgpr0 killed $exec
	v_mul_f32_e32 v204, v175, v48
	v_mad_u64_u32 v[49:50], s[20:21], v236, v227, v[49:50]
	v_mad_u64_u32 v[50:51], s[20:21], v203, v226, v[51:52]
	;; [unrolled: 1-line block ×4, first 2 shown]
	v_cvt_f32_i32_e32 v49, v49
	v_mul_f32_e32 v53, v175, v46
	v_cvt_f32_i32_e32 v52, v52
	v_mul_f32_e32 v203, v175, v45
	v_mul_f32_e32 v175, v175, v47
	v_cvt_f32_i32_e32 v51, v51
	v_fma_f32 v17, v175, v49, v17
	v_fmac_f32_e32 v14, v53, v52
	v_dot4_i32_i8 v49, v176, v38, 0
	v_mul_lo_u32 v52, v231, v214
	v_cvt_f32_i32_e32 v50, v50
	v_dot4_i32_i8 v49, v177, v39, v49
	v_dot4_i32_i8 v49, v179, v40, v49
	v_fma_f32 v15, v203, v51, v15
	v_dot4_i32_i8 v51, v181, v41, v49
                                        ; kill: def $vgpr53 killed $sgpr0 killed $exec
	v_dot4_i32_i8 v49, v184, v34, 0
	v_mul_lo_u32 v51, v51, v215
	v_mad_u64_u32 v[52:53], s[20:21], v230, v215, v[52:53]
	v_fma_f32 v16, v204, v50, v16
	v_dot4_i32_i8 v49, v187, v35, v49
	v_mul_lo_u32 v50, v221, v214
	v_dot4_i32_i8 v49, v191, v36, v49
	v_dot4_i32_i8 v175, v194, v37, v49
	v_mad_u64_u32 v[175:176], s[20:21], v175, v214, v[51:52]
                                        ; kill: def $vgpr51 killed $sgpr0 killed $exec
	v_mul_lo_u32 v49, v225, v215
	v_mad_u64_u32 v[50:51], s[20:21], v220, v215, v[50:51]
	v_mul_f32_e32 v51, v178, v45
	v_cvt_f32_i32_e32 v175, v175
	v_mad_u64_u32 v[176:177], s[20:21], v224, v214, v[49:50]
	v_mul_f32_e32 v49, v178, v46
	v_cvt_f32_i32_e32 v50, v50
	v_cvt_f32_i32_e32 v176, v176
	;; [unrolled: 1-line block ×3, first 2 shown]
	v_mul_f32_e32 v53, v178, v48
	v_fma_f32 v11, v51, v50, v11
	v_fmac_f32_e32 v10, v49, v176
	v_dot4_i32_i8 v49, v180, v38, 0
	v_dot4_i32_i8 v49, v182, v39, v49
	;; [unrolled: 1-line block ×8, first 2 shown]
	v_mul_f32_e32 v177, v178, v47
	v_dot4_i32_i8 v49, v197, v36, v49
	v_dot4_i32_i8 v38, v186, v38, 0
	;; [unrolled: 1-line block ×3, first 2 shown]
	v_fma_f32 v13, v177, v52, v13
	v_fma_f32 v12, v53, v175, v12
	v_dot4_i32_i8 v175, v199, v37, v49
	v_mul_lo_u32 v52, v229, v208
	v_dot4_i32_i8 v38, v189, v39, v38
	v_dot4_i32_i8 v39, v202, v37, v34
	v_mul_lo_u32 v37, v223, v206
	v_dot4_i32_i8 v38, v193, v40, v38
	v_dot4_i32_i8 v38, v196, v41, v38
                                        ; kill: def $vgpr53 killed $sgpr0 killed $exec
	v_mul_lo_u32 v36, v38, v207
                                        ; kill: def $vgpr38 killed $sgpr0 killed $exec
	v_mul_lo_u32 v51, v51, v209
	v_mad_u64_u32 v[52:53], s[20:21], v228, v209, v[52:53]
	v_mad_u64_u32 v[37:38], s[20:21], v222, v207, v[37:38]
	v_mul_lo_u32 v50, v217, v208
	v_mul_lo_u32 v35, v211, v206
	v_mad_u64_u32 v[175:176], s[20:21], v175, v208, v[51:52]
                                        ; kill: def $vgpr51 killed $sgpr0 killed $exec
	v_mad_u64_u32 v[38:39], s[20:21], v39, v206, v[36:37]
                                        ; kill: def $vgpr36 killed $sgpr0 killed $exec
	v_mul_lo_u32 v49, v219, v209
	v_mad_u64_u32 v[50:51], s[20:21], v216, v209, v[50:51]
	v_mul_lo_u32 v34, v213, v207
	v_mad_u64_u32 v[35:36], s[20:21], v210, v207, v[35:36]
	v_mad_u64_u32 v[176:177], s[20:21], v218, v208, v[49:50]
	;; [unrolled: 1-line block ×3, first 2 shown]
	v_cvt_f32_i32_e32 v176, v176
	v_cvt_f32_i32_e32 v50, v50
	;; [unrolled: 1-line block ×8, first 2 shown]
	v_mul_f32_e32 v49, v183, v46
	v_mul_f32_e32 v51, v183, v45
	;; [unrolled: 1-line block ×8, first 2 shown]
	v_fma_f32 v9, v177, v52, v9
	v_fma_f32 v8, v53, v175, v8
	;; [unrolled: 1-line block ×3, first 2 shown]
	v_fmac_f32_e32 v6, v49, v176
	v_fma_f32 v5, v41, v37, v5
	v_fma_f32 v4, v40, v38, v4
	;; [unrolled: 1-line block ×3, first 2 shown]
	v_fmac_f32_e32 v2, v34, v39
	s_cbranch_scc1 .LBB169_14
; %bb.15:                               ;   in Loop: Header=BB169_6 Depth=1
	s_barrier
	s_branch .LBB169_5
.LBB169_16:
	v_mov_b32_e32 v34, v54
.LBB169_17:
	v_cmp_gt_u32_e32 vcc, s8, v34
	s_and_saveexec_b64 s[0:1], vcc
	s_cbranch_execz .LBB169_68
; %bb.18:
	v_mul_lo_u32 v34, v34, s10
	v_add_u32_e32 v0, s6, v0
	v_cmp_gt_u32_e64 s[0:1], s10, v0
	s_and_saveexec_b64 s[2:3], s[0:1]
	s_cbranch_execz .LBB169_20
; %bb.19:
	v_bfe_u32 v35, v19, 16, 1
	s_movk_i32 s4, 0x7fff
	v_add3_u32 v35, v19, v35, s4
	v_cmp_o_f32_e32 vcc, v19, v19
	v_mov_b32_e32 v19, 0x7fc0
	v_cndmask_b32_sdwa v19, v19, v35, vcc dst_sel:DWORD dst_unused:UNUSED_PAD src0_sel:DWORD src1_sel:WORD_1
	v_add_u32_e32 v35, v0, v34
	v_mov_b32_e32 v36, 0
	v_lshlrev_b64 v[35:36], 1, v[35:36]
	s_waitcnt lgkmcnt(0)
	v_mov_b32_e32 v37, s13
	v_add_co_u32_e32 v35, vcc, s12, v35
	v_addc_co_u32_e32 v36, vcc, v37, v36, vcc
	global_store_short v[35:36], v19, off
.LBB169_20:
	s_or_b64 exec, exec, s[2:3]
	v_add_u32_e32 v19, 32, v0
	v_cmp_gt_u32_e64 s[2:3], s10, v19
	s_and_saveexec_b64 s[4:5], s[2:3]
	s_cbranch_execz .LBB169_22
; %bb.21:
	v_bfe_u32 v35, v31, 16, 1
	s_movk_i32 s6, 0x7fff
	v_add3_u32 v35, v31, v35, s6
	v_cmp_o_f32_e32 vcc, v31, v31
	v_mov_b32_e32 v31, 0x7fc0
	v_cndmask_b32_sdwa v31, v31, v35, vcc dst_sel:DWORD dst_unused:UNUSED_PAD src0_sel:DWORD src1_sel:WORD_1
	v_add_u32_e32 v35, v19, v34
	v_mov_b32_e32 v36, 0
	v_lshlrev_b64 v[35:36], 1, v[35:36]
	s_waitcnt lgkmcnt(0)
	v_mov_b32_e32 v37, s13
	v_add_co_u32_e32 v35, vcc, s12, v35
	v_addc_co_u32_e32 v36, vcc, v37, v36, vcc
	global_store_short v[35:36], v31, off
.LBB169_22:
	s_or_b64 exec, exec, s[4:5]
	;; [unrolled: 21-line block ×4, first 2 shown]
	v_add3_u32 v23, v1, s11, 8
	v_cmp_gt_u32_e32 vcc, s8, v23
	s_and_b64 exec, exec, vcc
	s_cbranch_execz .LBB169_68
; %bb.27:
	v_mul_lo_u32 v23, v23, s10
	s_and_saveexec_b64 s[14:15], s[0:1]
	s_cbranch_execnz .LBB169_69
; %bb.28:
	s_or_b64 exec, exec, s[14:15]
	s_and_saveexec_b64 s[14:15], s[2:3]
	s_cbranch_execnz .LBB169_70
.LBB169_29:
	s_or_b64 exec, exec, s[14:15]
	s_and_saveexec_b64 s[14:15], s[4:5]
	s_cbranch_execnz .LBB169_71
.LBB169_30:
	s_or_b64 exec, exec, s[14:15]
	s_and_saveexec_b64 s[14:15], s[6:7]
	s_cbranch_execz .LBB169_32
.LBB169_31:
	v_bfe_u32 v18, v22, 16, 1
	s_movk_i32 s9, 0x7fff
	v_add3_u32 v18, v22, v18, s9
	v_cmp_o_f32_e32 vcc, v22, v22
	v_mov_b32_e32 v22, 0x7fc0
	v_cndmask_b32_sdwa v18, v22, v18, vcc dst_sel:DWORD dst_unused:UNUSED_PAD src0_sel:DWORD src1_sel:WORD_1
	v_add_u32_e32 v22, v23, v27
	v_mov_b32_e32 v23, 0
	v_lshlrev_b64 v[22:23], 1, v[22:23]
	s_waitcnt lgkmcnt(0)
	v_mov_b32_e32 v26, s13
	v_add_co_u32_e32 v22, vcc, s12, v22
	v_addc_co_u32_e32 v23, vcc, v26, v23, vcc
	global_store_short v[22:23], v18, off
.LBB169_32:
	s_or_b64 exec, exec, s[14:15]
	v_add3_u32 v18, v1, s11, 16
	v_cmp_gt_u32_e32 vcc, s8, v18
	s_and_b64 exec, exec, vcc
	s_cbranch_execz .LBB169_68
; %bb.33:
	v_mul_lo_u32 v18, v18, s10
	s_and_saveexec_b64 s[14:15], s[0:1]
	s_cbranch_execnz .LBB169_72
; %bb.34:
	s_or_b64 exec, exec, s[14:15]
	s_and_saveexec_b64 s[14:15], s[2:3]
	s_cbranch_execnz .LBB169_73
.LBB169_35:
	s_or_b64 exec, exec, s[14:15]
	s_and_saveexec_b64 s[14:15], s[4:5]
	s_cbranch_execnz .LBB169_74
.LBB169_36:
	s_or_b64 exec, exec, s[14:15]
	s_and_saveexec_b64 s[14:15], s[6:7]
	s_cbranch_execz .LBB169_38
.LBB169_37:
	v_bfe_u32 v21, v25, 16, 1
	s_movk_i32 s9, 0x7fff
	v_add3_u32 v21, v25, v21, s9
	v_cmp_o_f32_e32 vcc, v25, v25
	v_mov_b32_e32 v22, 0x7fc0
	v_cndmask_b32_sdwa v23, v22, v21, vcc dst_sel:DWORD dst_unused:UNUSED_PAD src0_sel:DWORD src1_sel:WORD_1
	v_add_u32_e32 v21, v18, v27
	v_mov_b32_e32 v22, 0
	v_lshlrev_b64 v[21:22], 1, v[21:22]
	s_waitcnt lgkmcnt(0)
	v_mov_b32_e32 v18, s13
	v_add_co_u32_e32 v21, vcc, s12, v21
	v_addc_co_u32_e32 v22, vcc, v18, v22, vcc
	global_store_short v[21:22], v23, off
.LBB169_38:
	s_or_b64 exec, exec, s[14:15]
	v_add3_u32 v18, v1, s11, 24
	v_cmp_gt_u32_e32 vcc, s8, v18
	s_and_b64 exec, exec, vcc
	s_cbranch_execz .LBB169_68
; %bb.39:
	v_mul_lo_u32 v18, v18, s10
	s_and_saveexec_b64 s[14:15], s[0:1]
	s_cbranch_execnz .LBB169_75
; %bb.40:
	s_or_b64 exec, exec, s[14:15]
	s_and_saveexec_b64 s[14:15], s[2:3]
	s_cbranch_execnz .LBB169_76
.LBB169_41:
	s_or_b64 exec, exec, s[14:15]
	s_and_saveexec_b64 s[14:15], s[4:5]
	s_cbranch_execnz .LBB169_77
.LBB169_42:
	s_or_b64 exec, exec, s[14:15]
	s_and_saveexec_b64 s[14:15], s[6:7]
	s_cbranch_execz .LBB169_44
.LBB169_43:
	v_bfe_u32 v20, v24, 16, 1
	s_movk_i32 s9, 0x7fff
	v_add3_u32 v20, v24, v20, s9
	v_cmp_o_f32_e32 vcc, v24, v24
	v_mov_b32_e32 v21, 0x7fc0
	v_cndmask_b32_sdwa v22, v21, v20, vcc dst_sel:DWORD dst_unused:UNUSED_PAD src0_sel:DWORD src1_sel:WORD_1
	v_add_u32_e32 v20, v18, v27
	v_mov_b32_e32 v21, 0
	v_lshlrev_b64 v[20:21], 1, v[20:21]
	s_waitcnt lgkmcnt(0)
	v_mov_b32_e32 v18, s13
	v_add_co_u32_e32 v20, vcc, s12, v20
	v_addc_co_u32_e32 v21, vcc, v18, v21, vcc
	global_store_short v[20:21], v22, off
.LBB169_44:
	s_or_b64 exec, exec, s[14:15]
	v_add3_u32 v18, v1, s11, 32
	v_cmp_gt_u32_e32 vcc, s8, v18
	s_and_b64 exec, exec, vcc
	s_cbranch_execz .LBB169_68
; %bb.45:
	v_mul_lo_u32 v18, v18, s10
	s_and_saveexec_b64 s[14:15], s[0:1]
	s_cbranch_execnz .LBB169_78
; %bb.46:
	s_or_b64 exec, exec, s[14:15]
	s_and_saveexec_b64 s[14:15], s[2:3]
	s_cbranch_execnz .LBB169_79
.LBB169_47:
	s_or_b64 exec, exec, s[14:15]
	s_and_saveexec_b64 s[14:15], s[4:5]
	s_cbranch_execnz .LBB169_80
.LBB169_48:
	s_or_b64 exec, exec, s[14:15]
	s_and_saveexec_b64 s[14:15], s[6:7]
	s_cbranch_execz .LBB169_50
.LBB169_49:
	v_add_u32_e32 v20, v18, v27
	v_mov_b32_e32 v21, 0
	v_bfe_u32 v7, v3, 16, 1
	s_movk_i32 s9, 0x7fff
	v_lshlrev_b64 v[20:21], 1, v[20:21]
	v_add3_u32 v7, v3, v7, s9
	v_cmp_o_f32_e32 vcc, v3, v3
	v_mov_b32_e32 v3, 0x7fc0
	v_cndmask_b32_sdwa v3, v3, v7, vcc dst_sel:DWORD dst_unused:UNUSED_PAD src0_sel:DWORD src1_sel:WORD_1
	s_waitcnt lgkmcnt(0)
	v_mov_b32_e32 v7, s13
	v_add_co_u32_e32 v20, vcc, s12, v20
	v_addc_co_u32_e32 v21, vcc, v7, v21, vcc
	global_store_short v[20:21], v3, off
.LBB169_50:
	s_or_b64 exec, exec, s[14:15]
	v_add3_u32 v3, v1, s11, 40
	v_cmp_gt_u32_e32 vcc, s8, v3
	s_and_b64 exec, exec, vcc
	s_cbranch_execz .LBB169_68
; %bb.51:
	v_mul_lo_u32 v3, v3, s10
	s_and_saveexec_b64 s[14:15], s[0:1]
	s_cbranch_execnz .LBB169_81
; %bb.52:
	s_or_b64 exec, exec, s[14:15]
	s_and_saveexec_b64 s[14:15], s[2:3]
	s_cbranch_execnz .LBB169_82
.LBB169_53:
	s_or_b64 exec, exec, s[14:15]
	s_and_saveexec_b64 s[14:15], s[4:5]
	s_cbranch_execnz .LBB169_83
.LBB169_54:
	s_or_b64 exec, exec, s[14:15]
	s_and_saveexec_b64 s[14:15], s[6:7]
	s_cbranch_execz .LBB169_56
.LBB169_55:
	v_bfe_u32 v6, v2, 16, 1
	s_movk_i32 s9, 0x7fff
	v_add3_u32 v6, v2, v6, s9
	v_cmp_o_f32_e32 vcc, v2, v2
	v_mov_b32_e32 v2, 0x7fc0
	v_cndmask_b32_sdwa v6, v2, v6, vcc dst_sel:DWORD dst_unused:UNUSED_PAD src0_sel:DWORD src1_sel:WORD_1
	v_add_u32_e32 v2, v3, v27
	v_mov_b32_e32 v3, 0
	v_lshlrev_b64 v[2:3], 1, v[2:3]
	s_waitcnt lgkmcnt(0)
	v_mov_b32_e32 v7, s13
	v_add_co_u32_e32 v2, vcc, s12, v2
	v_addc_co_u32_e32 v3, vcc, v7, v3, vcc
	global_store_short v[2:3], v6, off
.LBB169_56:
	s_or_b64 exec, exec, s[14:15]
	v_add3_u32 v2, v1, s11, 48
	v_cmp_gt_u32_e32 vcc, s8, v2
	s_and_b64 exec, exec, vcc
	s_cbranch_execz .LBB169_68
; %bb.57:
	v_mul_lo_u32 v2, v2, s10
	s_and_saveexec_b64 s[14:15], s[0:1]
	s_cbranch_execnz .LBB169_84
; %bb.58:
	s_or_b64 exec, exec, s[14:15]
	s_and_saveexec_b64 s[14:15], s[2:3]
	s_cbranch_execnz .LBB169_85
.LBB169_59:
	s_or_b64 exec, exec, s[14:15]
	s_and_saveexec_b64 s[14:15], s[4:5]
	s_cbranch_execnz .LBB169_86
.LBB169_60:
	s_or_b64 exec, exec, s[14:15]
	s_and_saveexec_b64 s[14:15], s[6:7]
	s_cbranch_execz .LBB169_62
.LBB169_61:
	v_bfe_u32 v3, v5, 16, 1
	s_movk_i32 s9, 0x7fff
	v_add3_u32 v3, v5, v3, s9
	v_cmp_o_f32_e32 vcc, v5, v5
	v_mov_b32_e32 v5, 0x7fc0
	v_cndmask_b32_sdwa v5, v5, v3, vcc dst_sel:DWORD dst_unused:UNUSED_PAD src0_sel:DWORD src1_sel:WORD_1
	v_add_u32_e32 v2, v2, v27
	v_mov_b32_e32 v3, 0
	v_lshlrev_b64 v[2:3], 1, v[2:3]
	s_waitcnt lgkmcnt(0)
	v_mov_b32_e32 v6, s13
	v_add_co_u32_e32 v2, vcc, s12, v2
	v_addc_co_u32_e32 v3, vcc, v6, v3, vcc
	global_store_short v[2:3], v5, off
.LBB169_62:
	s_or_b64 exec, exec, s[14:15]
	v_add3_u32 v1, v1, s11, 56
	v_cmp_gt_u32_e32 vcc, s8, v1
	s_and_b64 exec, exec, vcc
	s_cbranch_execz .LBB169_68
; %bb.63:
	v_mul_lo_u32 v1, v1, s10
	s_and_saveexec_b64 s[8:9], s[0:1]
	s_cbranch_execnz .LBB169_87
; %bb.64:
	s_or_b64 exec, exec, s[8:9]
	s_and_saveexec_b64 s[0:1], s[2:3]
	s_cbranch_execnz .LBB169_88
.LBB169_65:
	s_or_b64 exec, exec, s[0:1]
	s_and_saveexec_b64 s[0:1], s[4:5]
	s_cbranch_execnz .LBB169_89
.LBB169_66:
	s_or_b64 exec, exec, s[0:1]
	s_and_b64 exec, exec, s[6:7]
	s_cbranch_execz .LBB169_68
.LBB169_67:
	v_bfe_u32 v0, v4, 16, 1
	s_movk_i32 s0, 0x7fff
	v_add3_u32 v0, v4, v0, s0
	v_cmp_o_f32_e32 vcc, v4, v4
	v_mov_b32_e32 v2, 0x7fc0
	v_cndmask_b32_sdwa v2, v2, v0, vcc dst_sel:DWORD dst_unused:UNUSED_PAD src0_sel:DWORD src1_sel:WORD_1
	v_add_u32_e32 v0, v1, v27
	v_mov_b32_e32 v1, 0
	v_lshlrev_b64 v[0:1], 1, v[0:1]
	s_waitcnt lgkmcnt(0)
	v_mov_b32_e32 v3, s13
	v_add_co_u32_e32 v0, vcc, s12, v0
	v_addc_co_u32_e32 v1, vcc, v3, v1, vcc
	global_store_short v[0:1], v2, off
.LBB169_68:
	s_endpgm
.LBB169_69:
	v_bfe_u32 v34, v18, 16, 1
	s_movk_i32 s9, 0x7fff
	v_add3_u32 v34, v18, v34, s9
	v_cmp_o_f32_e32 vcc, v18, v18
	v_mov_b32_e32 v18, 0x7fc0
	v_cndmask_b32_sdwa v18, v18, v34, vcc dst_sel:DWORD dst_unused:UNUSED_PAD src0_sel:DWORD src1_sel:WORD_1
	v_add_u32_e32 v34, v23, v0
	v_mov_b32_e32 v35, 0
	v_lshlrev_b64 v[34:35], 1, v[34:35]
	s_waitcnt lgkmcnt(0)
	v_mov_b32_e32 v36, s13
	v_add_co_u32_e32 v34, vcc, s12, v34
	v_addc_co_u32_e32 v35, vcc, v36, v35, vcc
	global_store_short v[34:35], v18, off
	s_or_b64 exec, exec, s[14:15]
	s_and_saveexec_b64 s[14:15], s[2:3]
	s_cbranch_execz .LBB169_29
.LBB169_70:
	v_add_u32_e32 v34, v23, v19
	v_mov_b32_e32 v35, 0
	v_bfe_u32 v18, v30, 16, 1
	s_movk_i32 s9, 0x7fff
	v_lshlrev_b64 v[34:35], 1, v[34:35]
	v_add3_u32 v18, v30, v18, s9
	v_cmp_o_f32_e32 vcc, v30, v30
	v_mov_b32_e32 v30, 0x7fc0
	v_cndmask_b32_sdwa v18, v30, v18, vcc dst_sel:DWORD dst_unused:UNUSED_PAD src0_sel:DWORD src1_sel:WORD_1
	s_waitcnt lgkmcnt(0)
	v_mov_b32_e32 v30, s13
	v_add_co_u32_e32 v34, vcc, s12, v34
	v_addc_co_u32_e32 v35, vcc, v30, v35, vcc
	global_store_short v[34:35], v18, off
	s_or_b64 exec, exec, s[14:15]
	s_and_saveexec_b64 s[14:15], s[4:5]
	s_cbranch_execz .LBB169_30
.LBB169_71:
	v_add_u32_e32 v34, v23, v31
	v_mov_b32_e32 v35, 0
	v_bfe_u32 v18, v26, 16, 1
	s_movk_i32 s9, 0x7fff
	v_lshlrev_b64 v[34:35], 1, v[34:35]
	v_add3_u32 v18, v26, v18, s9
	v_cmp_o_f32_e32 vcc, v26, v26
	v_mov_b32_e32 v26, 0x7fc0
	v_cndmask_b32_sdwa v18, v26, v18, vcc dst_sel:DWORD dst_unused:UNUSED_PAD src0_sel:DWORD src1_sel:WORD_1
	s_waitcnt lgkmcnt(0)
	v_mov_b32_e32 v26, s13
	v_add_co_u32_e32 v34, vcc, s12, v34
	v_addc_co_u32_e32 v35, vcc, v26, v35, vcc
	global_store_short v[34:35], v18, off
	s_or_b64 exec, exec, s[14:15]
	s_and_saveexec_b64 s[14:15], s[6:7]
	s_cbranch_execnz .LBB169_31
	s_branch .LBB169_32
.LBB169_72:
	v_bfe_u32 v22, v21, 16, 1
	s_movk_i32 s9, 0x7fff
	v_add3_u32 v22, v21, v22, s9
	v_cmp_o_f32_e32 vcc, v21, v21
	v_mov_b32_e32 v21, 0x7fc0
	v_cndmask_b32_sdwa v23, v21, v22, vcc dst_sel:DWORD dst_unused:UNUSED_PAD src0_sel:DWORD src1_sel:WORD_1
	v_add_u32_e32 v21, v18, v0
	v_mov_b32_e32 v22, 0
	v_lshlrev_b64 v[21:22], 1, v[21:22]
	s_waitcnt lgkmcnt(0)
	v_mov_b32_e32 v26, s13
	v_add_co_u32_e32 v21, vcc, s12, v21
	v_addc_co_u32_e32 v22, vcc, v26, v22, vcc
	global_store_short v[21:22], v23, off
	s_or_b64 exec, exec, s[14:15]
	s_and_saveexec_b64 s[14:15], s[2:3]
	s_cbranch_execz .LBB169_35
.LBB169_73:
	v_bfe_u32 v21, v33, 16, 1
	s_movk_i32 s9, 0x7fff
	v_add3_u32 v21, v33, v21, s9
	v_cmp_o_f32_e32 vcc, v33, v33
	v_mov_b32_e32 v22, 0x7fc0
	v_cndmask_b32_sdwa v23, v22, v21, vcc dst_sel:DWORD dst_unused:UNUSED_PAD src0_sel:DWORD src1_sel:WORD_1
	v_add_u32_e32 v21, v18, v19
	v_mov_b32_e32 v22, 0
	v_lshlrev_b64 v[21:22], 1, v[21:22]
	s_waitcnt lgkmcnt(0)
	v_mov_b32_e32 v26, s13
	v_add_co_u32_e32 v21, vcc, s12, v21
	v_addc_co_u32_e32 v22, vcc, v26, v22, vcc
	global_store_short v[21:22], v23, off
	s_or_b64 exec, exec, s[14:15]
	s_and_saveexec_b64 s[14:15], s[4:5]
	s_cbranch_execz .LBB169_36
.LBB169_74:
	v_bfe_u32 v21, v29, 16, 1
	s_movk_i32 s9, 0x7fff
	v_add3_u32 v21, v29, v21, s9
	v_cmp_o_f32_e32 vcc, v29, v29
	v_mov_b32_e32 v22, 0x7fc0
	v_cndmask_b32_sdwa v23, v22, v21, vcc dst_sel:DWORD dst_unused:UNUSED_PAD src0_sel:DWORD src1_sel:WORD_1
	v_add_u32_e32 v21, v18, v31
	v_mov_b32_e32 v22, 0
	v_lshlrev_b64 v[21:22], 1, v[21:22]
	s_waitcnt lgkmcnt(0)
	v_mov_b32_e32 v26, s13
	v_add_co_u32_e32 v21, vcc, s12, v21
	v_addc_co_u32_e32 v22, vcc, v26, v22, vcc
	global_store_short v[21:22], v23, off
	s_or_b64 exec, exec, s[14:15]
	s_and_saveexec_b64 s[14:15], s[6:7]
	s_cbranch_execnz .LBB169_37
	s_branch .LBB169_38
.LBB169_75:
	v_bfe_u32 v21, v20, 16, 1
	s_movk_i32 s9, 0x7fff
	v_add3_u32 v21, v20, v21, s9
	v_cmp_o_f32_e32 vcc, v20, v20
	v_mov_b32_e32 v20, 0x7fc0
	v_cndmask_b32_sdwa v22, v20, v21, vcc dst_sel:DWORD dst_unused:UNUSED_PAD src0_sel:DWORD src1_sel:WORD_1
	v_add_u32_e32 v20, v18, v0
	v_mov_b32_e32 v21, 0
	v_lshlrev_b64 v[20:21], 1, v[20:21]
	s_waitcnt lgkmcnt(0)
	v_mov_b32_e32 v23, s13
	v_add_co_u32_e32 v20, vcc, s12, v20
	v_addc_co_u32_e32 v21, vcc, v23, v21, vcc
	global_store_short v[20:21], v22, off
	s_or_b64 exec, exec, s[14:15]
	s_and_saveexec_b64 s[14:15], s[2:3]
	s_cbranch_execz .LBB169_41
.LBB169_76:
	v_bfe_u32 v20, v32, 16, 1
	s_movk_i32 s9, 0x7fff
	v_add3_u32 v20, v32, v20, s9
	v_cmp_o_f32_e32 vcc, v32, v32
	v_mov_b32_e32 v21, 0x7fc0
	v_cndmask_b32_sdwa v22, v21, v20, vcc dst_sel:DWORD dst_unused:UNUSED_PAD src0_sel:DWORD src1_sel:WORD_1
	v_add_u32_e32 v20, v18, v19
	v_mov_b32_e32 v21, 0
	v_lshlrev_b64 v[20:21], 1, v[20:21]
	s_waitcnt lgkmcnt(0)
	v_mov_b32_e32 v23, s13
	v_add_co_u32_e32 v20, vcc, s12, v20
	v_addc_co_u32_e32 v21, vcc, v23, v21, vcc
	global_store_short v[20:21], v22, off
	s_or_b64 exec, exec, s[14:15]
	s_and_saveexec_b64 s[14:15], s[4:5]
	s_cbranch_execz .LBB169_42
.LBB169_77:
	v_bfe_u32 v20, v28, 16, 1
	s_movk_i32 s9, 0x7fff
	v_add3_u32 v20, v28, v20, s9
	v_cmp_o_f32_e32 vcc, v28, v28
	v_mov_b32_e32 v21, 0x7fc0
	v_cndmask_b32_sdwa v22, v21, v20, vcc dst_sel:DWORD dst_unused:UNUSED_PAD src0_sel:DWORD src1_sel:WORD_1
	v_add_u32_e32 v20, v18, v31
	v_mov_b32_e32 v21, 0
	v_lshlrev_b64 v[20:21], 1, v[20:21]
	s_waitcnt lgkmcnt(0)
	v_mov_b32_e32 v23, s13
	v_add_co_u32_e32 v20, vcc, s12, v20
	v_addc_co_u32_e32 v21, vcc, v23, v21, vcc
	global_store_short v[20:21], v22, off
	s_or_b64 exec, exec, s[14:15]
	s_and_saveexec_b64 s[14:15], s[6:7]
	s_cbranch_execnz .LBB169_43
	s_branch .LBB169_44
.LBB169_78:
	v_bfe_u32 v20, v15, 16, 1
	s_movk_i32 s9, 0x7fff
	v_add3_u32 v20, v15, v20, s9
	v_cmp_o_f32_e32 vcc, v15, v15
	v_mov_b32_e32 v15, 0x7fc0
	v_cndmask_b32_sdwa v15, v15, v20, vcc dst_sel:DWORD dst_unused:UNUSED_PAD src0_sel:DWORD src1_sel:WORD_1
	v_add_u32_e32 v20, v18, v0
	v_mov_b32_e32 v21, 0
	v_lshlrev_b64 v[20:21], 1, v[20:21]
	s_waitcnt lgkmcnt(0)
	v_mov_b32_e32 v22, s13
	v_add_co_u32_e32 v20, vcc, s12, v20
	v_addc_co_u32_e32 v21, vcc, v22, v21, vcc
	global_store_short v[20:21], v15, off
	s_or_b64 exec, exec, s[14:15]
	s_and_saveexec_b64 s[14:15], s[2:3]
	s_cbranch_execz .LBB169_47
.LBB169_79:
	v_add_u32_e32 v20, v18, v19
	v_mov_b32_e32 v21, 0
	v_bfe_u32 v15, v11, 16, 1
	s_movk_i32 s9, 0x7fff
	v_lshlrev_b64 v[20:21], 1, v[20:21]
	v_add3_u32 v15, v11, v15, s9
	v_cmp_o_f32_e32 vcc, v11, v11
	v_mov_b32_e32 v11, 0x7fc0
	v_cndmask_b32_sdwa v11, v11, v15, vcc dst_sel:DWORD dst_unused:UNUSED_PAD src0_sel:DWORD src1_sel:WORD_1
	s_waitcnt lgkmcnt(0)
	v_mov_b32_e32 v15, s13
	v_add_co_u32_e32 v20, vcc, s12, v20
	v_addc_co_u32_e32 v21, vcc, v15, v21, vcc
	global_store_short v[20:21], v11, off
	s_or_b64 exec, exec, s[14:15]
	s_and_saveexec_b64 s[14:15], s[4:5]
	s_cbranch_execz .LBB169_48
.LBB169_80:
	v_add_u32_e32 v20, v18, v31
	v_mov_b32_e32 v21, 0
	v_bfe_u32 v11, v7, 16, 1
	s_movk_i32 s9, 0x7fff
	v_lshlrev_b64 v[20:21], 1, v[20:21]
	v_add3_u32 v11, v7, v11, s9
	v_cmp_o_f32_e32 vcc, v7, v7
	v_mov_b32_e32 v7, 0x7fc0
	v_cndmask_b32_sdwa v7, v7, v11, vcc dst_sel:DWORD dst_unused:UNUSED_PAD src0_sel:DWORD src1_sel:WORD_1
	s_waitcnt lgkmcnt(0)
	v_mov_b32_e32 v11, s13
	v_add_co_u32_e32 v20, vcc, s12, v20
	v_addc_co_u32_e32 v21, vcc, v11, v21, vcc
	global_store_short v[20:21], v7, off
	s_or_b64 exec, exec, s[14:15]
	s_and_saveexec_b64 s[14:15], s[6:7]
	s_cbranch_execnz .LBB169_49
	s_branch .LBB169_50
.LBB169_81:
	v_bfe_u32 v7, v14, 16, 1
	s_movk_i32 s9, 0x7fff
	v_add3_u32 v7, v14, v7, s9
	v_cmp_o_f32_e32 vcc, v14, v14
	v_add_u32_e32 v14, v3, v0
	v_mov_b32_e32 v15, 0
	v_lshlrev_b64 v[14:15], 1, v[14:15]
	v_mov_b32_e32 v11, 0x7fc0
	v_cndmask_b32_sdwa v7, v11, v7, vcc dst_sel:DWORD dst_unused:UNUSED_PAD src0_sel:DWORD src1_sel:WORD_1
	s_waitcnt lgkmcnt(0)
	v_mov_b32_e32 v11, s13
	v_add_co_u32_e32 v14, vcc, s12, v14
	v_addc_co_u32_e32 v15, vcc, v11, v15, vcc
	global_store_short v[14:15], v7, off
	s_or_b64 exec, exec, s[14:15]
	s_and_saveexec_b64 s[14:15], s[2:3]
	s_cbranch_execz .LBB169_53
.LBB169_82:
	v_bfe_u32 v7, v10, 16, 1
	s_movk_i32 s9, 0x7fff
	v_add3_u32 v7, v10, v7, s9
	v_cmp_o_f32_e32 vcc, v10, v10
	v_mov_b32_e32 v10, 0x7fc0
	v_cndmask_b32_sdwa v7, v10, v7, vcc dst_sel:DWORD dst_unused:UNUSED_PAD src0_sel:DWORD src1_sel:WORD_1
	v_add_u32_e32 v10, v3, v19
	v_mov_b32_e32 v11, 0
	v_lshlrev_b64 v[10:11], 1, v[10:11]
	s_waitcnt lgkmcnt(0)
	v_mov_b32_e32 v14, s13
	v_add_co_u32_e32 v10, vcc, s12, v10
	v_addc_co_u32_e32 v11, vcc, v14, v11, vcc
	global_store_short v[10:11], v7, off
	s_or_b64 exec, exec, s[14:15]
	s_and_saveexec_b64 s[14:15], s[4:5]
	s_cbranch_execz .LBB169_54
.LBB169_83:
	v_bfe_u32 v7, v6, 16, 1
	s_movk_i32 s9, 0x7fff
	v_add3_u32 v7, v6, v7, s9
	v_cmp_o_f32_e32 vcc, v6, v6
	v_mov_b32_e32 v6, 0x7fc0
	v_cndmask_b32_sdwa v10, v6, v7, vcc dst_sel:DWORD dst_unused:UNUSED_PAD src0_sel:DWORD src1_sel:WORD_1
	v_add_u32_e32 v6, v3, v31
	v_mov_b32_e32 v7, 0
	v_lshlrev_b64 v[6:7], 1, v[6:7]
	s_waitcnt lgkmcnt(0)
	v_mov_b32_e32 v11, s13
	v_add_co_u32_e32 v6, vcc, s12, v6
	v_addc_co_u32_e32 v7, vcc, v11, v7, vcc
	global_store_short v[6:7], v10, off
	s_or_b64 exec, exec, s[14:15]
	s_and_saveexec_b64 s[14:15], s[6:7]
	s_cbranch_execnz .LBB169_55
	s_branch .LBB169_56
.LBB169_84:
	v_bfe_u32 v3, v17, 16, 1
	s_movk_i32 s9, 0x7fff
	v_add3_u32 v3, v17, v3, s9
	v_cmp_o_f32_e32 vcc, v17, v17
	v_mov_b32_e32 v6, 0x7fc0
	v_cndmask_b32_sdwa v3, v6, v3, vcc dst_sel:DWORD dst_unused:UNUSED_PAD src0_sel:DWORD src1_sel:WORD_1
	v_add_u32_e32 v6, v2, v0
	v_mov_b32_e32 v7, 0
	v_lshlrev_b64 v[6:7], 1, v[6:7]
	s_waitcnt lgkmcnt(0)
	v_mov_b32_e32 v10, s13
	v_add_co_u32_e32 v6, vcc, s12, v6
	v_addc_co_u32_e32 v7, vcc, v10, v7, vcc
	global_store_short v[6:7], v3, off
	s_or_b64 exec, exec, s[14:15]
	s_and_saveexec_b64 s[14:15], s[2:3]
	s_cbranch_execz .LBB169_59
.LBB169_85:
	v_bfe_u32 v3, v13, 16, 1
	s_movk_i32 s9, 0x7fff
	v_add3_u32 v3, v13, v3, s9
	v_cmp_o_f32_e32 vcc, v13, v13
	v_mov_b32_e32 v6, 0x7fc0
	v_cndmask_b32_sdwa v3, v6, v3, vcc dst_sel:DWORD dst_unused:UNUSED_PAD src0_sel:DWORD src1_sel:WORD_1
	v_add_u32_e32 v6, v2, v19
	v_mov_b32_e32 v7, 0
	v_lshlrev_b64 v[6:7], 1, v[6:7]
	s_waitcnt lgkmcnt(0)
	v_mov_b32_e32 v10, s13
	v_add_co_u32_e32 v6, vcc, s12, v6
	v_addc_co_u32_e32 v7, vcc, v10, v7, vcc
	global_store_short v[6:7], v3, off
	s_or_b64 exec, exec, s[14:15]
	s_and_saveexec_b64 s[14:15], s[4:5]
	s_cbranch_execz .LBB169_60
.LBB169_86:
	v_bfe_u32 v3, v9, 16, 1
	s_movk_i32 s9, 0x7fff
	v_add3_u32 v3, v9, v3, s9
	v_cmp_o_f32_e32 vcc, v9, v9
	v_mov_b32_e32 v6, 0x7fc0
	v_cndmask_b32_sdwa v3, v6, v3, vcc dst_sel:DWORD dst_unused:UNUSED_PAD src0_sel:DWORD src1_sel:WORD_1
	v_add_u32_e32 v6, v2, v31
	v_mov_b32_e32 v7, 0
	v_lshlrev_b64 v[6:7], 1, v[6:7]
	s_waitcnt lgkmcnt(0)
	v_mov_b32_e32 v9, s13
	v_add_co_u32_e32 v6, vcc, s12, v6
	v_addc_co_u32_e32 v7, vcc, v9, v7, vcc
	global_store_short v[6:7], v3, off
	s_or_b64 exec, exec, s[14:15]
	s_and_saveexec_b64 s[14:15], s[6:7]
	s_cbranch_execnz .LBB169_61
	s_branch .LBB169_62
.LBB169_87:
	v_bfe_u32 v2, v16, 16, 1
	s_movk_i32 s0, 0x7fff
	v_add3_u32 v2, v16, v2, s0
	v_cmp_o_f32_e32 vcc, v16, v16
	v_mov_b32_e32 v3, 0x7fc0
	v_cndmask_b32_sdwa v5, v3, v2, vcc dst_sel:DWORD dst_unused:UNUSED_PAD src0_sel:DWORD src1_sel:WORD_1
	v_add_u32_e32 v2, v1, v0
	v_mov_b32_e32 v3, 0
	v_lshlrev_b64 v[2:3], 1, v[2:3]
	s_waitcnt lgkmcnt(0)
	v_mov_b32_e32 v0, s13
	v_add_co_u32_e32 v2, vcc, s12, v2
	v_addc_co_u32_e32 v3, vcc, v0, v3, vcc
	global_store_short v[2:3], v5, off
	s_or_b64 exec, exec, s[8:9]
	s_and_saveexec_b64 s[0:1], s[2:3]
	s_cbranch_execz .LBB169_65
.LBB169_88:
	v_bfe_u32 v0, v12, 16, 1
	s_movk_i32 s2, 0x7fff
	v_add3_u32 v0, v12, v0, s2
	v_cmp_o_f32_e32 vcc, v12, v12
	v_mov_b32_e32 v2, 0x7fc0
	v_cndmask_b32_sdwa v0, v2, v0, vcc dst_sel:DWORD dst_unused:UNUSED_PAD src0_sel:DWORD src1_sel:WORD_1
	v_add_u32_e32 v2, v1, v19
	v_mov_b32_e32 v3, 0
	v_lshlrev_b64 v[2:3], 1, v[2:3]
	s_waitcnt lgkmcnt(0)
	v_mov_b32_e32 v5, s13
	v_add_co_u32_e32 v2, vcc, s12, v2
	v_addc_co_u32_e32 v3, vcc, v5, v3, vcc
	global_store_short v[2:3], v0, off
	s_or_b64 exec, exec, s[0:1]
	s_and_saveexec_b64 s[0:1], s[4:5]
	s_cbranch_execz .LBB169_66
.LBB169_89:
	v_bfe_u32 v0, v8, 16, 1
	s_movk_i32 s2, 0x7fff
	v_add3_u32 v0, v8, v0, s2
	v_cmp_o_f32_e32 vcc, v8, v8
	v_mov_b32_e32 v2, 0x7fc0
	v_cndmask_b32_sdwa v0, v2, v0, vcc dst_sel:DWORD dst_unused:UNUSED_PAD src0_sel:DWORD src1_sel:WORD_1
	v_add_u32_e32 v2, v1, v31
	v_mov_b32_e32 v3, 0
	v_lshlrev_b64 v[2:3], 1, v[2:3]
	s_waitcnt lgkmcnt(0)
	v_mov_b32_e32 v5, s13
	v_add_co_u32_e32 v2, vcc, s12, v2
	v_addc_co_u32_e32 v3, vcc, v5, v3, vcc
	global_store_short v[2:3], v0, off
	s_or_b64 exec, exec, s[0:1]
	s_and_b64 exec, exec, s[6:7]
	s_cbranch_execnz .LBB169_67
	s_branch .LBB169_68
	.section	.rodata,"a",@progbits
	.p2align	6, 0x0
	.amdhsa_kernel _ZL12mul_mat_q3_KIN3c108BFloat16ELb0EEvPKvS3_PT_iiiii
		.amdhsa_group_segment_fixed_size 39840
		.amdhsa_private_segment_fixed_size 0
		.amdhsa_kernarg_size 44
		.amdhsa_user_sgpr_count 6
		.amdhsa_user_sgpr_private_segment_buffer 1
		.amdhsa_user_sgpr_dispatch_ptr 0
		.amdhsa_user_sgpr_queue_ptr 0
		.amdhsa_user_sgpr_kernarg_segment_ptr 1
		.amdhsa_user_sgpr_dispatch_id 0
		.amdhsa_user_sgpr_flat_scratch_init 0
		.amdhsa_user_sgpr_private_segment_size 0
		.amdhsa_uses_dynamic_stack 0
		.amdhsa_system_sgpr_private_segment_wavefront_offset 0
		.amdhsa_system_sgpr_workgroup_id_x 1
		.amdhsa_system_sgpr_workgroup_id_y 1
		.amdhsa_system_sgpr_workgroup_id_z 0
		.amdhsa_system_sgpr_workgroup_info 0
		.amdhsa_system_vgpr_workitem_id 1
		.amdhsa_next_free_vgpr 242
		.amdhsa_next_free_sgpr 98
		.amdhsa_reserve_vcc 1
		.amdhsa_reserve_flat_scratch 0
		.amdhsa_float_round_mode_32 0
		.amdhsa_float_round_mode_16_64 0
		.amdhsa_float_denorm_mode_32 3
		.amdhsa_float_denorm_mode_16_64 3
		.amdhsa_dx10_clamp 1
		.amdhsa_ieee_mode 1
		.amdhsa_fp16_overflow 0
		.amdhsa_exception_fp_ieee_invalid_op 0
		.amdhsa_exception_fp_denorm_src 0
		.amdhsa_exception_fp_ieee_div_zero 0
		.amdhsa_exception_fp_ieee_overflow 0
		.amdhsa_exception_fp_ieee_underflow 0
		.amdhsa_exception_fp_ieee_inexact 0
		.amdhsa_exception_int_div_zero 0
	.end_amdhsa_kernel
	.section	.text._ZL12mul_mat_q3_KIN3c108BFloat16ELb0EEvPKvS3_PT_iiiii,"axG",@progbits,_ZL12mul_mat_q3_KIN3c108BFloat16ELb0EEvPKvS3_PT_iiiii,comdat
.Lfunc_end169:
	.size	_ZL12mul_mat_q3_KIN3c108BFloat16ELb0EEvPKvS3_PT_iiiii, .Lfunc_end169-_ZL12mul_mat_q3_KIN3c108BFloat16ELb0EEvPKvS3_PT_iiiii
                                        ; -- End function
	.set _ZL12mul_mat_q3_KIN3c108BFloat16ELb0EEvPKvS3_PT_iiiii.num_vgpr, 242
	.set _ZL12mul_mat_q3_KIN3c108BFloat16ELb0EEvPKvS3_PT_iiiii.num_agpr, 0
	.set _ZL12mul_mat_q3_KIN3c108BFloat16ELb0EEvPKvS3_PT_iiiii.numbered_sgpr, 25
	.set _ZL12mul_mat_q3_KIN3c108BFloat16ELb0EEvPKvS3_PT_iiiii.num_named_barrier, 0
	.set _ZL12mul_mat_q3_KIN3c108BFloat16ELb0EEvPKvS3_PT_iiiii.private_seg_size, 0
	.set _ZL12mul_mat_q3_KIN3c108BFloat16ELb0EEvPKvS3_PT_iiiii.uses_vcc, 1
	.set _ZL12mul_mat_q3_KIN3c108BFloat16ELb0EEvPKvS3_PT_iiiii.uses_flat_scratch, 0
	.set _ZL12mul_mat_q3_KIN3c108BFloat16ELb0EEvPKvS3_PT_iiiii.has_dyn_sized_stack, 0
	.set _ZL12mul_mat_q3_KIN3c108BFloat16ELb0EEvPKvS3_PT_iiiii.has_recursion, 0
	.set _ZL12mul_mat_q3_KIN3c108BFloat16ELb0EEvPKvS3_PT_iiiii.has_indirect_call, 0
	.section	.AMDGPU.csdata,"",@progbits
; Kernel info:
; codeLenInByte = 35812
; TotalNumSgprs: 29
; NumVgprs: 242
; ScratchSize: 0
; MemoryBound: 0
; FloatMode: 240
; IeeeMode: 1
; LDSByteSize: 39840 bytes/workgroup (compile time only)
; SGPRBlocks: 12
; VGPRBlocks: 60
; NumSGPRsForWavesPerEU: 102
; NumVGPRsForWavesPerEU: 242
; Occupancy: 1
; WaveLimiterHint : 0
; COMPUTE_PGM_RSRC2:SCRATCH_EN: 0
; COMPUTE_PGM_RSRC2:USER_SGPR: 6
; COMPUTE_PGM_RSRC2:TRAP_HANDLER: 0
; COMPUTE_PGM_RSRC2:TGID_X_EN: 1
; COMPUTE_PGM_RSRC2:TGID_Y_EN: 1
; COMPUTE_PGM_RSRC2:TGID_Z_EN: 0
; COMPUTE_PGM_RSRC2:TIDIG_COMP_CNT: 1
	.section	.text._ZL12mul_mat_q3_KIN3c108BFloat16ELb1EEvPKvS3_PT_iiiii,"axG",@progbits,_ZL12mul_mat_q3_KIN3c108BFloat16ELb1EEvPKvS3_PT_iiiii,comdat
	.globl	_ZL12mul_mat_q3_KIN3c108BFloat16ELb1EEvPKvS3_PT_iiiii ; -- Begin function _ZL12mul_mat_q3_KIN3c108BFloat16ELb1EEvPKvS3_PT_iiiii
	.p2align	8
	.type	_ZL12mul_mat_q3_KIN3c108BFloat16ELb1EEvPKvS3_PT_iiiii,@function
_ZL12mul_mat_q3_KIN3c108BFloat16ELb1EEvPKvS3_PT_iiiii: ; @_ZL12mul_mat_q3_KIN3c108BFloat16ELb1EEvPKvS3_PT_iiiii
; %bb.0:
	s_load_dwordx4 s[8:11], s[4:5], 0x18
	s_load_dword s14, s[4:5], 0x28
	s_lshl_b32 s15, s7, 6
	v_add_u32_e32 v70, s15, v1
	s_waitcnt lgkmcnt(0)
	s_cmpk_gt_i32 s8, 0xff
	s_cbranch_scc1 .LBB170_2
; %bb.1:
	v_add_u32_e32 v34, s15, v1
	s_mov_b64 s[0:1], 0
	s_branch .LBB170_3
.LBB170_2:
	s_mov_b64 s[0:1], -1
                                        ; implicit-def: $vgpr34
.LBB170_3:
	s_load_dwordx2 s[12:13], s[4:5], 0x10
	s_lshl_b32 s6, s6, 7
	v_mov_b32_e32 v4, 0
	s_andn2_b64 vcc, exec, s[0:1]
	v_mov_b32_e32 v5, 0
	v_mov_b32_e32 v2, 0
	;; [unrolled: 1-line block ×31, first 2 shown]
	s_cbranch_vccnz .LBB170_17
; %bb.4:
	s_load_dwordx4 s[0:3], s[4:5], 0x0
	s_ashr_i32 s4, s8, 31
	s_lshr_b32 s4, s4, 24
	s_add_i32 s4, s8, s4
	s_ashr_i32 s5, s11, 31
	s_ashr_i32 s4, s4, 8
	s_lshr_b32 s5, s5, 27
	s_add_i32 s5, s11, s5
	s_mul_i32 s7, s4, s6
	s_ashr_i32 s8, s5, 5
	s_mul_hi_i32 s11, s7, 0x6e
	s_mulk_i32 s7, 0x6e
	s_waitcnt lgkmcnt(0)
	s_add_u32 s0, s0, s7
	s_addc_u32 s1, s1, s11
	s_not_b32 s7, s6
	s_add_i32 s9, s9, s7
	v_and_b32_e32 v3, 15, v0
	v_min_i32_e32 v4, s9, v1
	v_lshlrev_b32_e32 v2, 2, v0
	s_movk_i32 s11, 0x84
	v_add_u32_e32 v12, 8, v1
	v_mul_lo_u32 v73, v4, s4
	v_mad_u64_u32 v[42:43], s[16:17], v4, s11, v[2:3]
	v_min_i32_e32 v4, s9, v12
	v_add_u32_e32 v13, 16, v1
	v_mul_lo_u32 v74, v4, s4
	v_mad_u64_u32 v[43:44], s[16:17], v4, s11, v[2:3]
	v_min_i32_e32 v4, s9, v13
	;; [unrolled: 4-line block ×7, first 2 shown]
	v_mul_lo_u32 v80, v4, s4
	v_mad_u64_u32 v[49:50], s[16:17], v4, s11, v[2:3]
	v_add_u32_e32 v4, 64, v1
	v_min_i32_e32 v4, s9, v4
	v_mul_lo_u32 v81, v4, s4
	v_mad_u64_u32 v[50:51], s[16:17], v4, s11, v[2:3]
	v_add_u32_e32 v4, 0x48, v1
	v_min_i32_e32 v4, s9, v4
	;; [unrolled: 4-line block ×8, first 2 shown]
	v_lshlrev_b32_e32 v20, 4, v1
	v_lshrrev_b32_e32 v90, 1, v0
	v_mul_lo_u32 v88, v4, s4
	v_mad_u64_u32 v[57:58], s[16:17], v4, s11, v[2:3]
	v_add_u32_e32 v4, v90, v20
	v_and_b32_e32 v4, 0x7f, v4
	v_min_i32_e32 v4, s9, v4
	v_ashrrev_i32_e32 v5, 31, v4
	v_lshrrev_b32_e32 v5, 28, v5
	v_add_u32_e32 v5, v4, v5
	v_lshrrev_b32_e32 v71, 4, v0
	v_and_b32_e32 v89, 1, v0
	v_ashrrev_i32_e32 v5, 4, v5
	v_mul_lo_u32 v91, v4, s4
	v_lshlrev_b32_e32 v5, 2, v5
	v_lshlrev_b32_e32 v6, 2, v89
	s_mov_b32 s11, 0x9380
	v_lshlrev_b32_e32 v23, 3, v4
	v_lshl_add_u32 v4, v1, 1, v71
	v_add3_u32 v22, v5, v6, s11
	v_min_i32_e32 v5, s9, v4
	v_lshrrev_b32_e32 v6, 31, v5
	v_mul_lo_u32 v94, v5, s4
	v_add_lshl_u32 v6, v5, v6, 1
	v_lshlrev_b32_e32 v25, 6, v5
	v_add_u32_e32 v5, 16, v4
	v_lshlrev_b32_e32 v72, 2, v3
	v_and_b32_e32 v6, -4, v6
	s_movk_i32 s11, 0x4200
	v_min_i32_e32 v5, s9, v5
	v_add3_u32 v24, v6, v72, s11
	v_lshrrev_b32_e32 v6, 31, v5
	v_mul_lo_u32 v95, v5, s4
	v_add_lshl_u32 v6, v5, v6, 1
	v_lshlrev_b32_e32 v27, 6, v5
	v_add_u32_e32 v5, 32, v4
	v_and_b32_e32 v6, -4, v6
	v_min_i32_e32 v5, s9, v5
	v_add3_u32 v26, v6, v72, s11
	v_lshrrev_b32_e32 v6, 31, v5
	v_mul_lo_u32 v96, v5, s4
	v_add_lshl_u32 v6, v5, v6, 1
	v_lshlrev_b32_e32 v29, 6, v5
	v_add_u32_e32 v5, 48, v4
	v_and_b32_e32 v6, -4, v6
	;; [unrolled: 8-line block ×5, first 2 shown]
	v_min_i32_e32 v5, s9, v5
	v_add_u32_e32 v4, 0x70, v4
	v_add3_u32 v34, v6, v72, s11
	v_lshrrev_b32_e32 v6, 31, v5
	v_min_i32_e32 v4, s9, v4
	v_mul_lo_u32 v100, v5, s4
	v_add_lshl_u32 v6, v5, v6, 1
	v_lshlrev_b32_e32 v37, 6, v5
	v_lshrrev_b32_e32 v5, 31, v4
	v_cmp_lt_u32_e32 vcc, 7, v3
	v_and_b32_e32 v3, 7, v0
	v_add_lshl_u32 v5, v4, v5, 1
	v_cndmask_b32_e64 v92, 0, 1, vcc
	v_lshlrev_b32_e32 v93, 2, v3
	v_and_b32_e32 v5, -4, v5
	v_cmp_lt_u32_e32 vcc, 3, v3
	v_and_b32_e32 v3, 3, v0
	v_and_b32_e32 v6, -4, v6
	v_add3_u32 v38, v5, v72, s11
	v_lshrrev_b32_e32 v102, 3, v0
	v_cndmask_b32_e64 v103, 0, 1, vcc
	v_add_u16_e32 v5, -2, v3
	v_cmp_gt_u32_e32 vcc, 2, v3
	v_add3_u32 v36, v6, v72, s11
	v_mul_lo_u32 v101, v4, s4
	v_lshlrev_b32_e32 v39, 6, v4
	v_lshl_add_u32 v4, v1, 2, v102
	v_cndmask_b32_e32 v5, v5, v3, vcc
	v_mov_b32_e32 v6, 2
	v_lshlrev_b32_sdwa v106, v6, v5 dst_sel:DWORD dst_unused:UNUSED_PAD src0_sel:DWORD src1_sel:BYTE_0
	v_min_i32_e32 v5, s9, v4
	v_ashrrev_i32_e32 v6, 31, v5
	v_lshrrev_b32_e32 v6, 30, v6
	v_mul_lo_u32 v108, v5, s4
	v_add_u32_e32 v6, v5, v6
	v_lshlrev_b32_e32 v41, 5, v5
	v_add_u32_e32 v5, 32, v4
	v_and_b32_e32 v6, -4, v6
	s_mov_b32 s11, 0x8300
	v_min_i32_e32 v5, s9, v5
	v_add3_u32 v40, v6, v93, s11
	v_ashrrev_i32_e32 v6, 31, v5
	v_lshrrev_b32_e32 v6, 30, v6
	v_mul_lo_u32 v109, v5, s4
	v_add_u32_e32 v6, v5, v6
	v_lshlrev_b32_e32 v62, 5, v5
	v_add_u32_e32 v5, 64, v4
	v_and_b32_e32 v6, -4, v6
	v_min_i32_e32 v5, s9, v5
	v_add3_u32 v61, v6, v93, s11
	v_ashrrev_i32_e32 v6, 31, v5
	v_add_u32_e32 v4, 0x60, v4
	v_lshrrev_b32_e32 v6, 30, v6
	v_min_i32_e32 v4, s9, v4
	v_mul_lo_u32 v110, v5, s4
	v_add_u32_e32 v6, v5, v6
	v_lshlrev_b32_e32 v64, 5, v5
	v_ashrrev_i32_e32 v5, 31, v4
	v_lshrrev_b32_e32 v5, 30, v5
	v_add_u32_e32 v5, v4, v5
	v_and_b32_e32 v5, -4, v5
	s_add_i32 s9, s10, -1
	v_add_u32_e32 v8, 8, v70
	v_mul_lo_u32 v111, v4, s4
	v_add3_u32 v65, v5, v93, s11
	v_lshlrev_b32_e32 v66, 5, v4
	v_cvt_f64_i32_e32 v[4:5], s9
	v_cvt_f64_u32_e32 v[8:9], v8
	v_add_u32_e32 v10, 16, v70
	v_cvt_f64_u32_e32 v[10:11], v10
	v_and_b32_e32 v6, -4, v6
	v_add3_u32 v63, v6, v93, s11
	v_and_b32_e32 v6, 31, v0
	v_and_b32_e32 v21, 28, v2
	v_mov_b32_e32 v2, 0x6300
	v_min_f64 v[8:9], v[8:9], v[4:5]
	v_lshl_or_b32 v112, v6, 2, v2
	v_lshrrev_b32_e32 v2, 2, v0
	v_min_f64 v[10:11], v[10:11], v[4:5]
	v_lshl_add_u32 v2, v1, 3, v2
	v_and_b32_e32 v2, 63, v2
	v_cvt_f64_u32_e32 v[6:7], v70
	v_or_b32_e32 v58, s15, v2
	v_min_i32_e32 v58, s9, v58
	v_lshlrev_b32_e32 v107, 1, v3
	v_mad_u64_u32 v[58:59], s[16:17], v58, s8, v[3:4]
	v_lshlrev_b32_e32 v3, 2, v3
	v_lshl_or_b32 v2, v2, 4, v3
	v_min_f64 v[6:7], v[6:7], v[4:5]
	v_add_u32_e32 v113, 0x97a0, v2
	v_cvt_i32_f64_e32 v2, v[8:9]
	v_cvt_i32_f64_e32 v3, v[10:11]
	v_add_u32_e32 v8, 40, v70
	v_cvt_f64_u32_e32 v[8:9], v8
	v_mul_lo_u32 v116, s8, v2
	v_add_u32_e32 v2, 24, v70
	v_mul_lo_u32 v117, s8, v3
	v_cvt_f64_u32_e32 v[2:3], v2
	v_cvt_i32_f64_e32 v6, v[6:7]
	v_lshlrev_b32_e32 v67, 7, v12
	v_add_u32_e32 v10, 48, v70
	v_min_f64 v[2:3], v[2:3], v[4:5]
	v_mul_lo_u32 v114, s8, v6
	v_add_u32_e32 v6, 32, v70
	v_add_u32_e32 v12, 56, v70
	v_cvt_f64_u32_e32 v[6:7], v6
	v_lshlrev_b32_e32 v68, 7, v13
	v_cvt_f64_u32_e32 v[10:11], v10
	v_cvt_f64_u32_e32 v[12:13], v12
	v_min_f64 v[8:9], v[8:9], v[4:5]
	v_min_f64 v[6:7], v[6:7], v[4:5]
	v_cvt_i32_f64_e32 v59, v[2:3]
	v_min_f64 v[2:3], v[10:11], v[4:5]
	v_min_f64 v[4:5], v[12:13], v[4:5]
	v_add_u32_e32 v11, 64, v0
	v_mov_b32_e32 v18, 0
	v_mul_lo_u32 v118, s8, v59
	v_cvt_i32_f64_e32 v8, v[8:9]
	v_cvt_i32_f64_e32 v6, v[6:7]
	v_lshlrev_b32_e32 v7, 7, v14
	v_cvt_i32_f64_e32 v2, v[2:3]
	v_cvt_i32_f64_e32 v3, v[4:5]
	v_mul_lo_u32 v120, s8, v8
	v_add_u32_e32 v8, 32, v0
	v_lshlrev_b32_e32 v5, 5, v0
	v_lshrrev_b32_e32 v9, 1, v8
	v_lshrrev_b32_e32 v10, 4, v8
	v_lshlrev_b32_e32 v125, 6, v8
	v_lshlrev_b32_e32 v126, 3, v8
	v_lshrrev_b32_e32 v131, 3, v8
	v_and_b32_e32 v8, 0x1fc, v8
	v_mul_lo_u32 v119, s8, v6
	v_mul_lo_u32 v121, s8, v2
	v_lshlrev_b32_e32 v2, 7, v17
	v_mul_lo_u32 v122, s8, v3
	v_add_u32_e32 v14, 0x60, v0
	v_mov_b32_e32 v17, s3
	v_add_co_u32_e32 v59, vcc, s2, v21
	v_add_u32_e32 v136, v5, v8
	v_and_b32_e32 v8, 0x1fc, v11
	v_lshlrev_b32_e32 v6, 7, v15
	v_lshlrev_b32_e32 v4, 7, v16
	;; [unrolled: 1-line block ×3, first 2 shown]
	v_lshrrev_b32_e32 v12, 1, v11
	v_lshrrev_b32_e32 v13, 4, v11
	;; [unrolled: 1-line block ×4, first 2 shown]
	v_addc_co_u32_e32 v60, vcc, 0, v17, vcc
	v_and_b32_e32 v17, 0xfc, v0
	v_add_u32_e32 v138, v5, v8
	v_and_b32_e32 v8, 0x1fc, v14
	v_mov_b32_e32 v21, v18
	v_lshlrev_b32_e32 v104, 1, v0
	v_lshlrev_b32_e32 v115, 7, v1
	;; [unrolled: 1-line block ×6, first 2 shown]
	v_lshrrev_b32_e32 v132, 3, v11
	v_lshrrev_b32_e32 v133, 3, v14
	v_add_u32_e32 v134, v5, v17
	v_add_u32_e32 v140, v5, v8
	;; [unrolled: 1-line block ×3, first 2 shown]
	v_mov_b32_e32 v19, v18
	v_mov_b32_e32 v20, v18
	v_add_u32_e32 v144, v22, v23
	v_add_u32_e32 v145, v24, v25
	;; [unrolled: 1-line block ×11, first 2 shown]
	v_lshlrev_b32_e32 v165, 2, v9
	v_lshlrev_b32_e32 v166, 2, v10
	;; [unrolled: 1-line block ×6, first 2 shown]
	v_mov_b32_e32 v14, v18
	v_mov_b32_e32 v33, v21
	;; [unrolled: 1-line block ×7, first 2 shown]
	s_movk_i32 s5, 0x6e
	s_mov_b32 s7, 0
	v_and_b32_e32 v105, 4, v104
	v_mul_u32_u24_e32 v123, 0x84, v0
	v_lshlrev_b32_e32 v124, 6, v0
	v_add_u32_e32 v135, 0x8300, v134
	v_add_u32_e32 v137, 0x8700, v136
	;; [unrolled: 1-line block ×8, first 2 shown]
	s_mov_b32 s8, 0x30303030
	s_movk_i32 s9, 0x3f00
	s_movk_i32 s11, 0xe000
	v_add_u32_e32 v153, v40, v41
	v_add_u32_e32 v154, v61, v62
	;; [unrolled: 1-line block ×4, first 2 shown]
	v_mov_b32_e32 v157, 8
	v_add_u32_e32 v158, v112, v67
	v_add_u32_e32 v159, v112, v68
	v_mov_b32_e32 v15, v19
	v_mov_b32_e32 v16, v20
	;; [unrolled: 1-line block ×21, first 2 shown]
	s_branch .LBB170_6
.LBB170_5:                              ;   in Loop: Header=BB170_6 Depth=1
	s_add_i32 s7, s7, 2
	s_cmp_ge_i32 s7, s4
	s_cbranch_scc1 .LBB170_16
.LBB170_6:                              ; =>This Loop Header: Depth=1
                                        ;     Child Loop BB170_7 Depth 2
                                        ;     Child Loop BB170_9 Depth 2
	;; [unrolled: 1-line block ×4, first 2 shown]
	s_mul_i32 s16, s7, 0x6e
	s_mul_hi_u32 s17, s7, 0x6e
	s_add_u32 s16, s0, s16
	s_addc_u32 s17, s1, s17
	v_mov_b32_e32 v35, s17
	v_mov_b32_e32 v34, s16
	v_mad_u64_u32 v[36:37], s[16:17], v71, s5, v[34:35]
	s_mov_b32 s20, -2
	v_mad_i64_i32 v[38:39], s[16:17], v73, s5, v[36:37]
	v_mad_i64_i32 v[40:41], s[16:17], v74, s5, v[36:37]
	v_add_co_u32_e32 v38, vcc, v38, v72
	v_mad_i64_i32 v[61:62], s[16:17], v75, s5, v[36:37]
	v_addc_co_u32_e32 v39, vcc, 0, v39, vcc
	v_add_co_u32_e32 v40, vcc, v40, v72
	v_mad_i64_i32 v[63:64], s[16:17], v76, s5, v[36:37]
	v_addc_co_u32_e32 v41, vcc, 0, v41, vcc
	;; [unrolled: 3-line block ×6, first 2 shown]
	v_add_co_u32_e32 v171, vcc, v171, v72
	v_addc_co_u32_e32 v172, vcc, 0, v172, vcc
	v_mad_i64_i32 v[175:176], s[16:17], v81, s5, v[36:37]
	v_add_co_u32_e32 v173, vcc, v173, v72
	v_addc_co_u32_e32 v174, vcc, 0, v174, vcc
	global_load_dword v69, v[38:39], off offset:32
	global_load_dword v177, v[40:41], off offset:32
	;; [unrolled: 1-line block ×8, first 2 shown]
	v_mad_i64_i32 v[40:41], s[16:17], v82, s5, v[36:37]
	v_add_co_u32_e32 v38, vcc, v175, v72
	v_mad_i64_i32 v[61:62], s[16:17], v83, s5, v[36:37]
	v_addc_co_u32_e32 v39, vcc, 0, v176, vcc
	v_add_co_u32_e32 v40, vcc, v40, v72
	v_mad_i64_i32 v[63:64], s[16:17], v84, s5, v[36:37]
	v_addc_co_u32_e32 v41, vcc, 0, v41, vcc
	;; [unrolled: 3-line block ×6, first 2 shown]
	v_mad_i64_i32 v[173:174], s[16:17], v91, s5, v[34:35]
	v_add_co_u32_e32 v171, vcc, v171, v72
	v_mad_u64_u32 v[175:176], s[16:17], v92, s5, v[34:35]
	v_addc_co_u32_e32 v172, vcc, 0, v172, vcc
	v_add_co_u32_e32 v36, vcc, v36, v72
	v_addc_co_u32_e32 v37, vcc, 0, v37, vcc
	v_mad_u64_u32 v[173:174], s[16:17], v89, s5, v[173:174]
	global_load_dword v184, v[38:39], off offset:32
	global_load_dword v185, v[40:41], off offset:32
	;; [unrolled: 1-line block ×6, first 2 shown]
	s_nop 0
	global_load_dword v171, v[171:172], off offset:32
	s_nop 0
	global_load_dword v172, v[36:37], off offset:32
	s_nop 0
	global_load_ushort v173, v[173:174], off offset:108
	v_add_co_u32_e32 v36, vcc, v175, v93
	v_addc_co_u32_e32 v37, vcc, 0, v176, vcc
	v_mad_i64_i32 v[38:39], s[16:17], v94, s5, v[36:37]
	v_mad_i64_i32 v[40:41], s[16:17], v95, s5, v[36:37]
	;; [unrolled: 1-line block ×4, first 2 shown]
	global_load_dword v174, v[38:39], off
	global_load_dword v175, v[40:41], off
	;; [unrolled: 1-line block ×4, first 2 shown]
	v_mad_i64_i32 v[38:39], s[16:17], v98, s5, v[36:37]
	v_mad_i64_i32 v[40:41], s[16:17], v99, s5, v[36:37]
	;; [unrolled: 1-line block ×3, first 2 shown]
	global_load_dword v191, v[38:39], off
	global_load_dword v192, v[40:41], off
	;; [unrolled: 1-line block ×3, first 2 shown]
	v_mad_u64_u32 v[34:35], s[16:17], v103, s5, v[34:35]
	v_mad_i64_i32 v[36:37], s[16:17], v101, s5, v[36:37]
	v_mad_i64_i32 v[38:39], s[16:17], v108, s5, v[34:35]
	;; [unrolled: 1-line block ×3, first 2 shown]
	v_add_co_u32_e32 v40, vcc, v38, v106
	v_mad_i64_i32 v[63:64], s[16:17], v110, s5, v[34:35]
	v_addc_co_u32_e32 v41, vcc, 0, v39, vcc
	v_add_co_u32_e32 v65, vcc, v61, v106
	v_addc_co_u32_e32 v66, vcc, 0, v62, vcc
	v_add_co_u32_e32 v67, vcc, v63, v106
	v_addc_co_u32_e32 v68, vcc, 0, v64, vcc
	v_mad_i64_i32 v[34:35], s[16:17], v111, s5, v[34:35]
	global_load_dword v194, v[36:37], off
	global_load_dword v195, v[40:41], off offset:96
	s_nop 0
	global_load_dword v65, v[65:66], off offset:96
	s_nop 0
	global_load_dword v66, v[67:68], off offset:96
	s_nop 0
	global_load_dword v67, v[34:35], off offset:104
	s_nop 0
	global_load_dword v63, v[63:64], off offset:104
	s_nop 0
	global_load_dword v64, v[61:62], off offset:104
	global_load_dword v68, v[38:39], off offset:104
	s_waitcnt vmcnt(31)
	ds_write_b32 v42, v69
	s_waitcnt vmcnt(30)
	ds_write_b32 v43, v177
	;; [unrolled: 2-line block ×13, first 2 shown]
	v_add_co_u32_e32 v34, vcc, v34, v106
	v_addc_co_u32_e32 v35, vcc, 0, v35, vcc
	s_waitcnt vmcnt(15)
	v_cvt_f32_f16_e32 v36, v173
	ds_write_b32 v55, v189
	ds_write_b32 v56, v171
	;; [unrolled: 1-line block ×4, first 2 shown]
	global_load_dword v69, v[34:35], off offset:96
	s_lshl_b32 s16, s7, 3
	v_add_u32_e32 v171, s16, v102
	v_add_u32_e32 v34, v171, v114
	v_mad_i64_i32 v[34:35], s[18:19], v34, 36, v[59:60]
	v_add_u32_e32 v38, v171, v117
	s_waitcnt vmcnt(15)
	v_not_b32_e32 v36, v174
	ds_write_b32 v145, v36
	s_waitcnt vmcnt(14)
	v_not_b32_e32 v36, v175
	ds_write_b32 v146, v36
	;; [unrolled: 3-line block ×7, first 2 shown]
	v_add_u32_e32 v36, v171, v116
	v_mad_i64_i32 v[36:37], s[18:19], v36, 36, v[59:60]
	v_mad_i64_i32 v[38:39], s[18:19], v38, 36, v[59:60]
	v_add_u32_e32 v40, v171, v118
	v_add_u32_e32 v61, v171, v119
	v_add_u32_e32 v174, s16, v58
	v_mad_i64_i32 v[40:41], s[18:19], v40, 36, v[59:60]
	v_mad_i64_i32 v[61:62], s[18:19], v61, 36, v[59:60]
	global_load_dword v172, v[34:35], off offset:4
	global_load_dword v173, v[36:37], off offset:4
	;; [unrolled: 1-line block ×4, first 2 shown]
	s_nop 0
	global_load_dword v61, v[61:62], off offset:4
	v_add_u32_e32 v34, v171, v120
	v_mad_u64_u32 v[38:39], s[18:19], v174, 36, s[2:3]
	v_mad_i64_i32 v[34:35], s[18:19], v34, 36, v[59:60]
	v_add_u32_e32 v36, v171, v121
	v_mad_i64_i32 v[36:37], s[18:19], v36, 36, v[59:60]
	v_add_u32_e32 v40, v171, v122
	v_mad_i64_i32 v[40:41], s[18:19], v40, 36, v[59:60]
	global_load_dword v38, v[38:39], off
	s_nop 0
	global_load_dword v34, v[34:35], off offset:4
	s_nop 0
	global_load_dword v35, v[36:37], off offset:4
	;; [unrolled: 2-line block ×3, first 2 shown]
	s_waitcnt vmcnt(17)
	v_not_b32_e32 v37, v194
	ds_write_b32 v152, v37
	s_waitcnt vmcnt(16)
	v_ashrrev_i32_e32 v37, v105, v195
	s_waitcnt vmcnt(10)
	v_ashrrev_i32_e32 v39, v107, v68
	v_and_b32_e32 v37, 0xf0f0f0f, v37
	v_lshlrev_b32_e32 v39, 4, v39
	v_and_or_b32 v37, v39, s8, v37
	v_lshlrev_b16_e32 v40, 8, v37
	v_and_b32_e32 v39, 0x3f00, v37
	v_add_u16_e32 v40, 0xe000, v40
	v_or_b32_sdwa v39, v39, v40 dst_sel:DWORD dst_unused:UNUSED_PAD src0_sel:DWORD src1_sel:BYTE_1
	v_and_b32_sdwa v40, v37, s9 dst_sel:DWORD dst_unused:UNUSED_PAD src0_sel:WORD_1 src1_sel:DWORD
	v_lshlrev_b16_sdwa v37, v157, v37 dst_sel:DWORD dst_unused:UNUSED_PAD src0_sel:DWORD src1_sel:WORD_1
	v_add_u16_e32 v37, 0xe000, v37
	v_or_b32_sdwa v37, v40, v37 dst_sel:DWORD dst_unused:UNUSED_PAD src0_sel:DWORD src1_sel:BYTE_1
	v_add_u16_e32 v39, 0xe000, v39
	v_add_u16_sdwa v37, v37, s11 dst_sel:WORD_1 dst_unused:UNUSED_PAD src0_sel:DWORD src1_sel:DWORD
	v_or_b32_e32 v37, v39, v37
	ds_write_b32 v153, v37
	v_ashrrev_i32_e32 v37, v105, v65
	v_ashrrev_i32_e32 v39, v107, v64
	v_and_b32_e32 v37, 0xf0f0f0f, v37
	v_lshlrev_b32_e32 v39, 4, v39
	v_and_or_b32 v37, v39, s8, v37
	v_lshlrev_b16_e32 v40, 8, v37
	v_and_b32_e32 v39, 0x3f00, v37
	v_add_u16_e32 v40, 0xe000, v40
	v_or_b32_sdwa v39, v39, v40 dst_sel:DWORD dst_unused:UNUSED_PAD src0_sel:DWORD src1_sel:BYTE_1
	v_and_b32_sdwa v40, v37, s9 dst_sel:DWORD dst_unused:UNUSED_PAD src0_sel:WORD_1 src1_sel:DWORD
	v_lshlrev_b16_sdwa v37, v157, v37 dst_sel:DWORD dst_unused:UNUSED_PAD src0_sel:DWORD src1_sel:WORD_1
	v_add_u16_e32 v37, 0xe000, v37
	v_or_b32_sdwa v37, v40, v37 dst_sel:DWORD dst_unused:UNUSED_PAD src0_sel:DWORD src1_sel:BYTE_1
	v_add_u16_e32 v39, 0xe000, v39
	v_add_u16_sdwa v37, v37, s11 dst_sel:WORD_1 dst_unused:UNUSED_PAD src0_sel:DWORD src1_sel:DWORD
	v_or_b32_e32 v37, v39, v37
	ds_write_b32 v154, v37
	v_ashrrev_i32_e32 v37, v105, v66
	v_ashrrev_i32_e32 v39, v107, v63
	v_and_b32_e32 v37, 0xf0f0f0f, v37
	v_lshlrev_b32_e32 v39, 4, v39
	v_and_or_b32 v37, v39, s8, v37
	v_lshlrev_b16_e32 v40, 8, v37
	v_and_b32_e32 v39, 0x3f00, v37
	v_add_u16_e32 v40, 0xe000, v40
	v_or_b32_sdwa v39, v39, v40 dst_sel:DWORD dst_unused:UNUSED_PAD src0_sel:DWORD src1_sel:BYTE_1
	v_and_b32_sdwa v40, v37, s9 dst_sel:DWORD dst_unused:UNUSED_PAD src0_sel:WORD_1 src1_sel:DWORD
	v_lshlrev_b16_sdwa v37, v157, v37 dst_sel:DWORD dst_unused:UNUSED_PAD src0_sel:DWORD src1_sel:WORD_1
	v_add_u16_e32 v37, 0xe000, v37
	v_or_b32_sdwa v37, v40, v37 dst_sel:DWORD dst_unused:UNUSED_PAD src0_sel:DWORD src1_sel:BYTE_1
	v_add_u16_e32 v39, 0xe000, v39
	v_add_u16_sdwa v37, v37, s11 dst_sel:WORD_1 dst_unused:UNUSED_PAD src0_sel:DWORD src1_sel:DWORD
	v_or_b32_e32 v37, v39, v37
	ds_write_b32 v155, v37
	s_waitcnt vmcnt(9)
	v_ashrrev_i32_e32 v37, v105, v69
	v_ashrrev_i32_e32 v39, v107, v67
	v_and_b32_e32 v37, 0xf0f0f0f, v37
	v_lshlrev_b32_e32 v39, 4, v39
	v_and_or_b32 v37, v39, s8, v37
	v_lshlrev_b16_e32 v40, 8, v37
	v_and_b32_e32 v39, 0x3f00, v37
	v_add_u16_e32 v40, 0xe000, v40
	v_or_b32_sdwa v39, v39, v40 dst_sel:DWORD dst_unused:UNUSED_PAD src0_sel:DWORD src1_sel:BYTE_1
	v_and_b32_sdwa v40, v37, s9 dst_sel:DWORD dst_unused:UNUSED_PAD src0_sel:WORD_1 src1_sel:DWORD
	v_lshlrev_b16_sdwa v37, v157, v37 dst_sel:DWORD dst_unused:UNUSED_PAD src0_sel:DWORD src1_sel:WORD_1
	v_add_u16_e32 v37, 0xe000, v37
	v_or_b32_sdwa v37, v40, v37 dst_sel:DWORD dst_unused:UNUSED_PAD src0_sel:DWORD src1_sel:BYTE_1
	v_add_u16_e32 v39, 0xe000, v39
	v_add_u16_sdwa v37, v37, s11 dst_sel:WORD_1 dst_unused:UNUSED_PAD src0_sel:DWORD src1_sel:DWORD
	v_or_b32_e32 v37, v39, v37
	v_add_u32_e32 v175, v112, v115
	ds_write_b32 v156, v37
	s_waitcnt vmcnt(8)
	ds_write_b32 v175, v172
	s_waitcnt vmcnt(7)
	;; [unrolled: 2-line block ×5, first 2 shown]
	ds_write_b32 v161, v61
	v_mov_b32_e32 v176, v143
	v_mov_b32_e32 v177, v142
	s_mov_b32 s17, 0
	s_mov_b32 s18, 0
	s_waitcnt vmcnt(3)
	v_cvt_f32_f16_e32 v37, v38
	s_waitcnt vmcnt(2)
	ds_write_b32 v162, v34
	s_waitcnt vmcnt(1)
	ds_write_b32 v163, v35
	;; [unrolled: 2-line block ×3, first 2 shown]
	ds_write_b32 v113, v37
	s_waitcnt lgkmcnt(0)
	s_barrier
.LBB170_7:                              ;   Parent Loop BB170_6 Depth=1
                                        ; =>  This Inner Loop Header: Depth=2
	s_add_i32 s19, s20, 2
	s_lshr_b32 s23, s19, 4
	s_and_b32 s21, s19, 0x3ffffff8
	v_lshl_add_u32 v193, s21, 2, v123
	s_lshl_b32 s21, s23, 5
	s_addk_i32 s21, 0x4200
	v_lshlrev_b32_e32 v171, 2, v90
	v_add3_u32 v178, s21, v171, v124
	ds_read2_b32 v[61:62], v177 offset1:32
	ds_read_b128 v[38:41], v176
	ds_read_b128 v[34:37], v176 offset:16
	ds_read2_b32 v[65:66], v178 offset1:1
	ds_read2_b32 v[63:64], v193 offset1:1
	v_add3_u32 v189, s21, v165, v125
	ds_read2_b32 v[181:182], v189 offset1:1
	s_and_b32 s22, s18, -16
	s_waitcnt lgkmcnt(2)
	v_ashrrev_i32_e32 v65, s17, v65
	s_waitcnt lgkmcnt(1)
	v_ashrrev_i32_e32 v63, s19, v63
	v_lshlrev_b32_e32 v65, 2, v65
	v_and_b32_e32 v67, 0x3030303, v63
	v_bfe_u32 v63, v63, 24, 2
	v_and_b32_e32 v65, 0x4040404, v65
	v_sub_u16_e32 v68, v67, v65
	v_sub_u16_sdwa v69, v67, v65 dst_sel:BYTE_1 dst_unused:UNUSED_PAD src0_sel:BYTE_1 src1_sel:BYTE_1
	v_sub_u16_sdwa v63, v63, v65 dst_sel:BYTE_1 dst_unused:UNUSED_PAD src0_sel:DWORD src1_sel:BYTE_3
	v_sub_u16_sdwa v65, v67, v65 dst_sel:DWORD dst_unused:UNUSED_PAD src0_sel:WORD_1 src1_sel:WORD_1
	v_or_b32_sdwa v68, v68, v69 dst_sel:DWORD dst_unused:UNUSED_PAD src0_sel:BYTE_0 src1_sel:DWORD
	v_or_b32_sdwa v63, v65, v63 dst_sel:WORD_1 dst_unused:UNUSED_PAD src0_sel:BYTE_0 src1_sel:DWORD
	v_ashrrev_i32_e32 v66, s17, v66
	v_or_b32_sdwa v65, v68, v63 dst_sel:DWORD dst_unused:UNUSED_PAD src0_sel:WORD_0 src1_sel:DWORD
	v_ashrrev_i32_e32 v63, s19, v64
	v_lshlrev_b32_e32 v66, 2, v66
	v_and_b32_e32 v64, 0x3030303, v63
	v_bfe_u32 v63, v63, 24, 2
	v_and_b32_e32 v66, 0x4040404, v66
	v_sub_u16_e32 v67, v64, v66
	v_sub_u16_sdwa v68, v64, v66 dst_sel:BYTE_1 dst_unused:UNUSED_PAD src0_sel:BYTE_1 src1_sel:BYTE_1
	v_sub_u16_sdwa v63, v63, v66 dst_sel:BYTE_1 dst_unused:UNUSED_PAD src0_sel:DWORD src1_sel:BYTE_3
	v_sub_u16_sdwa v64, v64, v66 dst_sel:DWORD dst_unused:UNUSED_PAD src0_sel:WORD_1 src1_sel:WORD_1
	v_or_b32_sdwa v67, v67, v68 dst_sel:DWORD dst_unused:UNUSED_PAD src0_sel:BYTE_0 src1_sel:DWORD
	v_or_b32_sdwa v63, v64, v63 dst_sel:WORD_1 dst_unused:UNUSED_PAD src0_sel:BYTE_0 src1_sel:DWORD
	v_or_b32_sdwa v66, v67, v63 dst_sel:DWORD dst_unused:UNUSED_PAD src0_sel:WORD_0 src1_sel:DWORD
	ds_read2_b32 v[63:64], v193 offset0:2 offset1:3
	ds_read2_b32 v[67:68], v178 offset0:2 offset1:3
	s_add_i32 s20, s20, s22
	s_lshl_b32 s22, s23, 2
	s_add_i32 s22, s22, 0x9380
	s_waitcnt lgkmcnt(1)
	v_ashrrev_i32_e32 v63, s19, v63
	s_waitcnt lgkmcnt(0)
	v_ashrrev_i32_e32 v67, s17, v67
	v_lshlrev_b32_e32 v67, 2, v67
	v_and_b32_e32 v69, 0x3030303, v63
	v_bfe_u32 v63, v63, 24, 2
	v_and_b32_e32 v67, 0x4040404, v67
	v_sub_u16_e32 v172, v69, v67
	v_sub_u16_sdwa v173, v69, v67 dst_sel:BYTE_1 dst_unused:UNUSED_PAD src0_sel:BYTE_1 src1_sel:BYTE_1
	v_sub_u16_sdwa v63, v63, v67 dst_sel:BYTE_1 dst_unused:UNUSED_PAD src0_sel:DWORD src1_sel:BYTE_3
	v_sub_u16_sdwa v67, v69, v67 dst_sel:DWORD dst_unused:UNUSED_PAD src0_sel:WORD_1 src1_sel:WORD_1
	v_or_b32_sdwa v172, v172, v173 dst_sel:DWORD dst_unused:UNUSED_PAD src0_sel:BYTE_0 src1_sel:DWORD
	v_or_b32_sdwa v63, v67, v63 dst_sel:WORD_1 dst_unused:UNUSED_PAD src0_sel:BYTE_0 src1_sel:DWORD
	v_ashrrev_i32_e32 v68, s17, v68
	v_or_b32_sdwa v67, v172, v63 dst_sel:DWORD dst_unused:UNUSED_PAD src0_sel:WORD_0 src1_sel:DWORD
	v_ashrrev_i32_e32 v63, s19, v64
	v_lshlrev_b32_e32 v68, 2, v68
	v_and_b32_e32 v64, 0x3030303, v63
	v_bfe_u32 v63, v63, 24, 2
	v_and_b32_e32 v68, 0x4040404, v68
	v_sub_u16_e32 v69, v64, v68
	v_sub_u16_sdwa v172, v64, v68 dst_sel:BYTE_1 dst_unused:UNUSED_PAD src0_sel:BYTE_1 src1_sel:BYTE_1
	v_sub_u16_sdwa v63, v63, v68 dst_sel:BYTE_1 dst_unused:UNUSED_PAD src0_sel:DWORD src1_sel:BYTE_3
	v_sub_u16_sdwa v64, v64, v68 dst_sel:DWORD dst_unused:UNUSED_PAD src0_sel:WORD_1 src1_sel:WORD_1
	v_or_b32_sdwa v69, v69, v172 dst_sel:DWORD dst_unused:UNUSED_PAD src0_sel:BYTE_0 src1_sel:DWORD
	v_or_b32_sdwa v63, v64, v63 dst_sel:WORD_1 dst_unused:UNUSED_PAD src0_sel:BYTE_0 src1_sel:DWORD
	v_or_b32_sdwa v68, v69, v63 dst_sel:DWORD dst_unused:UNUSED_PAD src0_sel:WORD_0 src1_sel:DWORD
	ds_read2_b32 v[63:64], v193 offset0:4 offset1:5
	ds_read2_b32 v[172:173], v178 offset0:4 offset1:5
	v_ashrrev_i32_e32 v181, s17, v181
	v_add3_u32 v202, s21, v167, v127
	v_lshlrev_b32_e32 v181, 2, v181
	s_waitcnt lgkmcnt(1)
	v_ashrrev_i32_e32 v63, s19, v63
	s_waitcnt lgkmcnt(0)
	v_ashrrev_i32_e32 v172, s17, v172
	v_lshlrev_b32_e32 v172, 2, v172
	v_and_b32_e32 v69, 0x3030303, v63
	v_bfe_u32 v63, v63, 24, 2
	v_and_b32_e32 v172, 0x4040404, v172
	v_sub_u16_e32 v179, v69, v172
	v_sub_u16_sdwa v180, v69, v172 dst_sel:BYTE_1 dst_unused:UNUSED_PAD src0_sel:BYTE_1 src1_sel:BYTE_1
	v_sub_u16_sdwa v63, v63, v172 dst_sel:BYTE_1 dst_unused:UNUSED_PAD src0_sel:DWORD src1_sel:BYTE_3
	v_sub_u16_sdwa v69, v69, v172 dst_sel:DWORD dst_unused:UNUSED_PAD src0_sel:WORD_1 src1_sel:WORD_1
	v_or_b32_sdwa v179, v179, v180 dst_sel:DWORD dst_unused:UNUSED_PAD src0_sel:BYTE_0 src1_sel:DWORD
	v_or_b32_sdwa v63, v69, v63 dst_sel:WORD_1 dst_unused:UNUSED_PAD src0_sel:BYTE_0 src1_sel:DWORD
	v_ashrrev_i32_e32 v172, s17, v173
	v_or_b32_sdwa v69, v179, v63 dst_sel:DWORD dst_unused:UNUSED_PAD src0_sel:WORD_0 src1_sel:DWORD
	v_ashrrev_i32_e32 v63, s19, v64
	v_lshlrev_b32_e32 v172, 2, v172
	v_and_b32_e32 v64, 0x3030303, v63
	v_bfe_u32 v63, v63, 24, 2
	v_and_b32_e32 v172, 0x4040404, v172
	v_sub_u16_e32 v173, v64, v172
	v_sub_u16_sdwa v179, v64, v172 dst_sel:BYTE_1 dst_unused:UNUSED_PAD src0_sel:BYTE_1 src1_sel:BYTE_1
	v_sub_u16_sdwa v63, v63, v172 dst_sel:BYTE_1 dst_unused:UNUSED_PAD src0_sel:DWORD src1_sel:BYTE_3
	v_sub_u16_sdwa v64, v64, v172 dst_sel:DWORD dst_unused:UNUSED_PAD src0_sel:WORD_1 src1_sel:WORD_1
	v_or_b32_sdwa v173, v173, v179 dst_sel:DWORD dst_unused:UNUSED_PAD src0_sel:BYTE_0 src1_sel:DWORD
	v_or_b32_sdwa v63, v64, v63 dst_sel:WORD_1 dst_unused:UNUSED_PAD src0_sel:BYTE_0 src1_sel:DWORD
	v_or_b32_sdwa v206, v173, v63 dst_sel:DWORD dst_unused:UNUSED_PAD src0_sel:WORD_0 src1_sel:DWORD
	ds_read2_b32 v[63:64], v193 offset0:6 offset1:7
	ds_read2_b32 v[172:173], v178 offset0:6 offset1:7
	;; [unrolled: 1-line block ×3, first 2 shown]
	v_and_b32_e32 v181, 0x4040404, v181
	v_ashrrev_i32_e32 v182, s17, v182
	s_waitcnt lgkmcnt(2)
	v_ashrrev_i32_e32 v63, s19, v63
	s_waitcnt lgkmcnt(1)
	v_ashrrev_i32_e32 v172, s17, v172
	v_lshlrev_b32_e32 v172, 2, v172
	v_and_b32_e32 v179, 0x3030303, v63
	v_bfe_u32 v63, v63, 24, 2
	v_and_b32_e32 v172, 0x4040404, v172
	v_sub_u16_e32 v178, v179, v172
	v_sub_u16_sdwa v180, v179, v172 dst_sel:BYTE_1 dst_unused:UNUSED_PAD src0_sel:BYTE_1 src1_sel:BYTE_1
	v_sub_u16_sdwa v63, v63, v172 dst_sel:BYTE_1 dst_unused:UNUSED_PAD src0_sel:DWORD src1_sel:BYTE_3
	v_sub_u16_sdwa v172, v179, v172 dst_sel:DWORD dst_unused:UNUSED_PAD src0_sel:WORD_1 src1_sel:WORD_1
	v_or_b32_sdwa v178, v178, v180 dst_sel:DWORD dst_unused:UNUSED_PAD src0_sel:BYTE_0 src1_sel:DWORD
	v_or_b32_sdwa v63, v172, v63 dst_sel:WORD_1 dst_unused:UNUSED_PAD src0_sel:BYTE_0 src1_sel:DWORD
	v_ashrrev_i32_e32 v172, s17, v173
	v_or_b32_sdwa v207, v178, v63 dst_sel:DWORD dst_unused:UNUSED_PAD src0_sel:WORD_0 src1_sel:DWORD
	v_ashrrev_i32_e32 v63, s19, v64
	v_lshlrev_b32_e32 v172, 2, v172
	v_and_b32_e32 v64, 0x3030303, v63
	v_bfe_u32 v63, v63, 24, 2
	v_and_b32_e32 v172, 0x4040404, v172
	v_sub_u16_e32 v173, v64, v172
	v_sub_u16_sdwa v178, v64, v172 dst_sel:BYTE_1 dst_unused:UNUSED_PAD src0_sel:BYTE_1 src1_sel:BYTE_1
	v_sub_u16_sdwa v63, v63, v172 dst_sel:BYTE_1 dst_unused:UNUSED_PAD src0_sel:DWORD src1_sel:BYTE_3
	v_sub_u16_sdwa v64, v64, v172 dst_sel:DWORD dst_unused:UNUSED_PAD src0_sel:WORD_1 src1_sel:WORD_1
	v_dot4_i32_i8 v179, v69, v34, 0
	v_or_b32_sdwa v173, v173, v178 dst_sel:DWORD dst_unused:UNUSED_PAD src0_sel:BYTE_0 src1_sel:DWORD
	v_or_b32_sdwa v63, v64, v63 dst_sel:WORD_1 dst_unused:UNUSED_PAD src0_sel:BYTE_0 src1_sel:DWORD
	v_dot4_i32_i8 v179, v206, v35, v179
	v_or_b32_sdwa v208, v173, v63 dst_sel:DWORD dst_unused:UNUSED_PAD src0_sel:WORD_0 src1_sel:DWORD
	v_lshlrev_b32_e32 v172, 2, v71
	v_lshlrev_b32_e32 v173, 2, v104
	v_dot4_i32_i8 v179, v207, v36, v179
	v_add3_u32 v64, s22, v172, v173
	v_dot4_i32_i8 v209, v208, v37, v179
	v_add_u32_e32 v179, 0x1080, v193
	ds_read_b32 v178, v64
	ds_read2_b32 v[179:180], v179 offset1:1
	v_lshlrev_b32_e32 v182, 2, v182
	v_and_b32_e32 v182, 0x4040404, v182
	v_add3_u32 v218, s21, v169, v129
	v_dot4_i32_i8 v64, v65, v38, 0
	s_waitcnt lgkmcnt(0)
	v_ashrrev_i32_e32 v179, s19, v179
	v_and_b32_e32 v183, 0x3030303, v179
	v_bfe_u32 v179, v179, 24, 2
	v_sub_u16_e32 v184, v183, v181
	v_sub_u16_sdwa v185, v183, v181 dst_sel:BYTE_1 dst_unused:UNUSED_PAD src0_sel:BYTE_1 src1_sel:BYTE_1
	v_sub_u16_sdwa v179, v179, v181 dst_sel:BYTE_1 dst_unused:UNUSED_PAD src0_sel:DWORD src1_sel:BYTE_3
	v_sub_u16_sdwa v181, v183, v181 dst_sel:DWORD dst_unused:UNUSED_PAD src0_sel:WORD_1 src1_sel:WORD_1
	v_ashrrev_i32_e32 v180, s19, v180
	v_or_b32_sdwa v184, v184, v185 dst_sel:DWORD dst_unused:UNUSED_PAD src0_sel:BYTE_0 src1_sel:DWORD
	v_or_b32_sdwa v179, v181, v179 dst_sel:WORD_1 dst_unused:UNUSED_PAD src0_sel:BYTE_0 src1_sel:DWORD
	v_and_b32_e32 v181, 0x3030303, v180
	v_bfe_u32 v180, v180, 24, 2
	v_or_b32_sdwa v179, v184, v179 dst_sel:DWORD dst_unused:UNUSED_PAD src0_sel:WORD_0 src1_sel:DWORD
	v_sub_u16_e32 v183, v181, v182
	v_sub_u16_sdwa v184, v181, v182 dst_sel:BYTE_1 dst_unused:UNUSED_PAD src0_sel:BYTE_1 src1_sel:BYTE_1
	v_sub_u16_sdwa v180, v180, v182 dst_sel:BYTE_1 dst_unused:UNUSED_PAD src0_sel:DWORD src1_sel:BYTE_3
	v_sub_u16_sdwa v181, v181, v182 dst_sel:DWORD dst_unused:UNUSED_PAD src0_sel:WORD_1 src1_sel:WORD_1
	v_or_b32_sdwa v183, v183, v184 dst_sel:DWORD dst_unused:UNUSED_PAD src0_sel:BYTE_0 src1_sel:DWORD
	v_or_b32_sdwa v180, v181, v180 dst_sel:WORD_1 dst_unused:UNUSED_PAD src0_sel:BYTE_0 src1_sel:DWORD
	v_add_u32_e32 v181, 0x1088, v193
	v_or_b32_sdwa v180, v183, v180 dst_sel:DWORD dst_unused:UNUSED_PAD src0_sel:WORD_0 src1_sel:DWORD
	ds_read2_b32 v[182:183], v181 offset1:1
	ds_read2_b32 v[184:185], v189 offset0:2 offset1:3
	ds_read2_b32 v[213:214], v218 offset1:1
	v_dot4_i32_i8 v64, v66, v39, v64
	v_dot4_i32_i8 v64, v67, v40, v64
	s_waitcnt lgkmcnt(2)
	v_ashrrev_i32_e32 v181, s19, v182
	s_waitcnt lgkmcnt(1)
	v_ashrrev_i32_e32 v184, s17, v184
	v_lshlrev_b32_e32 v184, 2, v184
	v_and_b32_e32 v182, 0x3030303, v181
	v_bfe_u32 v181, v181, 24, 2
	v_and_b32_e32 v184, 0x4040404, v184
	v_sub_u16_e32 v186, v182, v184
	v_sub_u16_sdwa v187, v182, v184 dst_sel:BYTE_1 dst_unused:UNUSED_PAD src0_sel:BYTE_1 src1_sel:BYTE_1
	v_sub_u16_sdwa v181, v181, v184 dst_sel:BYTE_1 dst_unused:UNUSED_PAD src0_sel:DWORD src1_sel:BYTE_3
	v_sub_u16_sdwa v182, v182, v184 dst_sel:DWORD dst_unused:UNUSED_PAD src0_sel:WORD_1 src1_sel:WORD_1
	v_or_b32_sdwa v186, v186, v187 dst_sel:DWORD dst_unused:UNUSED_PAD src0_sel:BYTE_0 src1_sel:DWORD
	v_or_b32_sdwa v181, v182, v181 dst_sel:WORD_1 dst_unused:UNUSED_PAD src0_sel:BYTE_0 src1_sel:DWORD
	v_ashrrev_i32_e32 v184, s17, v185
	v_or_b32_sdwa v182, v186, v181 dst_sel:DWORD dst_unused:UNUSED_PAD src0_sel:WORD_0 src1_sel:DWORD
	v_ashrrev_i32_e32 v181, s19, v183
	v_lshlrev_b32_e32 v184, 2, v184
	v_and_b32_e32 v183, 0x3030303, v181
	v_bfe_u32 v181, v181, 24, 2
	v_and_b32_e32 v184, 0x4040404, v184
	v_sub_u16_e32 v185, v183, v184
	v_sub_u16_sdwa v186, v183, v184 dst_sel:BYTE_1 dst_unused:UNUSED_PAD src0_sel:BYTE_1 src1_sel:BYTE_1
	v_sub_u16_sdwa v181, v181, v184 dst_sel:BYTE_1 dst_unused:UNUSED_PAD src0_sel:DWORD src1_sel:BYTE_3
	v_sub_u16_sdwa v183, v183, v184 dst_sel:DWORD dst_unused:UNUSED_PAD src0_sel:WORD_1 src1_sel:WORD_1
	v_or_b32_sdwa v185, v185, v186 dst_sel:DWORD dst_unused:UNUSED_PAD src0_sel:BYTE_0 src1_sel:DWORD
	v_or_b32_sdwa v181, v183, v181 dst_sel:WORD_1 dst_unused:UNUSED_PAD src0_sel:BYTE_0 src1_sel:DWORD
	v_or_b32_sdwa v184, v185, v181 dst_sel:DWORD dst_unused:UNUSED_PAD src0_sel:WORD_0 src1_sel:DWORD
	v_add_u32_e32 v181, 0x1090, v193
	ds_read2_b32 v[185:186], v181 offset1:1
	ds_read2_b32 v[187:188], v189 offset0:4 offset1:5
	v_dot4_i32_i8 v64, v68, v41, v64
	v_add_u32_e32 v63, s20, v135
	v_add_u32_e32 v211, s20, v137
	s_waitcnt lgkmcnt(1)
	v_ashrrev_i32_e32 v181, s19, v185
	s_waitcnt lgkmcnt(0)
	v_ashrrev_i32_e32 v185, s17, v187
	v_lshlrev_b32_e32 v185, 2, v185
	v_and_b32_e32 v183, 0x3030303, v181
	v_bfe_u32 v181, v181, 24, 2
	v_and_b32_e32 v185, 0x4040404, v185
	v_sub_u16_e32 v187, v183, v185
	v_sub_u16_sdwa v190, v183, v185 dst_sel:BYTE_1 dst_unused:UNUSED_PAD src0_sel:BYTE_1 src1_sel:BYTE_1
	v_sub_u16_sdwa v181, v181, v185 dst_sel:BYTE_1 dst_unused:UNUSED_PAD src0_sel:DWORD src1_sel:BYTE_3
	v_sub_u16_sdwa v183, v183, v185 dst_sel:DWORD dst_unused:UNUSED_PAD src0_sel:WORD_1 src1_sel:WORD_1
	v_or_b32_sdwa v187, v187, v190 dst_sel:DWORD dst_unused:UNUSED_PAD src0_sel:BYTE_0 src1_sel:DWORD
	v_or_b32_sdwa v181, v183, v181 dst_sel:WORD_1 dst_unused:UNUSED_PAD src0_sel:BYTE_0 src1_sel:DWORD
	v_ashrrev_i32_e32 v185, s17, v188
	v_or_b32_sdwa v187, v187, v181 dst_sel:DWORD dst_unused:UNUSED_PAD src0_sel:WORD_0 src1_sel:DWORD
	v_ashrrev_i32_e32 v181, s19, v186
	v_lshlrev_b32_e32 v185, 2, v185
	v_and_b32_e32 v183, 0x3030303, v181
	v_bfe_u32 v181, v181, 24, 2
	v_and_b32_e32 v185, 0x4040404, v185
	v_sub_u16_e32 v186, v183, v185
	v_sub_u16_sdwa v188, v183, v185 dst_sel:BYTE_1 dst_unused:UNUSED_PAD src0_sel:BYTE_1 src1_sel:BYTE_1
	v_sub_u16_sdwa v181, v181, v185 dst_sel:BYTE_1 dst_unused:UNUSED_PAD src0_sel:DWORD src1_sel:BYTE_3
	v_sub_u16_sdwa v183, v183, v185 dst_sel:DWORD dst_unused:UNUSED_PAD src0_sel:WORD_1 src1_sel:WORD_1
	v_or_b32_sdwa v186, v186, v188 dst_sel:DWORD dst_unused:UNUSED_PAD src0_sel:BYTE_0 src1_sel:DWORD
	v_or_b32_sdwa v181, v183, v181 dst_sel:WORD_1 dst_unused:UNUSED_PAD src0_sel:BYTE_0 src1_sel:DWORD
	v_or_b32_sdwa v190, v186, v181 dst_sel:DWORD dst_unused:UNUSED_PAD src0_sel:WORD_0 src1_sel:DWORD
	v_add_u32_e32 v181, 0x1098, v193
	ds_read2_b32 v[185:186], v181 offset1:1
	ds_read2_b32 v[188:189], v189 offset0:6 offset1:7
	v_add_u32_e32 v216, s20, v139
	s_add_i32 s18, s18, 2
	s_waitcnt lgkmcnt(1)
	v_ashrrev_i32_e32 v181, s19, v185
	s_waitcnt lgkmcnt(0)
	v_ashrrev_i32_e32 v185, s17, v188
	v_lshlrev_b32_e32 v185, 2, v185
	v_and_b32_e32 v183, 0x3030303, v181
	v_bfe_u32 v181, v181, 24, 2
	v_and_b32_e32 v185, 0x4040404, v185
	v_sub_u16_e32 v188, v183, v185
	v_sub_u16_sdwa v191, v183, v185 dst_sel:BYTE_1 dst_unused:UNUSED_PAD src0_sel:BYTE_1 src1_sel:BYTE_1
	v_sub_u16_sdwa v181, v181, v185 dst_sel:BYTE_1 dst_unused:UNUSED_PAD src0_sel:DWORD src1_sel:BYTE_3
	v_sub_u16_sdwa v183, v183, v185 dst_sel:DWORD dst_unused:UNUSED_PAD src0_sel:WORD_1 src1_sel:WORD_1
	v_or_b32_sdwa v188, v188, v191 dst_sel:DWORD dst_unused:UNUSED_PAD src0_sel:BYTE_0 src1_sel:DWORD
	v_or_b32_sdwa v181, v183, v181 dst_sel:WORD_1 dst_unused:UNUSED_PAD src0_sel:BYTE_0 src1_sel:DWORD
	v_ashrrev_i32_e32 v185, s17, v189
	v_or_b32_sdwa v194, v188, v181 dst_sel:DWORD dst_unused:UNUSED_PAD src0_sel:WORD_0 src1_sel:DWORD
	v_ashrrev_i32_e32 v181, s19, v186
	v_lshlrev_b32_e32 v185, 2, v185
	v_and_b32_e32 v183, 0x3030303, v181
	v_bfe_u32 v181, v181, 24, 2
	v_and_b32_e32 v185, 0x4040404, v185
	v_sub_u16_e32 v186, v183, v185
	v_sub_u16_sdwa v188, v183, v185 dst_sel:BYTE_1 dst_unused:UNUSED_PAD src0_sel:BYTE_1 src1_sel:BYTE_1
	v_sub_u16_sdwa v181, v181, v185 dst_sel:BYTE_1 dst_unused:UNUSED_PAD src0_sel:DWORD src1_sel:BYTE_3
	v_sub_u16_sdwa v183, v183, v185 dst_sel:DWORD dst_unused:UNUSED_PAD src0_sel:WORD_1 src1_sel:WORD_1
	v_or_b32_sdwa v181, v183, v181 dst_sel:WORD_1 dst_unused:UNUSED_PAD src0_sel:BYTE_0 src1_sel:DWORD
	v_dot4_i32_i8 v183, v179, v38, 0
	v_dot4_i32_i8 v183, v180, v39, v183
	;; [unrolled: 1-line block ×5, first 2 shown]
	v_or_b32_sdwa v186, v186, v188 dst_sel:DWORD dst_unused:UNUSED_PAD src0_sel:BYTE_0 src1_sel:DWORD
	v_dot4_i32_i8 v183, v190, v35, v183
	v_or_b32_sdwa v197, v186, v181 dst_sel:DWORD dst_unused:UNUSED_PAD src0_sel:WORD_0 src1_sel:DWORD
	v_dot4_i32_i8 v183, v194, v36, v183
	v_add3_u32 v181, s22, v166, v126
	v_dot4_i32_i8 v212, v197, v37, v183
	v_add_u32_e32 v183, 0x2100, v193
	ds_read_b32 v181, v181
	ds_read2_b32 v[185:186], v183 offset1:1
	ds_read2_b32 v[188:189], v202 offset1:1
	s_waitcnt lgkmcnt(1)
	v_ashrrev_i32_e32 v183, s19, v185
	s_waitcnt lgkmcnt(0)
	v_ashrrev_i32_e32 v188, s17, v188
	v_lshlrev_b32_e32 v188, 2, v188
	v_and_b32_e32 v185, 0x3030303, v183
	v_bfe_u32 v183, v183, 24, 2
	v_and_b32_e32 v188, 0x4040404, v188
	v_sub_u16_e32 v191, v185, v188
	v_sub_u16_sdwa v192, v185, v188 dst_sel:BYTE_1 dst_unused:UNUSED_PAD src0_sel:BYTE_1 src1_sel:BYTE_1
	v_sub_u16_sdwa v183, v183, v188 dst_sel:BYTE_1 dst_unused:UNUSED_PAD src0_sel:DWORD src1_sel:BYTE_3
	v_sub_u16_sdwa v185, v185, v188 dst_sel:DWORD dst_unused:UNUSED_PAD src0_sel:WORD_1 src1_sel:WORD_1
	v_ashrrev_i32_e32 v188, s17, v189
	v_or_b32_sdwa v183, v185, v183 dst_sel:WORD_1 dst_unused:UNUSED_PAD src0_sel:BYTE_0 src1_sel:DWORD
	v_ashrrev_i32_e32 v185, s19, v186
	v_lshlrev_b32_e32 v188, 2, v188
	v_or_b32_sdwa v191, v191, v192 dst_sel:DWORD dst_unused:UNUSED_PAD src0_sel:BYTE_0 src1_sel:DWORD
	v_and_b32_e32 v186, 0x3030303, v185
	v_bfe_u32 v185, v185, 24, 2
	v_and_b32_e32 v188, 0x4040404, v188
	v_or_b32_sdwa v183, v191, v183 dst_sel:DWORD dst_unused:UNUSED_PAD src0_sel:WORD_0 src1_sel:DWORD
	v_sub_u16_e32 v189, v186, v188
	v_sub_u16_sdwa v191, v186, v188 dst_sel:BYTE_1 dst_unused:UNUSED_PAD src0_sel:BYTE_1 src1_sel:BYTE_1
	v_sub_u16_sdwa v185, v185, v188 dst_sel:BYTE_1 dst_unused:UNUSED_PAD src0_sel:DWORD src1_sel:BYTE_3
	v_sub_u16_sdwa v186, v186, v188 dst_sel:DWORD dst_unused:UNUSED_PAD src0_sel:WORD_1 src1_sel:WORD_1
	v_or_b32_sdwa v189, v189, v191 dst_sel:DWORD dst_unused:UNUSED_PAD src0_sel:BYTE_0 src1_sel:DWORD
	v_or_b32_sdwa v185, v186, v185 dst_sel:WORD_1 dst_unused:UNUSED_PAD src0_sel:BYTE_0 src1_sel:DWORD
	v_add_u32_e32 v186, 0x2108, v193
	v_or_b32_sdwa v185, v189, v185 dst_sel:DWORD dst_unused:UNUSED_PAD src0_sel:WORD_0 src1_sel:DWORD
	ds_read2_b32 v[188:189], v186 offset1:1
	ds_read2_b32 v[191:192], v202 offset0:2 offset1:3
	ds_read2_b32 v[202:203], v202 offset0:6 offset1:7
	s_waitcnt lgkmcnt(2)
	v_ashrrev_i32_e32 v186, s19, v188
	s_waitcnt lgkmcnt(1)
	v_ashrrev_i32_e32 v191, s17, v191
	v_lshlrev_b32_e32 v191, 2, v191
	v_and_b32_e32 v188, 0x3030303, v186
	v_bfe_u32 v186, v186, 24, 2
	v_and_b32_e32 v191, 0x4040404, v191
	v_sub_u16_e32 v195, v188, v191
	v_sub_u16_sdwa v196, v188, v191 dst_sel:BYTE_1 dst_unused:UNUSED_PAD src0_sel:BYTE_1 src1_sel:BYTE_1
	v_sub_u16_sdwa v186, v186, v191 dst_sel:BYTE_1 dst_unused:UNUSED_PAD src0_sel:DWORD src1_sel:BYTE_3
	v_sub_u16_sdwa v188, v188, v191 dst_sel:DWORD dst_unused:UNUSED_PAD src0_sel:WORD_1 src1_sel:WORD_1
	v_or_b32_sdwa v195, v195, v196 dst_sel:DWORD dst_unused:UNUSED_PAD src0_sel:BYTE_0 src1_sel:DWORD
	v_or_b32_sdwa v186, v188, v186 dst_sel:WORD_1 dst_unused:UNUSED_PAD src0_sel:BYTE_0 src1_sel:DWORD
	v_ashrrev_i32_e32 v191, s17, v192
	v_or_b32_sdwa v188, v195, v186 dst_sel:DWORD dst_unused:UNUSED_PAD src0_sel:WORD_0 src1_sel:DWORD
	v_ashrrev_i32_e32 v186, s19, v189
	v_lshlrev_b32_e32 v191, 2, v191
	v_and_b32_e32 v189, 0x3030303, v186
	v_bfe_u32 v186, v186, 24, 2
	v_and_b32_e32 v191, 0x4040404, v191
	v_sub_u16_e32 v192, v189, v191
	v_sub_u16_sdwa v195, v189, v191 dst_sel:BYTE_1 dst_unused:UNUSED_PAD src0_sel:BYTE_1 src1_sel:BYTE_1
	v_sub_u16_sdwa v186, v186, v191 dst_sel:BYTE_1 dst_unused:UNUSED_PAD src0_sel:DWORD src1_sel:BYTE_3
	v_sub_u16_sdwa v189, v189, v191 dst_sel:DWORD dst_unused:UNUSED_PAD src0_sel:WORD_1 src1_sel:WORD_1
	v_or_b32_sdwa v192, v192, v195 dst_sel:DWORD dst_unused:UNUSED_PAD src0_sel:BYTE_0 src1_sel:DWORD
	v_or_b32_sdwa v186, v189, v186 dst_sel:WORD_1 dst_unused:UNUSED_PAD src0_sel:BYTE_0 src1_sel:DWORD
	v_or_b32_sdwa v191, v192, v186 dst_sel:DWORD dst_unused:UNUSED_PAD src0_sel:WORD_0 src1_sel:DWORD
	v_add_u32_e32 v186, 0x2110, v193
	ds_read2_b32 v[195:196], v186 offset1:1
	v_ashrrev_i32_e32 v192, s17, v198
	v_lshlrev_b32_e32 v192, 2, v192
	v_and_b32_e32 v192, 0x4040404, v192
	s_waitcnt lgkmcnt(0)
	v_ashrrev_i32_e32 v186, s19, v195
	v_and_b32_e32 v189, 0x3030303, v186
	v_bfe_u32 v186, v186, 24, 2
	v_sub_u16_e32 v195, v189, v192
	v_sub_u16_sdwa v198, v189, v192 dst_sel:BYTE_1 dst_unused:UNUSED_PAD src0_sel:BYTE_1 src1_sel:BYTE_1
	v_sub_u16_sdwa v186, v186, v192 dst_sel:BYTE_1 dst_unused:UNUSED_PAD src0_sel:DWORD src1_sel:BYTE_3
	v_sub_u16_sdwa v189, v189, v192 dst_sel:DWORD dst_unused:UNUSED_PAD src0_sel:WORD_1 src1_sel:WORD_1
	v_or_b32_sdwa v195, v195, v198 dst_sel:DWORD dst_unused:UNUSED_PAD src0_sel:BYTE_0 src1_sel:DWORD
	v_or_b32_sdwa v186, v189, v186 dst_sel:WORD_1 dst_unused:UNUSED_PAD src0_sel:BYTE_0 src1_sel:DWORD
	v_ashrrev_i32_e32 v192, s17, v199
	v_or_b32_sdwa v195, v195, v186 dst_sel:DWORD dst_unused:UNUSED_PAD src0_sel:WORD_0 src1_sel:DWORD
	v_ashrrev_i32_e32 v186, s19, v196
	v_lshlrev_b32_e32 v192, 2, v192
	v_and_b32_e32 v189, 0x3030303, v186
	v_bfe_u32 v186, v186, 24, 2
	v_and_b32_e32 v192, 0x4040404, v192
	v_sub_u16_e32 v196, v189, v192
	v_sub_u16_sdwa v198, v189, v192 dst_sel:BYTE_1 dst_unused:UNUSED_PAD src0_sel:BYTE_1 src1_sel:BYTE_1
	v_sub_u16_sdwa v186, v186, v192 dst_sel:BYTE_1 dst_unused:UNUSED_PAD src0_sel:DWORD src1_sel:BYTE_3
	v_sub_u16_sdwa v189, v189, v192 dst_sel:DWORD dst_unused:UNUSED_PAD src0_sel:WORD_1 src1_sel:WORD_1
	v_or_b32_sdwa v196, v196, v198 dst_sel:DWORD dst_unused:UNUSED_PAD src0_sel:BYTE_0 src1_sel:DWORD
	v_or_b32_sdwa v186, v189, v186 dst_sel:WORD_1 dst_unused:UNUSED_PAD src0_sel:BYTE_0 src1_sel:DWORD
	v_or_b32_sdwa v198, v196, v186 dst_sel:DWORD dst_unused:UNUSED_PAD src0_sel:WORD_0 src1_sel:DWORD
	v_add_u32_e32 v186, 0x2118, v193
	ds_read2_b32 v[200:201], v186 offset1:1
	v_ashrrev_i32_e32 v192, s17, v202
	v_lshlrev_b32_e32 v192, 2, v192
	v_and_b32_e32 v192, 0x4040404, v192
	s_waitcnt lgkmcnt(0)
	v_ashrrev_i32_e32 v186, s19, v200
	v_and_b32_e32 v189, 0x3030303, v186
	v_bfe_u32 v186, v186, 24, 2
	v_sub_u16_e32 v196, v189, v192
	v_sub_u16_sdwa v199, v189, v192 dst_sel:BYTE_1 dst_unused:UNUSED_PAD src0_sel:BYTE_1 src1_sel:BYTE_1
	v_sub_u16_sdwa v186, v186, v192 dst_sel:BYTE_1 dst_unused:UNUSED_PAD src0_sel:DWORD src1_sel:BYTE_3
	v_sub_u16_sdwa v189, v189, v192 dst_sel:DWORD dst_unused:UNUSED_PAD src0_sel:WORD_1 src1_sel:WORD_1
	v_or_b32_sdwa v196, v196, v199 dst_sel:DWORD dst_unused:UNUSED_PAD src0_sel:BYTE_0 src1_sel:DWORD
	v_or_b32_sdwa v186, v189, v186 dst_sel:WORD_1 dst_unused:UNUSED_PAD src0_sel:BYTE_0 src1_sel:DWORD
	v_ashrrev_i32_e32 v192, s17, v203
	v_or_b32_sdwa v200, v196, v186 dst_sel:DWORD dst_unused:UNUSED_PAD src0_sel:WORD_0 src1_sel:DWORD
	v_ashrrev_i32_e32 v186, s19, v201
	v_lshlrev_b32_e32 v192, 2, v192
	v_and_b32_e32 v189, 0x3030303, v186
	v_bfe_u32 v186, v186, 24, 2
	v_and_b32_e32 v192, 0x4040404, v192
	v_sub_u16_e32 v196, v189, v192
	v_sub_u16_sdwa v199, v189, v192 dst_sel:BYTE_1 dst_unused:UNUSED_PAD src0_sel:BYTE_1 src1_sel:BYTE_1
	v_sub_u16_sdwa v186, v186, v192 dst_sel:BYTE_1 dst_unused:UNUSED_PAD src0_sel:DWORD src1_sel:BYTE_3
	v_sub_u16_sdwa v189, v189, v192 dst_sel:DWORD dst_unused:UNUSED_PAD src0_sel:WORD_1 src1_sel:WORD_1
	v_or_b32_sdwa v186, v189, v186 dst_sel:WORD_1 dst_unused:UNUSED_PAD src0_sel:BYTE_0 src1_sel:DWORD
	v_dot4_i32_i8 v189, v183, v38, 0
	v_dot4_i32_i8 v189, v185, v39, v189
	;; [unrolled: 1-line block ×5, first 2 shown]
	v_or_b32_sdwa v196, v196, v199 dst_sel:DWORD dst_unused:UNUSED_PAD src0_sel:BYTE_0 src1_sel:DWORD
	v_dot4_i32_i8 v189, v198, v35, v189
	v_or_b32_sdwa v202, v196, v186 dst_sel:DWORD dst_unused:UNUSED_PAD src0_sel:WORD_0 src1_sel:DWORD
	v_dot4_i32_i8 v189, v200, v36, v189
	v_add3_u32 v186, s22, v168, v128
	v_dot4_i32_i8 v217, v202, v37, v189
	v_add_u32_e32 v189, 0x3180, v193
	ds_read_b32 v186, v186
	ds_read2_b32 v[203:204], v189 offset1:1
	v_ashrrev_i32_e32 v196, s17, v213
	v_lshlrev_b32_e32 v196, 2, v196
	v_and_b32_e32 v196, 0x4040404, v196
	s_waitcnt lgkmcnt(0)
	v_ashrrev_i32_e32 v189, s19, v203
	v_and_b32_e32 v192, 0x3030303, v189
	v_bfe_u32 v189, v189, 24, 2
	v_sub_u16_e32 v199, v192, v196
	v_sub_u16_sdwa v201, v192, v196 dst_sel:BYTE_1 dst_unused:UNUSED_PAD src0_sel:BYTE_1 src1_sel:BYTE_1
	v_sub_u16_sdwa v189, v189, v196 dst_sel:BYTE_1 dst_unused:UNUSED_PAD src0_sel:DWORD src1_sel:BYTE_3
	v_sub_u16_sdwa v192, v192, v196 dst_sel:DWORD dst_unused:UNUSED_PAD src0_sel:WORD_1 src1_sel:WORD_1
	v_or_b32_sdwa v199, v199, v201 dst_sel:DWORD dst_unused:UNUSED_PAD src0_sel:BYTE_0 src1_sel:DWORD
	v_or_b32_sdwa v189, v192, v189 dst_sel:WORD_1 dst_unused:UNUSED_PAD src0_sel:BYTE_0 src1_sel:DWORD
	v_or_b32_sdwa v189, v199, v189 dst_sel:DWORD dst_unused:UNUSED_PAD src0_sel:WORD_0 src1_sel:DWORD
	v_ashrrev_i32_e32 v199, s17, v214
	v_ashrrev_i32_e32 v192, s19, v204
	v_lshlrev_b32_e32 v199, 2, v199
	v_and_b32_e32 v196, 0x3030303, v192
	v_bfe_u32 v192, v192, 24, 2
	v_and_b32_e32 v199, 0x4040404, v199
	v_sub_u16_e32 v201, v196, v199
	v_sub_u16_sdwa v203, v196, v199 dst_sel:BYTE_1 dst_unused:UNUSED_PAD src0_sel:BYTE_1 src1_sel:BYTE_1
	v_sub_u16_sdwa v192, v192, v199 dst_sel:BYTE_1 dst_unused:UNUSED_PAD src0_sel:DWORD src1_sel:BYTE_3
	v_sub_u16_sdwa v196, v196, v199 dst_sel:DWORD dst_unused:UNUSED_PAD src0_sel:WORD_1 src1_sel:WORD_1
	v_or_b32_sdwa v192, v196, v192 dst_sel:WORD_1 dst_unused:UNUSED_PAD src0_sel:BYTE_0 src1_sel:DWORD
	v_add_u32_e32 v196, 0x3188, v193
	v_or_b32_sdwa v201, v201, v203 dst_sel:DWORD dst_unused:UNUSED_PAD src0_sel:BYTE_0 src1_sel:DWORD
	ds_read2_b32 v[203:204], v196 offset1:1
	ds_read2_b32 v[213:214], v218 offset0:2 offset1:3
	v_or_b32_sdwa v192, v201, v192 dst_sel:DWORD dst_unused:UNUSED_PAD src0_sel:WORD_0 src1_sel:DWORD
	v_dot4_i32_i8 v38, v189, v38, 0
	v_dot4_i32_i8 v38, v192, v39, v38
	s_waitcnt lgkmcnt(1)
	v_ashrrev_i32_e32 v196, s19, v203
	s_waitcnt lgkmcnt(0)
	v_ashrrev_i32_e32 v201, s17, v213
	v_lshlrev_b32_e32 v201, 2, v201
	v_and_b32_e32 v199, 0x3030303, v196
	v_bfe_u32 v196, v196, 24, 2
	v_and_b32_e32 v201, 0x4040404, v201
	v_sub_u16_e32 v203, v199, v201
	v_sub_u16_sdwa v205, v199, v201 dst_sel:BYTE_1 dst_unused:UNUSED_PAD src0_sel:BYTE_1 src1_sel:BYTE_1
	v_sub_u16_sdwa v196, v196, v201 dst_sel:BYTE_1 dst_unused:UNUSED_PAD src0_sel:DWORD src1_sel:BYTE_3
	v_sub_u16_sdwa v199, v199, v201 dst_sel:DWORD dst_unused:UNUSED_PAD src0_sel:WORD_1 src1_sel:WORD_1
	v_or_b32_sdwa v203, v203, v205 dst_sel:DWORD dst_unused:UNUSED_PAD src0_sel:BYTE_0 src1_sel:DWORD
	v_or_b32_sdwa v196, v199, v196 dst_sel:WORD_1 dst_unused:UNUSED_PAD src0_sel:BYTE_0 src1_sel:DWORD
	v_or_b32_sdwa v196, v203, v196 dst_sel:DWORD dst_unused:UNUSED_PAD src0_sel:WORD_0 src1_sel:DWORD
	v_ashrrev_i32_e32 v203, s17, v214
	v_ashrrev_i32_e32 v199, s19, v204
	v_lshlrev_b32_e32 v203, 2, v203
	v_and_b32_e32 v201, 0x3030303, v199
	v_bfe_u32 v199, v199, 24, 2
	v_and_b32_e32 v203, 0x4040404, v203
	v_sub_u16_e32 v204, v201, v203
	v_sub_u16_sdwa v205, v201, v203 dst_sel:BYTE_1 dst_unused:UNUSED_PAD src0_sel:BYTE_1 src1_sel:BYTE_1
	v_sub_u16_sdwa v199, v199, v203 dst_sel:BYTE_1 dst_unused:UNUSED_PAD src0_sel:DWORD src1_sel:BYTE_3
	v_sub_u16_sdwa v201, v201, v203 dst_sel:DWORD dst_unused:UNUSED_PAD src0_sel:WORD_1 src1_sel:WORD_1
	v_or_b32_sdwa v204, v204, v205 dst_sel:DWORD dst_unused:UNUSED_PAD src0_sel:BYTE_0 src1_sel:DWORD
	v_or_b32_sdwa v199, v201, v199 dst_sel:WORD_1 dst_unused:UNUSED_PAD src0_sel:BYTE_0 src1_sel:DWORD
	v_add_u32_e32 v201, 0x3190, v193
	v_or_b32_sdwa v199, v204, v199 dst_sel:DWORD dst_unused:UNUSED_PAD src0_sel:WORD_0 src1_sel:DWORD
	ds_read2_b32 v[203:204], v201 offset1:1
	ds_read2_b32 v[213:214], v218 offset0:4 offset1:5
	v_add_u32_e32 v193, 0x3198, v193
	v_dot4_i32_i8 v38, v196, v40, v38
	v_dot4_i32_i8 v38, v199, v41, v38
	s_waitcnt lgkmcnt(1)
	v_ashrrev_i32_e32 v201, s19, v203
	s_waitcnt lgkmcnt(0)
	v_ashrrev_i32_e32 v205, s17, v213
	v_lshlrev_b32_e32 v205, 2, v205
	v_and_b32_e32 v203, 0x3030303, v201
	v_bfe_u32 v201, v201, 24, 2
	v_and_b32_e32 v205, 0x4040404, v205
	v_sub_u16_e32 v213, v203, v205
	v_sub_u16_sdwa v219, v203, v205 dst_sel:BYTE_1 dst_unused:UNUSED_PAD src0_sel:BYTE_1 src1_sel:BYTE_1
	v_sub_u16_sdwa v201, v201, v205 dst_sel:BYTE_1 dst_unused:UNUSED_PAD src0_sel:DWORD src1_sel:BYTE_3
	v_sub_u16_sdwa v203, v203, v205 dst_sel:DWORD dst_unused:UNUSED_PAD src0_sel:WORD_1 src1_sel:WORD_1
	v_ashrrev_i32_e32 v205, s17, v214
	v_or_b32_sdwa v201, v203, v201 dst_sel:WORD_1 dst_unused:UNUSED_PAD src0_sel:BYTE_0 src1_sel:DWORD
	v_ashrrev_i32_e32 v203, s19, v204
	v_lshlrev_b32_e32 v205, 2, v205
	v_or_b32_sdwa v213, v213, v219 dst_sel:DWORD dst_unused:UNUSED_PAD src0_sel:BYTE_0 src1_sel:DWORD
	v_and_b32_e32 v204, 0x3030303, v203
	v_bfe_u32 v203, v203, 24, 2
	v_and_b32_e32 v205, 0x4040404, v205
	v_or_b32_sdwa v201, v213, v201 dst_sel:DWORD dst_unused:UNUSED_PAD src0_sel:WORD_0 src1_sel:DWORD
	v_sub_u16_e32 v213, v204, v205
	v_sub_u16_sdwa v214, v204, v205 dst_sel:BYTE_1 dst_unused:UNUSED_PAD src0_sel:BYTE_1 src1_sel:BYTE_1
	v_sub_u16_sdwa v203, v203, v205 dst_sel:BYTE_1 dst_unused:UNUSED_PAD src0_sel:DWORD src1_sel:BYTE_3
	v_sub_u16_sdwa v204, v204, v205 dst_sel:DWORD dst_unused:UNUSED_PAD src0_sel:WORD_1 src1_sel:WORD_1
	v_or_b32_sdwa v213, v213, v214 dst_sel:DWORD dst_unused:UNUSED_PAD src0_sel:BYTE_0 src1_sel:DWORD
	v_or_b32_sdwa v203, v204, v203 dst_sel:WORD_1 dst_unused:UNUSED_PAD src0_sel:BYTE_0 src1_sel:DWORD
	v_or_b32_sdwa v203, v213, v203 dst_sel:DWORD dst_unused:UNUSED_PAD src0_sel:WORD_0 src1_sel:DWORD
	ds_read2_b32 v[204:205], v193 offset1:1
	ds_read2_b32 v[213:214], v218 offset0:6 offset1:7
	v_dot4_i32_i8 v34, v201, v34, 0
	v_dot4_i32_i8 v34, v203, v35, v34
	s_waitcnt lgkmcnt(1)
	v_ashrrev_i32_e32 v193, s19, v204
	s_waitcnt lgkmcnt(0)
	v_ashrrev_i32_e32 v213, s17, v213
	v_lshlrev_b32_e32 v213, 2, v213
	v_and_b32_e32 v204, 0x3030303, v193
	v_bfe_u32 v193, v193, 24, 2
	v_and_b32_e32 v213, 0x4040404, v213
	v_sub_u16_e32 v218, v204, v213
	v_sub_u16_sdwa v219, v204, v213 dst_sel:BYTE_1 dst_unused:UNUSED_PAD src0_sel:BYTE_1 src1_sel:BYTE_1
	v_sub_u16_sdwa v193, v193, v213 dst_sel:BYTE_1 dst_unused:UNUSED_PAD src0_sel:DWORD src1_sel:BYTE_3
	v_sub_u16_sdwa v204, v204, v213 dst_sel:DWORD dst_unused:UNUSED_PAD src0_sel:WORD_1 src1_sel:WORD_1
	v_or_b32_sdwa v218, v218, v219 dst_sel:DWORD dst_unused:UNUSED_PAD src0_sel:BYTE_0 src1_sel:DWORD
	v_or_b32_sdwa v193, v204, v193 dst_sel:WORD_1 dst_unused:UNUSED_PAD src0_sel:BYTE_0 src1_sel:DWORD
	v_ashrrev_i32_e32 v213, s17, v214
	v_or_b32_sdwa v204, v218, v193 dst_sel:DWORD dst_unused:UNUSED_PAD src0_sel:WORD_0 src1_sel:DWORD
	v_ashrrev_i32_e32 v193, s19, v205
	v_lshlrev_b32_e32 v213, 2, v213
	v_and_b32_e32 v205, 0x3030303, v193
	v_bfe_u32 v193, v193, 24, 2
	v_and_b32_e32 v213, 0x4040404, v213
	v_sub_u16_e32 v214, v205, v213
	v_sub_u16_sdwa v218, v205, v213 dst_sel:BYTE_1 dst_unused:UNUSED_PAD src0_sel:BYTE_1 src1_sel:BYTE_1
	v_sub_u16_sdwa v193, v193, v213 dst_sel:BYTE_1 dst_unused:UNUSED_PAD src0_sel:DWORD src1_sel:BYTE_3
	v_sub_u16_sdwa v205, v205, v213 dst_sel:DWORD dst_unused:UNUSED_PAD src0_sel:WORD_1 src1_sel:WORD_1
	v_or_b32_sdwa v214, v214, v218 dst_sel:DWORD dst_unused:UNUSED_PAD src0_sel:BYTE_0 src1_sel:DWORD
	v_or_b32_sdwa v193, v205, v193 dst_sel:WORD_1 dst_unused:UNUSED_PAD src0_sel:BYTE_0 src1_sel:DWORD
	v_or_b32_sdwa v205, v214, v193 dst_sel:DWORD dst_unused:UNUSED_PAD src0_sel:WORD_0 src1_sel:DWORD
	v_add3_u32 v193, s22, v170, v130
	ds_read_b32 v193, v193
	ds_read_b128 v[219:222], v176 offset:1024
	ds_read_b128 v[223:226], v176 offset:1040
	v_dot4_i32_i8 v34, v204, v36, v34
	v_dot4_i32_i8 v34, v205, v37, v34
	v_add_u32_e32 v218, s20, v141
	s_waitcnt lgkmcnt(1)
	v_dot4_i32_i8 v35, v65, v219, 0
	v_dot4_i32_i8 v35, v66, v220, v35
	;; [unrolled: 1-line block ×4, first 2 shown]
	s_waitcnt lgkmcnt(0)
	v_dot4_i32_i8 v35, v69, v223, 0
	v_dot4_i32_i8 v35, v206, v224, v35
	;; [unrolled: 1-line block ×28, first 2 shown]
	ds_read2_b32 v[35:36], v177 offset0:64 offset1:96
	ds_read_b128 v[219:222], v176 offset:2048
	ds_read_b128 v[223:226], v176 offset:2064
	s_add_i32 s17, s17, 1
	s_cmp_lt_u32 s19, 6
	s_waitcnt lgkmcnt(1)
	v_dot4_i32_i8 v39, v65, v219, 0
	v_dot4_i32_i8 v39, v66, v220, v39
	;; [unrolled: 1-line block ×4, first 2 shown]
	s_waitcnt lgkmcnt(0)
	v_dot4_i32_i8 v39, v69, v223, 0
	v_dot4_i32_i8 v39, v206, v224, v39
	;; [unrolled: 1-line block ×24, first 2 shown]
	ds_read_b128 v[219:222], v176 offset:3072
	ds_read_b128 v[227:230], v176 offset:3088
	v_dot4_i32_i8 v39, v201, v223, 0
	v_dot4_i32_i8 v39, v203, v224, v39
	;; [unrolled: 1-line block ×4, first 2 shown]
	s_waitcnt lgkmcnt(1)
	v_dot4_i32_i8 v39, v65, v219, 0
	v_dot4_i32_i8 v39, v66, v220, v39
	;; [unrolled: 1-line block ×4, first 2 shown]
	s_waitcnt lgkmcnt(0)
	v_dot4_i32_i8 v39, v69, v227, 0
	v_dot4_i32_i8 v39, v206, v228, v39
	;; [unrolled: 1-line block ×4, first 2 shown]
	ds_read_u16 v39, v63 offset:2
	s_waitcnt lgkmcnt(0)
	v_lshrrev_b16_e32 v63, 8, v39
	v_bfe_i32 v225, v63, 0, 8
	v_bfe_i32 v226, v39, 0, 8
	v_mul_lo_u32 v41, v41, v225
	v_mul_lo_u32 v37, v37, v226
	;; [unrolled: 1-line block ×4, first 2 shown]
	v_mad_u64_u32 v[213:214], s[20:21], v213, v226, v[41:42]
                                        ; kill: def $vgpr41 killed $sgpr0 killed $exec
	v_mad_u64_u32 v[40:41], s[20:21], v223, v225, v[40:41]
	v_mad_u64_u32 v[223:224], s[20:21], v231, v225, v[37:38]
	;; [unrolled: 1-line block ×3, first 2 shown]
	v_cvt_f32_i32_e32 v209, v223
	v_mul_f32_e32 v37, v178, v62
	v_cvt_f32_i32_e32 v40, v40
	v_mul_f32_e32 v41, v178, v36
	v_fmac_f32_e32 v18, v37, v209
	v_dot4_i32_i8 v37, v179, v219, 0
	v_dot4_i32_i8 v37, v180, v220, v37
	;; [unrolled: 1-line block ×3, first 2 shown]
	v_fma_f32 v20, v41, v40, v20
	v_dot4_i32_i8 v40, v184, v222, v37
	v_dot4_i32_i8 v37, v187, v227, 0
	;; [unrolled: 1-line block ×5, first 2 shown]
	ds_read_u16 v37, v211 offset:2
	v_cvt_f32_i32_e32 v63, v63
	v_cvt_f32_i32_e32 v213, v213
	v_mul_f32_e32 v39, v178, v61
	v_mul_f32_e32 v64, v178, v35
	v_fma_f32 v19, v39, v63, v19
	s_waitcnt lgkmcnt(0)
	v_lshrrev_b16_e32 v39, 8, v37
	v_fma_f32 v21, v64, v213, v21
	v_bfe_i32 v213, v39, 0, 8
	v_bfe_i32 v214, v37, 0, 8
	v_mul_lo_u32 v41, v239, v213
	v_mul_lo_u32 v40, v40, v214
	;; [unrolled: 1-line block ×4, first 2 shown]
	v_mad_u64_u32 v[63:64], s[20:21], v238, v214, v[41:42]
                                        ; kill: def $vgpr41 killed $sgpr0 killed $exec
	v_mul_f32_e32 v64, v181, v35
	v_mad_u64_u32 v[40:41], s[20:21], v209, v213, v[40:41]
	v_mul_f32_e32 v41, v181, v36
	v_cvt_f32_i32_e32 v63, v63
	v_mad_u64_u32 v[209:210], s[20:21], v210, v214, v[39:40]
	v_mad_u64_u32 v[210:211], s[20:21], v233, v213, v[37:38]
	v_mul_f32_e32 v37, v181, v62
	v_cvt_f32_i32_e32 v40, v40
	v_cvt_f32_i32_e32 v210, v210
	;; [unrolled: 1-line block ×3, first 2 shown]
	v_mul_f32_e32 v39, v181, v61
	v_fma_f32 v32, v41, v40, v32
	v_fmac_f32_e32 v30, v37, v210
	v_dot4_i32_i8 v37, v183, v219, 0
	v_dot4_i32_i8 v37, v185, v220, v37
	;; [unrolled: 1-line block ×7, first 2 shown]
	v_fma_f32 v31, v39, v209, v31
	v_dot4_i32_i8 v209, v202, v230, v37
	ds_read_u16 v37, v216 offset:2
	v_fma_f32 v33, v64, v63, v33
	s_waitcnt lgkmcnt(0)
	v_lshrrev_b16_e32 v39, 8, v37
	v_bfe_i32 v211, v39, 0, 8
	v_bfe_i32 v212, v37, 0, 8
	v_mul_lo_u32 v41, v241, v211
	v_mul_lo_u32 v40, v40, v212
	;; [unrolled: 1-line block ×4, first 2 shown]
	v_mad_u64_u32 v[63:64], s[20:21], v240, v212, v[41:42]
                                        ; kill: def $vgpr41 killed $sgpr0 killed $exec
	v_mul_f32_e32 v64, v186, v35
	v_mad_u64_u32 v[40:41], s[20:21], v209, v211, v[40:41]
	v_cvt_f32_i32_e32 v63, v63
	v_mul_f32_e32 v41, v186, v36
	v_mad_u64_u32 v[209:210], s[20:21], v215, v212, v[39:40]
	v_mad_u64_u32 v[215:216], s[20:21], v235, v211, v[37:38]
	v_mul_f32_e32 v37, v186, v62
	v_cvt_f32_i32_e32 v209, v209
	v_cvt_f32_i32_e32 v210, v215
	v_mul_f32_e32 v39, v186, v61
	v_fma_f32 v29, v64, v63, v29
	v_fma_f32 v27, v39, v209, v27
	v_fmac_f32_e32 v26, v37, v210
	v_dot4_i32_i8 v37, v189, v219, 0
	v_dot4_i32_i8 v37, v192, v220, v37
	;; [unrolled: 1-line block ×8, first 2 shown]
	ds_read_u16 v37, v218 offset:2
	v_cvt_f32_i32_e32 v40, v40
	v_mul_f32_e32 v36, v193, v36
	v_fma_f32 v28, v41, v40, v28
	s_waitcnt lgkmcnt(0)
	v_lshrrev_b16_e32 v40, 8, v37
	v_bfe_i32 v209, v40, 0, 8
	v_mul_lo_u32 v40, v243, v209
	v_bfe_i32 v210, v37, 0, 8
                                        ; kill: def $vgpr41 killed $sgpr0 killed $exec
	v_mul_lo_u32 v34, v34, v209
	v_mul_lo_u32 v39, v39, v210
	v_mad_u64_u32 v[40:41], s[20:21], v242, v210, v[40:41]
	v_mul_lo_u32 v37, v236, v210
	v_mad_u64_u32 v[63:64], s[20:21], v63, v209, v[39:40]
	v_mad_u64_u32 v[38:39], s[20:21], v38, v210, v[34:35]
	v_cvt_f32_i32_e32 v41, v63
	v_cvt_f32_i32_e32 v40, v40
	v_mad_u64_u32 v[215:216], s[20:21], v237, v209, v[37:38]
	v_cvt_f32_i32_e32 v38, v38
	v_mul_f32_e32 v34, v193, v62
	v_cvt_f32_i32_e32 v39, v215
	v_mul_f32_e32 v37, v193, v61
	v_mul_f32_e32 v35, v193, v35
	v_fma_f32 v25, v35, v40, v25
	v_fma_f32 v24, v36, v41, v24
	;; [unrolled: 1-line block ×3, first 2 shown]
	v_fmac_f32_e32 v22, v34, v39
	ds_read2_b32 v[61:62], v177 offset0:128 offset1:160
	ds_read_b128 v[34:37], v176 offset:4096
	ds_read_b128 v[38:41], v176 offset:4112
	s_waitcnt lgkmcnt(1)
	v_dot4_i32_i8 v63, v65, v34, 0
	v_dot4_i32_i8 v63, v66, v35, v63
	;; [unrolled: 1-line block ×4, first 2 shown]
	s_waitcnt lgkmcnt(0)
	v_dot4_i32_i8 v63, v69, v38, 0
	v_dot4_i32_i8 v63, v206, v39, v63
	;; [unrolled: 1-line block ×28, first 2 shown]
	ds_read_b128 v[34:37], v176 offset:5120
	ds_read_b128 v[38:41], v176 offset:5136
	s_waitcnt lgkmcnt(1)
	v_dot4_i32_i8 v63, v65, v34, 0
	v_dot4_i32_i8 v63, v66, v35, v63
	;; [unrolled: 1-line block ×4, first 2 shown]
	s_waitcnt lgkmcnt(0)
	v_dot4_i32_i8 v63, v69, v38, 0
	v_dot4_i32_i8 v63, v206, v39, v63
	;; [unrolled: 1-line block ×28, first 2 shown]
	ds_read2_b32 v[63:64], v177 offset0:192 offset1:224
	ds_read_b128 v[34:37], v176 offset:6144
	ds_read_b128 v[38:41], v176 offset:6160
	v_add_u32_e32 v177, 4, v177
	s_waitcnt lgkmcnt(1)
	v_dot4_i32_i8 v227, v65, v34, 0
	v_dot4_i32_i8 v227, v66, v35, v227
	;; [unrolled: 1-line block ×4, first 2 shown]
	s_waitcnt lgkmcnt(0)
	v_dot4_i32_i8 v227, v69, v38, 0
	v_dot4_i32_i8 v227, v206, v39, v227
	;; [unrolled: 1-line block ×28, first 2 shown]
	ds_read_b128 v[38:41], v176 offset:7168
	ds_read_b128 v[34:37], v176 offset:7184
	v_add_u32_e32 v176, 32, v176
	s_waitcnt lgkmcnt(1)
	v_dot4_i32_i8 v65, v65, v38, 0
	v_dot4_i32_i8 v65, v66, v39, v65
	;; [unrolled: 1-line block ×4, first 2 shown]
	s_waitcnt lgkmcnt(0)
	v_dot4_i32_i8 v66, v69, v34, 0
	v_mul_lo_u32 v67, v65, v226
	v_mul_lo_u32 v65, v240, v225
	v_dot4_i32_i8 v66, v206, v35, v66
	v_mul_lo_u32 v68, v236, v225
	v_dot4_i32_i8 v66, v207, v36, v66
	;; [unrolled: 2-line block ×3, first 2 shown]
                                        ; kill: def $vgpr66 killed $sgpr0 killed $exec
	v_mul_f32_e32 v207, v178, v64
	v_mad_u64_u32 v[65:66], s[20:21], v239, v226, v[65:66]
	v_mad_u64_u32 v[66:67], s[20:21], v206, v225, v[67:68]
	;; [unrolled: 1-line block ×4, first 2 shown]
	v_cvt_f32_i32_e32 v65, v65
	v_mul_f32_e32 v69, v178, v62
	v_cvt_f32_i32_e32 v68, v68
	v_mul_f32_e32 v206, v178, v61
	v_mul_f32_e32 v178, v178, v63
	v_cvt_f32_i32_e32 v67, v67
	v_fma_f32 v17, v178, v65, v17
	v_fmac_f32_e32 v14, v69, v68
	v_dot4_i32_i8 v65, v179, v38, 0
	v_mul_lo_u32 v68, v234, v213
	v_cvt_f32_i32_e32 v66, v66
	v_dot4_i32_i8 v65, v180, v39, v65
	v_dot4_i32_i8 v65, v182, v40, v65
	v_fma_f32 v15, v206, v67, v15
	v_dot4_i32_i8 v67, v184, v41, v65
                                        ; kill: def $vgpr69 killed $sgpr0 killed $exec
	v_dot4_i32_i8 v65, v187, v34, 0
	v_mul_lo_u32 v67, v67, v214
	v_mad_u64_u32 v[68:69], s[20:21], v233, v214, v[68:69]
	v_fma_f32 v16, v207, v66, v16
	v_dot4_i32_i8 v65, v190, v35, v65
	v_mul_lo_u32 v66, v224, v213
	v_dot4_i32_i8 v65, v194, v36, v65
	v_dot4_i32_i8 v178, v197, v37, v65
	v_mad_u64_u32 v[178:179], s[20:21], v178, v213, v[67:68]
                                        ; kill: def $vgpr67 killed $sgpr0 killed $exec
	v_mul_lo_u32 v65, v230, v214
	v_mad_u64_u32 v[66:67], s[20:21], v223, v214, v[66:67]
	v_mul_f32_e32 v67, v181, v61
	v_cvt_f32_i32_e32 v178, v178
	v_mad_u64_u32 v[179:180], s[20:21], v229, v213, v[65:66]
	v_mul_f32_e32 v65, v181, v62
	v_cvt_f32_i32_e32 v66, v66
	v_cvt_f32_i32_e32 v179, v179
	;; [unrolled: 1-line block ×3, first 2 shown]
	v_mul_f32_e32 v69, v181, v64
	v_fma_f32 v11, v67, v66, v11
	v_fmac_f32_e32 v10, v65, v179
	v_dot4_i32_i8 v65, v183, v38, 0
	v_dot4_i32_i8 v65, v185, v39, v65
	;; [unrolled: 1-line block ×8, first 2 shown]
	v_mul_f32_e32 v180, v181, v63
	v_dot4_i32_i8 v65, v200, v36, v65
	v_dot4_i32_i8 v38, v189, v38, 0
	;; [unrolled: 1-line block ×3, first 2 shown]
	v_fma_f32 v13, v180, v68, v13
	v_fma_f32 v12, v69, v178, v12
	v_dot4_i32_i8 v178, v202, v37, v65
	v_mul_lo_u32 v68, v232, v211
	v_dot4_i32_i8 v38, v192, v39, v38
	v_dot4_i32_i8 v39, v205, v37, v34
	v_mul_lo_u32 v37, v228, v209
	v_dot4_i32_i8 v38, v196, v40, v38
	v_dot4_i32_i8 v38, v199, v41, v38
                                        ; kill: def $vgpr69 killed $sgpr0 killed $exec
	v_mul_lo_u32 v36, v38, v210
                                        ; kill: def $vgpr38 killed $sgpr0 killed $exec
	v_mul_lo_u32 v67, v67, v212
	v_mad_u64_u32 v[68:69], s[20:21], v231, v212, v[68:69]
	v_mad_u64_u32 v[37:38], s[20:21], v227, v210, v[37:38]
	v_mul_lo_u32 v66, v220, v211
	v_mul_lo_u32 v35, v216, v209
	v_mad_u64_u32 v[178:179], s[20:21], v178, v211, v[67:68]
                                        ; kill: def $vgpr67 killed $sgpr0 killed $exec
	v_mad_u64_u32 v[38:39], s[20:21], v39, v209, v[36:37]
                                        ; kill: def $vgpr36 killed $sgpr0 killed $exec
	v_mul_lo_u32 v65, v222, v212
	v_mad_u64_u32 v[66:67], s[20:21], v219, v212, v[66:67]
	v_mul_lo_u32 v34, v218, v210
	v_mad_u64_u32 v[35:36], s[20:21], v215, v210, v[35:36]
	v_mad_u64_u32 v[179:180], s[20:21], v221, v211, v[65:66]
	;; [unrolled: 1-line block ×3, first 2 shown]
	v_cvt_f32_i32_e32 v179, v179
	v_cvt_f32_i32_e32 v66, v66
	;; [unrolled: 1-line block ×8, first 2 shown]
	v_mul_f32_e32 v65, v186, v62
	v_mul_f32_e32 v67, v186, v61
	;; [unrolled: 1-line block ×8, first 2 shown]
	v_fma_f32 v9, v180, v68, v9
	v_fma_f32 v8, v69, v178, v8
	;; [unrolled: 1-line block ×3, first 2 shown]
	v_fmac_f32_e32 v6, v65, v179
	v_fma_f32 v5, v41, v37, v5
	v_fma_f32 v4, v40, v38, v4
	;; [unrolled: 1-line block ×3, first 2 shown]
	v_fmac_f32_e32 v2, v34, v39
	s_mov_b32 s20, s19
	s_cbranch_scc1 .LBB170_7
; %bb.8:                                ;   in Loop: Header=BB170_6 Depth=1
	v_add_u32_e32 v69, s16, v131
	v_add_u32_e32 v67, 4, v174
	;; [unrolled: 1-line block ×3, first 2 shown]
	v_mad_u64_u32 v[67:68], s[18:19], v67, 36, s[2:3]
	v_mad_i64_i32 v[34:35], s[18:19], v34, 36, v[59:60]
	v_add_u32_e32 v36, v69, v116
	v_mad_i64_i32 v[36:37], s[18:19], v36, 36, v[59:60]
	v_add_u32_e32 v38, v69, v117
	v_add_u32_e32 v40, v69, v118
	v_mad_i64_i32 v[38:39], s[18:19], v38, 36, v[59:60]
	v_mad_i64_i32 v[40:41], s[18:19], v40, 36, v[59:60]
	v_add_u32_e32 v61, v69, v119
	v_add_u32_e32 v63, v69, v120
	;; [unrolled: 1-line block ×4, first 2 shown]
	s_barrier
	v_mad_i64_i32 v[61:62], s[18:19], v61, 36, v[59:60]
	v_mad_i64_i32 v[63:64], s[18:19], v63, 36, v[59:60]
	;; [unrolled: 1-line block ×4, first 2 shown]
	global_load_dword v67, v[67:68], off
	s_nop 0
	global_load_dword v34, v[34:35], off offset:4
	s_nop 0
	global_load_dword v35, v[36:37], off offset:4
	;; [unrolled: 2-line block ×3, first 2 shown]
	global_load_dword v37, v[40:41], off offset:4
	s_nop 0
	global_load_dword v38, v[61:62], off offset:4
	global_load_dword v39, v[63:64], off offset:4
	global_load_dword v40, v[65:66], off offset:4
	global_load_dword v41, v[176:177], off offset:4
	s_mov_b32 s17, 4
	s_mov_b32 s18, 8
	;; [unrolled: 1-line block ×3, first 2 shown]
	v_mov_b32_e32 v176, v143
	v_mov_b32_e32 v177, v142
	s_waitcnt vmcnt(8)
	v_cvt_f32_f16_e32 v61, v67
	s_waitcnt vmcnt(7)
	ds_write_b32 v175, v34
	s_waitcnt vmcnt(6)
	ds_write_b32 v158, v35
	s_waitcnt vmcnt(5)
	ds_write_b32 v159, v36
	s_waitcnt vmcnt(4)
	ds_write_b32 v160, v37
	s_waitcnt vmcnt(3)
	ds_write_b32 v161, v38
	s_waitcnt vmcnt(2)
	ds_write_b32 v162, v39
	s_waitcnt vmcnt(1)
	ds_write_b32 v163, v40
	s_waitcnt vmcnt(0)
	ds_write_b32 v164, v41
	ds_write_b32 v113, v61
	s_waitcnt lgkmcnt(0)
	s_barrier
.LBB170_9:                              ;   Parent Loop BB170_6 Depth=1
                                        ; =>  This Inner Loop Header: Depth=2
	s_add_i32 s19, s20, 2
	s_lshr_b32 s24, s19, 4
	s_and_b32 s22, s19, 0x3ffffff8
	v_lshl_add_u32 v205, s22, 2, v123
	s_lshl_b32 s22, s24, 5
	s_addk_i32 s22, 0x4200
	v_add3_u32 v180, s22, v171, v124
	ds_read2_b32 v[61:62], v177 offset1:32
	ds_read_b128 v[38:41], v176
	ds_read_b128 v[34:37], v176 offset:16
	ds_read2_b32 v[65:66], v180 offset1:1
	ds_read2_b32 v[63:64], v205 offset1:1
	v_add3_u32 v199, s22, v167, v127
	s_add_i32 s21, s20, -6
	ds_read2_b32 v[200:201], v199 offset0:6 offset1:7
	s_waitcnt lgkmcnt(2)
	v_ashrrev_i32_e32 v65, s17, v65
	s_waitcnt lgkmcnt(1)
	v_ashrrev_i32_e32 v63, s21, v63
	v_lshlrev_b32_e32 v65, 2, v65
	v_and_b32_e32 v67, 0x3030303, v63
	v_bfe_u32 v63, v63, 24, 2
	v_and_b32_e32 v65, 0x4040404, v65
	v_sub_u16_e32 v68, v67, v65
	v_sub_u16_sdwa v69, v67, v65 dst_sel:BYTE_1 dst_unused:UNUSED_PAD src0_sel:BYTE_1 src1_sel:BYTE_1
	v_sub_u16_sdwa v63, v63, v65 dst_sel:BYTE_1 dst_unused:UNUSED_PAD src0_sel:DWORD src1_sel:BYTE_3
	v_sub_u16_sdwa v65, v67, v65 dst_sel:DWORD dst_unused:UNUSED_PAD src0_sel:WORD_1 src1_sel:WORD_1
	v_or_b32_sdwa v68, v68, v69 dst_sel:DWORD dst_unused:UNUSED_PAD src0_sel:BYTE_0 src1_sel:DWORD
	v_or_b32_sdwa v63, v65, v63 dst_sel:WORD_1 dst_unused:UNUSED_PAD src0_sel:BYTE_0 src1_sel:DWORD
	v_ashrrev_i32_e32 v66, s17, v66
	v_or_b32_sdwa v65, v68, v63 dst_sel:DWORD dst_unused:UNUSED_PAD src0_sel:WORD_0 src1_sel:DWORD
	v_ashrrev_i32_e32 v63, s21, v64
	v_lshlrev_b32_e32 v66, 2, v66
	v_and_b32_e32 v64, 0x3030303, v63
	v_bfe_u32 v63, v63, 24, 2
	v_and_b32_e32 v66, 0x4040404, v66
	v_sub_u16_e32 v67, v64, v66
	v_sub_u16_sdwa v68, v64, v66 dst_sel:BYTE_1 dst_unused:UNUSED_PAD src0_sel:BYTE_1 src1_sel:BYTE_1
	v_sub_u16_sdwa v63, v63, v66 dst_sel:BYTE_1 dst_unused:UNUSED_PAD src0_sel:DWORD src1_sel:BYTE_3
	v_sub_u16_sdwa v64, v64, v66 dst_sel:DWORD dst_unused:UNUSED_PAD src0_sel:WORD_1 src1_sel:WORD_1
	v_or_b32_sdwa v67, v67, v68 dst_sel:DWORD dst_unused:UNUSED_PAD src0_sel:BYTE_0 src1_sel:DWORD
	v_or_b32_sdwa v63, v64, v63 dst_sel:WORD_1 dst_unused:UNUSED_PAD src0_sel:BYTE_0 src1_sel:DWORD
	v_or_b32_sdwa v66, v67, v63 dst_sel:DWORD dst_unused:UNUSED_PAD src0_sel:WORD_0 src1_sel:DWORD
	ds_read2_b32 v[63:64], v205 offset0:2 offset1:3
	ds_read2_b32 v[67:68], v180 offset0:2 offset1:3
	s_and_b32 s23, s18, -16
	s_add_i32 s20, s20, s23
	s_lshl_b32 s23, s24, 2
	s_waitcnt lgkmcnt(1)
	v_ashrrev_i32_e32 v63, s21, v63
	s_waitcnt lgkmcnt(0)
	v_ashrrev_i32_e32 v67, s17, v67
	v_lshlrev_b32_e32 v67, 2, v67
	v_and_b32_e32 v69, 0x3030303, v63
	v_bfe_u32 v63, v63, 24, 2
	v_and_b32_e32 v67, 0x4040404, v67
	v_sub_u16_e32 v178, v69, v67
	v_sub_u16_sdwa v179, v69, v67 dst_sel:BYTE_1 dst_unused:UNUSED_PAD src0_sel:BYTE_1 src1_sel:BYTE_1
	v_sub_u16_sdwa v63, v63, v67 dst_sel:BYTE_1 dst_unused:UNUSED_PAD src0_sel:DWORD src1_sel:BYTE_3
	v_sub_u16_sdwa v67, v69, v67 dst_sel:DWORD dst_unused:UNUSED_PAD src0_sel:WORD_1 src1_sel:WORD_1
	v_or_b32_sdwa v178, v178, v179 dst_sel:DWORD dst_unused:UNUSED_PAD src0_sel:BYTE_0 src1_sel:DWORD
	v_or_b32_sdwa v63, v67, v63 dst_sel:WORD_1 dst_unused:UNUSED_PAD src0_sel:BYTE_0 src1_sel:DWORD
	v_ashrrev_i32_e32 v68, s17, v68
	v_or_b32_sdwa v67, v178, v63 dst_sel:DWORD dst_unused:UNUSED_PAD src0_sel:WORD_0 src1_sel:DWORD
	v_ashrrev_i32_e32 v63, s21, v64
	v_lshlrev_b32_e32 v68, 2, v68
	v_and_b32_e32 v64, 0x3030303, v63
	v_bfe_u32 v63, v63, 24, 2
	v_and_b32_e32 v68, 0x4040404, v68
	v_sub_u16_e32 v69, v64, v68
	v_sub_u16_sdwa v178, v64, v68 dst_sel:BYTE_1 dst_unused:UNUSED_PAD src0_sel:BYTE_1 src1_sel:BYTE_1
	v_sub_u16_sdwa v63, v63, v68 dst_sel:BYTE_1 dst_unused:UNUSED_PAD src0_sel:DWORD src1_sel:BYTE_3
	v_sub_u16_sdwa v64, v64, v68 dst_sel:DWORD dst_unused:UNUSED_PAD src0_sel:WORD_1 src1_sel:WORD_1
	v_or_b32_sdwa v69, v69, v178 dst_sel:DWORD dst_unused:UNUSED_PAD src0_sel:BYTE_0 src1_sel:DWORD
	v_or_b32_sdwa v63, v64, v63 dst_sel:WORD_1 dst_unused:UNUSED_PAD src0_sel:BYTE_0 src1_sel:DWORD
	v_or_b32_sdwa v68, v69, v63 dst_sel:DWORD dst_unused:UNUSED_PAD src0_sel:WORD_0 src1_sel:DWORD
	ds_read2_b32 v[63:64], v205 offset0:4 offset1:5
	ds_read2_b32 v[178:179], v180 offset0:4 offset1:5
	s_add_i32 s23, s23, 0x9380
	v_add3_u32 v189, s22, v165, v125
	v_add3_u32 v218, s22, v169, v129
	s_waitcnt lgkmcnt(1)
	v_ashrrev_i32_e32 v63, s21, v63
	s_waitcnt lgkmcnt(0)
	v_ashrrev_i32_e32 v178, s17, v178
	v_lshlrev_b32_e32 v178, 2, v178
	v_and_b32_e32 v69, 0x3030303, v63
	v_bfe_u32 v63, v63, 24, 2
	v_and_b32_e32 v178, 0x4040404, v178
	v_sub_u16_e32 v181, v69, v178
	v_sub_u16_sdwa v182, v69, v178 dst_sel:BYTE_1 dst_unused:UNUSED_PAD src0_sel:BYTE_1 src1_sel:BYTE_1
	v_sub_u16_sdwa v63, v63, v178 dst_sel:BYTE_1 dst_unused:UNUSED_PAD src0_sel:DWORD src1_sel:BYTE_3
	v_sub_u16_sdwa v69, v69, v178 dst_sel:DWORD dst_unused:UNUSED_PAD src0_sel:WORD_1 src1_sel:WORD_1
	v_or_b32_sdwa v181, v181, v182 dst_sel:DWORD dst_unused:UNUSED_PAD src0_sel:BYTE_0 src1_sel:DWORD
	v_or_b32_sdwa v63, v69, v63 dst_sel:WORD_1 dst_unused:UNUSED_PAD src0_sel:BYTE_0 src1_sel:DWORD
	v_ashrrev_i32_e32 v178, s17, v179
	v_or_b32_sdwa v69, v181, v63 dst_sel:DWORD dst_unused:UNUSED_PAD src0_sel:WORD_0 src1_sel:DWORD
	v_ashrrev_i32_e32 v63, s21, v64
	v_lshlrev_b32_e32 v178, 2, v178
	v_and_b32_e32 v64, 0x3030303, v63
	v_bfe_u32 v63, v63, 24, 2
	v_and_b32_e32 v178, 0x4040404, v178
	v_sub_u16_e32 v179, v64, v178
	v_sub_u16_sdwa v181, v64, v178 dst_sel:BYTE_1 dst_unused:UNUSED_PAD src0_sel:BYTE_1 src1_sel:BYTE_1
	v_sub_u16_sdwa v63, v63, v178 dst_sel:BYTE_1 dst_unused:UNUSED_PAD src0_sel:DWORD src1_sel:BYTE_3
	v_sub_u16_sdwa v64, v64, v178 dst_sel:DWORD dst_unused:UNUSED_PAD src0_sel:WORD_1 src1_sel:WORD_1
	v_or_b32_sdwa v179, v179, v181 dst_sel:DWORD dst_unused:UNUSED_PAD src0_sel:BYTE_0 src1_sel:DWORD
	v_or_b32_sdwa v63, v64, v63 dst_sel:WORD_1 dst_unused:UNUSED_PAD src0_sel:BYTE_0 src1_sel:DWORD
	v_or_b32_sdwa v206, v179, v63 dst_sel:DWORD dst_unused:UNUSED_PAD src0_sel:WORD_0 src1_sel:DWORD
	ds_read2_b32 v[63:64], v205 offset0:6 offset1:7
	ds_read2_b32 v[178:179], v180 offset0:6 offset1:7
	;; [unrolled: 1-line block ×3, first 2 shown]
	v_add_u32_e32 v211, s20, v136
	v_add_u32_e32 v214, s20, v138
	s_waitcnt lgkmcnt(2)
	v_ashrrev_i32_e32 v63, s21, v63
	s_waitcnt lgkmcnt(1)
	v_ashrrev_i32_e32 v178, s17, v178
	v_lshlrev_b32_e32 v178, 2, v178
	v_and_b32_e32 v181, 0x3030303, v63
	v_bfe_u32 v63, v63, 24, 2
	v_and_b32_e32 v178, 0x4040404, v178
	v_sub_u16_e32 v180, v181, v178
	v_sub_u16_sdwa v182, v181, v178 dst_sel:BYTE_1 dst_unused:UNUSED_PAD src0_sel:BYTE_1 src1_sel:BYTE_1
	v_sub_u16_sdwa v63, v63, v178 dst_sel:BYTE_1 dst_unused:UNUSED_PAD src0_sel:DWORD src1_sel:BYTE_3
	v_sub_u16_sdwa v178, v181, v178 dst_sel:DWORD dst_unused:UNUSED_PAD src0_sel:WORD_1 src1_sel:WORD_1
	v_or_b32_sdwa v180, v180, v182 dst_sel:DWORD dst_unused:UNUSED_PAD src0_sel:BYTE_0 src1_sel:DWORD
	v_or_b32_sdwa v63, v178, v63 dst_sel:WORD_1 dst_unused:UNUSED_PAD src0_sel:BYTE_0 src1_sel:DWORD
	v_ashrrev_i32_e32 v178, s17, v179
	v_or_b32_sdwa v207, v180, v63 dst_sel:DWORD dst_unused:UNUSED_PAD src0_sel:WORD_0 src1_sel:DWORD
	v_ashrrev_i32_e32 v63, s21, v64
	v_lshlrev_b32_e32 v178, 2, v178
	v_and_b32_e32 v64, 0x3030303, v63
	v_bfe_u32 v63, v63, 24, 2
	v_and_b32_e32 v178, 0x4040404, v178
	v_sub_u16_e32 v179, v64, v178
	v_sub_u16_sdwa v180, v64, v178 dst_sel:BYTE_1 dst_unused:UNUSED_PAD src0_sel:BYTE_1 src1_sel:BYTE_1
	v_sub_u16_sdwa v63, v63, v178 dst_sel:BYTE_1 dst_unused:UNUSED_PAD src0_sel:DWORD src1_sel:BYTE_3
	v_sub_u16_sdwa v64, v64, v178 dst_sel:DWORD dst_unused:UNUSED_PAD src0_sel:WORD_1 src1_sel:WORD_1
	v_or_b32_sdwa v179, v179, v180 dst_sel:DWORD dst_unused:UNUSED_PAD src0_sel:BYTE_0 src1_sel:DWORD
	v_or_b32_sdwa v63, v64, v63 dst_sel:WORD_1 dst_unused:UNUSED_PAD src0_sel:BYTE_0 src1_sel:DWORD
	v_or_b32_sdwa v208, v179, v63 dst_sel:DWORD dst_unused:UNUSED_PAD src0_sel:WORD_0 src1_sel:DWORD
	v_dot4_i32_i8 v179, v69, v34, 0
	v_dot4_i32_i8 v179, v206, v35, v179
	;; [unrolled: 1-line block ×3, first 2 shown]
	v_add3_u32 v63, s23, v172, v173
	v_dot4_i32_i8 v209, v208, v37, v179
	v_add_u32_e32 v179, 0x1080, v205
	ds_read_b32 v178, v63
	ds_read2_b32 v[179:180], v179 offset1:1
	ds_read2_b32 v[181:182], v189 offset1:1
	v_dot4_i32_i8 v63, v65, v38, 0
	v_dot4_i32_i8 v63, v66, v39, v63
	;; [unrolled: 1-line block ×3, first 2 shown]
	s_waitcnt lgkmcnt(1)
	v_ashrrev_i32_e32 v179, s21, v179
	s_waitcnt lgkmcnt(0)
	v_ashrrev_i32_e32 v181, s17, v181
	v_lshlrev_b32_e32 v181, 2, v181
	v_and_b32_e32 v183, 0x3030303, v179
	v_bfe_u32 v179, v179, 24, 2
	v_and_b32_e32 v181, 0x4040404, v181
	v_ashrrev_i32_e32 v182, s17, v182
	v_sub_u16_e32 v184, v183, v181
	v_sub_u16_sdwa v185, v183, v181 dst_sel:BYTE_1 dst_unused:UNUSED_PAD src0_sel:BYTE_1 src1_sel:BYTE_1
	v_sub_u16_sdwa v179, v179, v181 dst_sel:BYTE_1 dst_unused:UNUSED_PAD src0_sel:DWORD src1_sel:BYTE_3
	v_sub_u16_sdwa v181, v183, v181 dst_sel:DWORD dst_unused:UNUSED_PAD src0_sel:WORD_1 src1_sel:WORD_1
	v_ashrrev_i32_e32 v180, s21, v180
	v_lshlrev_b32_e32 v182, 2, v182
	v_or_b32_sdwa v184, v184, v185 dst_sel:DWORD dst_unused:UNUSED_PAD src0_sel:BYTE_0 src1_sel:DWORD
	v_or_b32_sdwa v179, v181, v179 dst_sel:WORD_1 dst_unused:UNUSED_PAD src0_sel:BYTE_0 src1_sel:DWORD
	v_and_b32_e32 v181, 0x3030303, v180
	v_bfe_u32 v180, v180, 24, 2
	v_and_b32_e32 v182, 0x4040404, v182
	v_or_b32_sdwa v179, v184, v179 dst_sel:DWORD dst_unused:UNUSED_PAD src0_sel:WORD_0 src1_sel:DWORD
	v_sub_u16_e32 v183, v181, v182
	v_sub_u16_sdwa v184, v181, v182 dst_sel:BYTE_1 dst_unused:UNUSED_PAD src0_sel:BYTE_1 src1_sel:BYTE_1
	v_sub_u16_sdwa v180, v180, v182 dst_sel:BYTE_1 dst_unused:UNUSED_PAD src0_sel:DWORD src1_sel:BYTE_3
	v_sub_u16_sdwa v181, v181, v182 dst_sel:DWORD dst_unused:UNUSED_PAD src0_sel:WORD_1 src1_sel:WORD_1
	v_or_b32_sdwa v183, v183, v184 dst_sel:DWORD dst_unused:UNUSED_PAD src0_sel:BYTE_0 src1_sel:DWORD
	v_or_b32_sdwa v180, v181, v180 dst_sel:WORD_1 dst_unused:UNUSED_PAD src0_sel:BYTE_0 src1_sel:DWORD
	v_add_u32_e32 v181, 0x1088, v205
	v_or_b32_sdwa v180, v183, v180 dst_sel:DWORD dst_unused:UNUSED_PAD src0_sel:WORD_0 src1_sel:DWORD
	ds_read2_b32 v[182:183], v181 offset1:1
	ds_read2_b32 v[184:185], v189 offset0:2 offset1:3
	ds_read2_b32 v[203:204], v218 offset1:1
	v_dot4_i32_i8 v63, v68, v41, v63
	v_add_u32_e32 v64, s20, v134
	s_waitcnt lgkmcnt(2)
	v_ashrrev_i32_e32 v181, s21, v182
	s_waitcnt lgkmcnt(1)
	v_ashrrev_i32_e32 v184, s17, v184
	v_lshlrev_b32_e32 v184, 2, v184
	v_and_b32_e32 v182, 0x3030303, v181
	v_bfe_u32 v181, v181, 24, 2
	v_and_b32_e32 v184, 0x4040404, v184
	v_sub_u16_e32 v186, v182, v184
	v_sub_u16_sdwa v187, v182, v184 dst_sel:BYTE_1 dst_unused:UNUSED_PAD src0_sel:BYTE_1 src1_sel:BYTE_1
	v_sub_u16_sdwa v181, v181, v184 dst_sel:BYTE_1 dst_unused:UNUSED_PAD src0_sel:DWORD src1_sel:BYTE_3
	v_sub_u16_sdwa v182, v182, v184 dst_sel:DWORD dst_unused:UNUSED_PAD src0_sel:WORD_1 src1_sel:WORD_1
	v_or_b32_sdwa v186, v186, v187 dst_sel:DWORD dst_unused:UNUSED_PAD src0_sel:BYTE_0 src1_sel:DWORD
	v_or_b32_sdwa v181, v182, v181 dst_sel:WORD_1 dst_unused:UNUSED_PAD src0_sel:BYTE_0 src1_sel:DWORD
	v_ashrrev_i32_e32 v184, s17, v185
	v_or_b32_sdwa v182, v186, v181 dst_sel:DWORD dst_unused:UNUSED_PAD src0_sel:WORD_0 src1_sel:DWORD
	v_ashrrev_i32_e32 v181, s21, v183
	v_lshlrev_b32_e32 v184, 2, v184
	v_and_b32_e32 v183, 0x3030303, v181
	v_bfe_u32 v181, v181, 24, 2
	v_and_b32_e32 v184, 0x4040404, v184
	v_sub_u16_e32 v185, v183, v184
	v_sub_u16_sdwa v186, v183, v184 dst_sel:BYTE_1 dst_unused:UNUSED_PAD src0_sel:BYTE_1 src1_sel:BYTE_1
	v_sub_u16_sdwa v181, v181, v184 dst_sel:BYTE_1 dst_unused:UNUSED_PAD src0_sel:DWORD src1_sel:BYTE_3
	v_sub_u16_sdwa v183, v183, v184 dst_sel:DWORD dst_unused:UNUSED_PAD src0_sel:WORD_1 src1_sel:WORD_1
	v_or_b32_sdwa v185, v185, v186 dst_sel:DWORD dst_unused:UNUSED_PAD src0_sel:BYTE_0 src1_sel:DWORD
	v_or_b32_sdwa v181, v183, v181 dst_sel:WORD_1 dst_unused:UNUSED_PAD src0_sel:BYTE_0 src1_sel:DWORD
	v_or_b32_sdwa v184, v185, v181 dst_sel:DWORD dst_unused:UNUSED_PAD src0_sel:WORD_0 src1_sel:DWORD
	v_add_u32_e32 v181, 0x1090, v205
	ds_read2_b32 v[185:186], v181 offset1:1
	ds_read2_b32 v[187:188], v189 offset0:4 offset1:5
	s_add_i32 s18, s18, 2
	s_waitcnt lgkmcnt(1)
	v_ashrrev_i32_e32 v181, s21, v185
	s_waitcnt lgkmcnt(0)
	v_ashrrev_i32_e32 v185, s17, v187
	v_lshlrev_b32_e32 v185, 2, v185
	v_and_b32_e32 v183, 0x3030303, v181
	v_bfe_u32 v181, v181, 24, 2
	v_and_b32_e32 v185, 0x4040404, v185
	v_sub_u16_e32 v187, v183, v185
	v_sub_u16_sdwa v190, v183, v185 dst_sel:BYTE_1 dst_unused:UNUSED_PAD src0_sel:BYTE_1 src1_sel:BYTE_1
	v_sub_u16_sdwa v181, v181, v185 dst_sel:BYTE_1 dst_unused:UNUSED_PAD src0_sel:DWORD src1_sel:BYTE_3
	v_sub_u16_sdwa v183, v183, v185 dst_sel:DWORD dst_unused:UNUSED_PAD src0_sel:WORD_1 src1_sel:WORD_1
	v_or_b32_sdwa v187, v187, v190 dst_sel:DWORD dst_unused:UNUSED_PAD src0_sel:BYTE_0 src1_sel:DWORD
	v_or_b32_sdwa v181, v183, v181 dst_sel:WORD_1 dst_unused:UNUSED_PAD src0_sel:BYTE_0 src1_sel:DWORD
	v_ashrrev_i32_e32 v185, s17, v188
	v_or_b32_sdwa v187, v187, v181 dst_sel:DWORD dst_unused:UNUSED_PAD src0_sel:WORD_0 src1_sel:DWORD
	v_ashrrev_i32_e32 v181, s21, v186
	v_lshlrev_b32_e32 v185, 2, v185
	v_and_b32_e32 v183, 0x3030303, v181
	v_bfe_u32 v181, v181, 24, 2
	v_and_b32_e32 v185, 0x4040404, v185
	v_sub_u16_e32 v186, v183, v185
	v_sub_u16_sdwa v188, v183, v185 dst_sel:BYTE_1 dst_unused:UNUSED_PAD src0_sel:BYTE_1 src1_sel:BYTE_1
	v_sub_u16_sdwa v181, v181, v185 dst_sel:BYTE_1 dst_unused:UNUSED_PAD src0_sel:DWORD src1_sel:BYTE_3
	v_sub_u16_sdwa v183, v183, v185 dst_sel:DWORD dst_unused:UNUSED_PAD src0_sel:WORD_1 src1_sel:WORD_1
	v_or_b32_sdwa v186, v186, v188 dst_sel:DWORD dst_unused:UNUSED_PAD src0_sel:BYTE_0 src1_sel:DWORD
	v_or_b32_sdwa v181, v183, v181 dst_sel:WORD_1 dst_unused:UNUSED_PAD src0_sel:BYTE_0 src1_sel:DWORD
	v_or_b32_sdwa v190, v186, v181 dst_sel:DWORD dst_unused:UNUSED_PAD src0_sel:WORD_0 src1_sel:DWORD
	v_add_u32_e32 v181, 0x1098, v205
	ds_read2_b32 v[185:186], v181 offset1:1
	ds_read2_b32 v[188:189], v189 offset0:6 offset1:7
	s_waitcnt lgkmcnt(1)
	v_ashrrev_i32_e32 v181, s21, v185
	s_waitcnt lgkmcnt(0)
	v_ashrrev_i32_e32 v185, s17, v188
	v_lshlrev_b32_e32 v185, 2, v185
	v_and_b32_e32 v183, 0x3030303, v181
	v_bfe_u32 v181, v181, 24, 2
	v_and_b32_e32 v185, 0x4040404, v185
	v_sub_u16_e32 v188, v183, v185
	v_sub_u16_sdwa v191, v183, v185 dst_sel:BYTE_1 dst_unused:UNUSED_PAD src0_sel:BYTE_1 src1_sel:BYTE_1
	v_sub_u16_sdwa v181, v181, v185 dst_sel:BYTE_1 dst_unused:UNUSED_PAD src0_sel:DWORD src1_sel:BYTE_3
	v_sub_u16_sdwa v183, v183, v185 dst_sel:DWORD dst_unused:UNUSED_PAD src0_sel:WORD_1 src1_sel:WORD_1
	v_or_b32_sdwa v188, v188, v191 dst_sel:DWORD dst_unused:UNUSED_PAD src0_sel:BYTE_0 src1_sel:DWORD
	v_or_b32_sdwa v181, v183, v181 dst_sel:WORD_1 dst_unused:UNUSED_PAD src0_sel:BYTE_0 src1_sel:DWORD
	v_ashrrev_i32_e32 v185, s17, v189
	v_or_b32_sdwa v194, v188, v181 dst_sel:DWORD dst_unused:UNUSED_PAD src0_sel:WORD_0 src1_sel:DWORD
	v_ashrrev_i32_e32 v181, s21, v186
	v_lshlrev_b32_e32 v185, 2, v185
	v_and_b32_e32 v183, 0x3030303, v181
	v_bfe_u32 v181, v181, 24, 2
	v_and_b32_e32 v185, 0x4040404, v185
	v_sub_u16_e32 v186, v183, v185
	v_sub_u16_sdwa v188, v183, v185 dst_sel:BYTE_1 dst_unused:UNUSED_PAD src0_sel:BYTE_1 src1_sel:BYTE_1
	v_sub_u16_sdwa v181, v181, v185 dst_sel:BYTE_1 dst_unused:UNUSED_PAD src0_sel:DWORD src1_sel:BYTE_3
	v_sub_u16_sdwa v183, v183, v185 dst_sel:DWORD dst_unused:UNUSED_PAD src0_sel:WORD_1 src1_sel:WORD_1
	v_or_b32_sdwa v181, v183, v181 dst_sel:WORD_1 dst_unused:UNUSED_PAD src0_sel:BYTE_0 src1_sel:DWORD
	v_dot4_i32_i8 v183, v179, v38, 0
	v_dot4_i32_i8 v183, v180, v39, v183
	;; [unrolled: 1-line block ×5, first 2 shown]
	v_or_b32_sdwa v186, v186, v188 dst_sel:DWORD dst_unused:UNUSED_PAD src0_sel:BYTE_0 src1_sel:DWORD
	v_dot4_i32_i8 v183, v190, v35, v183
	v_or_b32_sdwa v197, v186, v181 dst_sel:DWORD dst_unused:UNUSED_PAD src0_sel:WORD_0 src1_sel:DWORD
	v_dot4_i32_i8 v183, v194, v36, v183
	v_add3_u32 v181, s23, v166, v126
	v_dot4_i32_i8 v212, v197, v37, v183
	v_add_u32_e32 v183, 0x2100, v205
	ds_read_b32 v181, v181
	ds_read2_b32 v[185:186], v183 offset1:1
	ds_read2_b32 v[188:189], v199 offset1:1
	s_waitcnt lgkmcnt(1)
	v_ashrrev_i32_e32 v183, s21, v185
	s_waitcnt lgkmcnt(0)
	v_ashrrev_i32_e32 v188, s17, v188
	v_lshlrev_b32_e32 v188, 2, v188
	v_and_b32_e32 v185, 0x3030303, v183
	v_bfe_u32 v183, v183, 24, 2
	v_and_b32_e32 v188, 0x4040404, v188
	v_sub_u16_e32 v191, v185, v188
	v_sub_u16_sdwa v192, v185, v188 dst_sel:BYTE_1 dst_unused:UNUSED_PAD src0_sel:BYTE_1 src1_sel:BYTE_1
	v_sub_u16_sdwa v183, v183, v188 dst_sel:BYTE_1 dst_unused:UNUSED_PAD src0_sel:DWORD src1_sel:BYTE_3
	v_sub_u16_sdwa v185, v185, v188 dst_sel:DWORD dst_unused:UNUSED_PAD src0_sel:WORD_1 src1_sel:WORD_1
	v_ashrrev_i32_e32 v188, s17, v189
	v_or_b32_sdwa v183, v185, v183 dst_sel:WORD_1 dst_unused:UNUSED_PAD src0_sel:BYTE_0 src1_sel:DWORD
	v_ashrrev_i32_e32 v185, s21, v186
	v_lshlrev_b32_e32 v188, 2, v188
	v_or_b32_sdwa v191, v191, v192 dst_sel:DWORD dst_unused:UNUSED_PAD src0_sel:BYTE_0 src1_sel:DWORD
	v_and_b32_e32 v186, 0x3030303, v185
	v_bfe_u32 v185, v185, 24, 2
	v_and_b32_e32 v188, 0x4040404, v188
	v_or_b32_sdwa v183, v191, v183 dst_sel:DWORD dst_unused:UNUSED_PAD src0_sel:WORD_0 src1_sel:DWORD
	v_sub_u16_e32 v189, v186, v188
	v_sub_u16_sdwa v191, v186, v188 dst_sel:BYTE_1 dst_unused:UNUSED_PAD src0_sel:BYTE_1 src1_sel:BYTE_1
	v_sub_u16_sdwa v185, v185, v188 dst_sel:BYTE_1 dst_unused:UNUSED_PAD src0_sel:DWORD src1_sel:BYTE_3
	v_sub_u16_sdwa v186, v186, v188 dst_sel:DWORD dst_unused:UNUSED_PAD src0_sel:WORD_1 src1_sel:WORD_1
	v_or_b32_sdwa v189, v189, v191 dst_sel:DWORD dst_unused:UNUSED_PAD src0_sel:BYTE_0 src1_sel:DWORD
	v_or_b32_sdwa v185, v186, v185 dst_sel:WORD_1 dst_unused:UNUSED_PAD src0_sel:BYTE_0 src1_sel:DWORD
	v_add_u32_e32 v186, 0x2108, v205
	v_or_b32_sdwa v185, v189, v185 dst_sel:DWORD dst_unused:UNUSED_PAD src0_sel:WORD_0 src1_sel:DWORD
	ds_read2_b32 v[188:189], v186 offset1:1
	ds_read2_b32 v[191:192], v199 offset0:2 offset1:3
	s_waitcnt lgkmcnt(1)
	v_ashrrev_i32_e32 v186, s21, v188
	s_waitcnt lgkmcnt(0)
	v_ashrrev_i32_e32 v191, s17, v191
	v_lshlrev_b32_e32 v191, 2, v191
	v_and_b32_e32 v188, 0x3030303, v186
	v_bfe_u32 v186, v186, 24, 2
	v_and_b32_e32 v191, 0x4040404, v191
	v_sub_u16_e32 v193, v188, v191
	v_sub_u16_sdwa v195, v188, v191 dst_sel:BYTE_1 dst_unused:UNUSED_PAD src0_sel:BYTE_1 src1_sel:BYTE_1
	v_sub_u16_sdwa v186, v186, v191 dst_sel:BYTE_1 dst_unused:UNUSED_PAD src0_sel:DWORD src1_sel:BYTE_3
	v_sub_u16_sdwa v188, v188, v191 dst_sel:DWORD dst_unused:UNUSED_PAD src0_sel:WORD_1 src1_sel:WORD_1
	v_or_b32_sdwa v193, v193, v195 dst_sel:DWORD dst_unused:UNUSED_PAD src0_sel:BYTE_0 src1_sel:DWORD
	v_or_b32_sdwa v186, v188, v186 dst_sel:WORD_1 dst_unused:UNUSED_PAD src0_sel:BYTE_0 src1_sel:DWORD
	v_ashrrev_i32_e32 v191, s17, v192
	v_or_b32_sdwa v188, v193, v186 dst_sel:DWORD dst_unused:UNUSED_PAD src0_sel:WORD_0 src1_sel:DWORD
	v_ashrrev_i32_e32 v186, s21, v189
	v_lshlrev_b32_e32 v191, 2, v191
	v_and_b32_e32 v189, 0x3030303, v186
	v_bfe_u32 v186, v186, 24, 2
	v_and_b32_e32 v191, 0x4040404, v191
	v_sub_u16_e32 v192, v189, v191
	v_sub_u16_sdwa v193, v189, v191 dst_sel:BYTE_1 dst_unused:UNUSED_PAD src0_sel:BYTE_1 src1_sel:BYTE_1
	v_sub_u16_sdwa v186, v186, v191 dst_sel:BYTE_1 dst_unused:UNUSED_PAD src0_sel:DWORD src1_sel:BYTE_3
	v_sub_u16_sdwa v189, v189, v191 dst_sel:DWORD dst_unused:UNUSED_PAD src0_sel:WORD_1 src1_sel:WORD_1
	v_or_b32_sdwa v192, v192, v193 dst_sel:DWORD dst_unused:UNUSED_PAD src0_sel:BYTE_0 src1_sel:DWORD
	v_or_b32_sdwa v186, v189, v186 dst_sel:WORD_1 dst_unused:UNUSED_PAD src0_sel:BYTE_0 src1_sel:DWORD
	v_or_b32_sdwa v191, v192, v186 dst_sel:DWORD dst_unused:UNUSED_PAD src0_sel:WORD_0 src1_sel:DWORD
	v_add_u32_e32 v186, 0x2110, v205
	ds_read2_b32 v[192:193], v186 offset1:1
	ds_read2_b32 v[195:196], v199 offset0:4 offset1:5
	s_waitcnt lgkmcnt(1)
	v_ashrrev_i32_e32 v186, s21, v192
	s_waitcnt lgkmcnt(0)
	v_ashrrev_i32_e32 v192, s17, v195
	v_lshlrev_b32_e32 v192, 2, v192
	v_and_b32_e32 v189, 0x3030303, v186
	v_bfe_u32 v186, v186, 24, 2
	v_and_b32_e32 v192, 0x4040404, v192
	v_sub_u16_e32 v195, v189, v192
	v_sub_u16_sdwa v198, v189, v192 dst_sel:BYTE_1 dst_unused:UNUSED_PAD src0_sel:BYTE_1 src1_sel:BYTE_1
	v_sub_u16_sdwa v186, v186, v192 dst_sel:BYTE_1 dst_unused:UNUSED_PAD src0_sel:DWORD src1_sel:BYTE_3
	v_sub_u16_sdwa v189, v189, v192 dst_sel:DWORD dst_unused:UNUSED_PAD src0_sel:WORD_1 src1_sel:WORD_1
	v_or_b32_sdwa v195, v195, v198 dst_sel:DWORD dst_unused:UNUSED_PAD src0_sel:BYTE_0 src1_sel:DWORD
	v_or_b32_sdwa v186, v189, v186 dst_sel:WORD_1 dst_unused:UNUSED_PAD src0_sel:BYTE_0 src1_sel:DWORD
	v_ashrrev_i32_e32 v192, s17, v196
	v_or_b32_sdwa v195, v195, v186 dst_sel:DWORD dst_unused:UNUSED_PAD src0_sel:WORD_0 src1_sel:DWORD
	v_ashrrev_i32_e32 v186, s21, v193
	v_lshlrev_b32_e32 v192, 2, v192
	v_and_b32_e32 v189, 0x3030303, v186
	v_bfe_u32 v186, v186, 24, 2
	v_and_b32_e32 v192, 0x4040404, v192
	v_sub_u16_e32 v193, v189, v192
	v_sub_u16_sdwa v196, v189, v192 dst_sel:BYTE_1 dst_unused:UNUSED_PAD src0_sel:BYTE_1 src1_sel:BYTE_1
	v_sub_u16_sdwa v186, v186, v192 dst_sel:BYTE_1 dst_unused:UNUSED_PAD src0_sel:DWORD src1_sel:BYTE_3
	v_sub_u16_sdwa v189, v189, v192 dst_sel:DWORD dst_unused:UNUSED_PAD src0_sel:WORD_1 src1_sel:WORD_1
	v_or_b32_sdwa v193, v193, v196 dst_sel:DWORD dst_unused:UNUSED_PAD src0_sel:BYTE_0 src1_sel:DWORD
	v_or_b32_sdwa v186, v189, v186 dst_sel:WORD_1 dst_unused:UNUSED_PAD src0_sel:BYTE_0 src1_sel:DWORD
	v_or_b32_sdwa v198, v193, v186 dst_sel:DWORD dst_unused:UNUSED_PAD src0_sel:WORD_0 src1_sel:DWORD
	v_add_u32_e32 v186, 0x2118, v205
	ds_read2_b32 v[192:193], v186 offset1:1
	s_waitcnt lgkmcnt(0)
	v_ashrrev_i32_e32 v186, s21, v192
	v_ashrrev_i32_e32 v192, s17, v200
	v_lshlrev_b32_e32 v192, 2, v192
	v_and_b32_e32 v189, 0x3030303, v186
	v_bfe_u32 v186, v186, 24, 2
	v_and_b32_e32 v192, 0x4040404, v192
	v_sub_u16_e32 v196, v189, v192
	v_sub_u16_sdwa v199, v189, v192 dst_sel:BYTE_1 dst_unused:UNUSED_PAD src0_sel:BYTE_1 src1_sel:BYTE_1
	v_sub_u16_sdwa v186, v186, v192 dst_sel:BYTE_1 dst_unused:UNUSED_PAD src0_sel:DWORD src1_sel:BYTE_3
	v_sub_u16_sdwa v189, v189, v192 dst_sel:DWORD dst_unused:UNUSED_PAD src0_sel:WORD_1 src1_sel:WORD_1
	v_or_b32_sdwa v196, v196, v199 dst_sel:DWORD dst_unused:UNUSED_PAD src0_sel:BYTE_0 src1_sel:DWORD
	v_or_b32_sdwa v186, v189, v186 dst_sel:WORD_1 dst_unused:UNUSED_PAD src0_sel:BYTE_0 src1_sel:DWORD
	v_ashrrev_i32_e32 v192, s17, v201
	v_or_b32_sdwa v200, v196, v186 dst_sel:DWORD dst_unused:UNUSED_PAD src0_sel:WORD_0 src1_sel:DWORD
	v_ashrrev_i32_e32 v186, s21, v193
	v_lshlrev_b32_e32 v192, 2, v192
	v_and_b32_e32 v189, 0x3030303, v186
	v_bfe_u32 v186, v186, 24, 2
	v_and_b32_e32 v192, 0x4040404, v192
	v_sub_u16_e32 v193, v189, v192
	v_sub_u16_sdwa v196, v189, v192 dst_sel:BYTE_1 dst_unused:UNUSED_PAD src0_sel:BYTE_1 src1_sel:BYTE_1
	v_sub_u16_sdwa v186, v186, v192 dst_sel:BYTE_1 dst_unused:UNUSED_PAD src0_sel:DWORD src1_sel:BYTE_3
	v_sub_u16_sdwa v189, v189, v192 dst_sel:DWORD dst_unused:UNUSED_PAD src0_sel:WORD_1 src1_sel:WORD_1
	v_or_b32_sdwa v186, v189, v186 dst_sel:WORD_1 dst_unused:UNUSED_PAD src0_sel:BYTE_0 src1_sel:DWORD
	v_dot4_i32_i8 v189, v183, v38, 0
	v_dot4_i32_i8 v189, v185, v39, v189
	;; [unrolled: 1-line block ×5, first 2 shown]
	v_or_b32_sdwa v193, v193, v196 dst_sel:DWORD dst_unused:UNUSED_PAD src0_sel:BYTE_0 src1_sel:DWORD
	v_dot4_i32_i8 v189, v198, v35, v189
	v_or_b32_sdwa v202, v193, v186 dst_sel:DWORD dst_unused:UNUSED_PAD src0_sel:WORD_0 src1_sel:DWORD
	v_dot4_i32_i8 v189, v200, v36, v189
	v_add3_u32 v186, s23, v168, v128
	v_dot4_i32_i8 v215, v202, v37, v189
	v_add_u32_e32 v189, 0x3180, v205
	ds_read_b32 v186, v186
	ds_read2_b32 v[192:193], v189 offset1:1
	v_ashrrev_i32_e32 v196, s17, v203
	v_lshlrev_b32_e32 v196, 2, v196
	v_and_b32_e32 v196, 0x4040404, v196
	s_waitcnt lgkmcnt(0)
	v_ashrrev_i32_e32 v189, s21, v192
	v_and_b32_e32 v192, 0x3030303, v189
	v_bfe_u32 v189, v189, 24, 2
	v_sub_u16_e32 v199, v192, v196
	v_sub_u16_sdwa v201, v192, v196 dst_sel:BYTE_1 dst_unused:UNUSED_PAD src0_sel:BYTE_1 src1_sel:BYTE_1
	v_sub_u16_sdwa v189, v189, v196 dst_sel:BYTE_1 dst_unused:UNUSED_PAD src0_sel:DWORD src1_sel:BYTE_3
	v_sub_u16_sdwa v192, v192, v196 dst_sel:DWORD dst_unused:UNUSED_PAD src0_sel:WORD_1 src1_sel:WORD_1
	v_ashrrev_i32_e32 v196, s17, v204
	v_or_b32_sdwa v189, v192, v189 dst_sel:WORD_1 dst_unused:UNUSED_PAD src0_sel:BYTE_0 src1_sel:DWORD
	v_ashrrev_i32_e32 v192, s21, v193
	v_lshlrev_b32_e32 v196, 2, v196
	v_or_b32_sdwa v199, v199, v201 dst_sel:DWORD dst_unused:UNUSED_PAD src0_sel:BYTE_0 src1_sel:DWORD
	v_and_b32_e32 v193, 0x3030303, v192
	v_bfe_u32 v192, v192, 24, 2
	v_and_b32_e32 v196, 0x4040404, v196
	v_or_b32_sdwa v189, v199, v189 dst_sel:DWORD dst_unused:UNUSED_PAD src0_sel:WORD_0 src1_sel:DWORD
	v_sub_u16_e32 v199, v193, v196
	v_sub_u16_sdwa v201, v193, v196 dst_sel:BYTE_1 dst_unused:UNUSED_PAD src0_sel:BYTE_1 src1_sel:BYTE_1
	v_sub_u16_sdwa v192, v192, v196 dst_sel:BYTE_1 dst_unused:UNUSED_PAD src0_sel:DWORD src1_sel:BYTE_3
	v_sub_u16_sdwa v193, v193, v196 dst_sel:DWORD dst_unused:UNUSED_PAD src0_sel:WORD_1 src1_sel:WORD_1
	v_or_b32_sdwa v192, v193, v192 dst_sel:WORD_1 dst_unused:UNUSED_PAD src0_sel:BYTE_0 src1_sel:DWORD
	v_add_u32_e32 v193, 0x3188, v205
	ds_read2_b32 v[203:204], v193 offset1:1
	v_or_b32_sdwa v199, v199, v201 dst_sel:DWORD dst_unused:UNUSED_PAD src0_sel:BYTE_0 src1_sel:DWORD
	v_or_b32_sdwa v192, v199, v192 dst_sel:DWORD dst_unused:UNUSED_PAD src0_sel:WORD_0 src1_sel:DWORD
	v_ashrrev_i32_e32 v199, s17, v216
	v_lshlrev_b32_e32 v199, 2, v199
	s_waitcnt lgkmcnt(0)
	v_ashrrev_i32_e32 v193, s21, v203
	v_and_b32_e32 v196, 0x3030303, v193
	v_bfe_u32 v193, v193, 24, 2
	v_and_b32_e32 v199, 0x4040404, v199
	v_sub_u16_e32 v201, v196, v199
	v_sub_u16_sdwa v203, v196, v199 dst_sel:BYTE_1 dst_unused:UNUSED_PAD src0_sel:BYTE_1 src1_sel:BYTE_1
	v_sub_u16_sdwa v193, v193, v199 dst_sel:BYTE_1 dst_unused:UNUSED_PAD src0_sel:DWORD src1_sel:BYTE_3
	v_sub_u16_sdwa v196, v196, v199 dst_sel:DWORD dst_unused:UNUSED_PAD src0_sel:WORD_1 src1_sel:WORD_1
	v_or_b32_sdwa v201, v201, v203 dst_sel:DWORD dst_unused:UNUSED_PAD src0_sel:BYTE_0 src1_sel:DWORD
	v_or_b32_sdwa v193, v196, v193 dst_sel:WORD_1 dst_unused:UNUSED_PAD src0_sel:BYTE_0 src1_sel:DWORD
	v_or_b32_sdwa v196, v201, v193 dst_sel:DWORD dst_unused:UNUSED_PAD src0_sel:WORD_0 src1_sel:DWORD
	v_ashrrev_i32_e32 v201, s17, v217
	v_ashrrev_i32_e32 v193, s21, v204
	v_lshlrev_b32_e32 v201, 2, v201
	v_and_b32_e32 v199, 0x3030303, v193
	v_bfe_u32 v193, v193, 24, 2
	v_and_b32_e32 v201, 0x4040404, v201
	v_sub_u16_e32 v203, v199, v201
	v_sub_u16_sdwa v204, v199, v201 dst_sel:BYTE_1 dst_unused:UNUSED_PAD src0_sel:BYTE_1 src1_sel:BYTE_1
	v_sub_u16_sdwa v193, v193, v201 dst_sel:BYTE_1 dst_unused:UNUSED_PAD src0_sel:DWORD src1_sel:BYTE_3
	v_sub_u16_sdwa v199, v199, v201 dst_sel:DWORD dst_unused:UNUSED_PAD src0_sel:WORD_1 src1_sel:WORD_1
	v_or_b32_sdwa v203, v203, v204 dst_sel:DWORD dst_unused:UNUSED_PAD src0_sel:BYTE_0 src1_sel:DWORD
	v_or_b32_sdwa v193, v199, v193 dst_sel:WORD_1 dst_unused:UNUSED_PAD src0_sel:BYTE_0 src1_sel:DWORD
	v_or_b32_sdwa v199, v203, v193 dst_sel:DWORD dst_unused:UNUSED_PAD src0_sel:WORD_0 src1_sel:DWORD
	v_add_u32_e32 v193, 0x3190, v205
	ds_read2_b32 v[203:204], v193 offset1:1
	ds_read2_b32 v[216:217], v218 offset0:4 offset1:5
	v_dot4_i32_i8 v38, v189, v38, 0
	v_dot4_i32_i8 v38, v192, v39, v38
	;; [unrolled: 1-line block ×3, first 2 shown]
	s_waitcnt lgkmcnt(1)
	v_ashrrev_i32_e32 v193, s21, v203
	s_waitcnt lgkmcnt(0)
	v_ashrrev_i32_e32 v203, s17, v216
	v_lshlrev_b32_e32 v203, 2, v203
	v_and_b32_e32 v201, 0x3030303, v193
	v_bfe_u32 v193, v193, 24, 2
	v_and_b32_e32 v203, 0x4040404, v203
	v_sub_u16_e32 v216, v201, v203
	v_sub_u16_sdwa v219, v201, v203 dst_sel:BYTE_1 dst_unused:UNUSED_PAD src0_sel:BYTE_1 src1_sel:BYTE_1
	v_sub_u16_sdwa v193, v193, v203 dst_sel:BYTE_1 dst_unused:UNUSED_PAD src0_sel:DWORD src1_sel:BYTE_3
	v_sub_u16_sdwa v201, v201, v203 dst_sel:DWORD dst_unused:UNUSED_PAD src0_sel:WORD_1 src1_sel:WORD_1
	v_or_b32_sdwa v216, v216, v219 dst_sel:DWORD dst_unused:UNUSED_PAD src0_sel:BYTE_0 src1_sel:DWORD
	v_or_b32_sdwa v193, v201, v193 dst_sel:WORD_1 dst_unused:UNUSED_PAD src0_sel:BYTE_0 src1_sel:DWORD
	v_or_b32_sdwa v201, v216, v193 dst_sel:DWORD dst_unused:UNUSED_PAD src0_sel:WORD_0 src1_sel:DWORD
	v_ashrrev_i32_e32 v193, s21, v204
	v_ashrrev_i32_e32 v204, s17, v217
	v_lshlrev_b32_e32 v204, 2, v204
	v_and_b32_e32 v203, 0x3030303, v193
	v_bfe_u32 v193, v193, 24, 2
	v_and_b32_e32 v204, 0x4040404, v204
	v_sub_u16_e32 v216, v203, v204
	v_sub_u16_sdwa v217, v203, v204 dst_sel:BYTE_1 dst_unused:UNUSED_PAD src0_sel:BYTE_1 src1_sel:BYTE_1
	v_sub_u16_sdwa v193, v193, v204 dst_sel:BYTE_1 dst_unused:UNUSED_PAD src0_sel:DWORD src1_sel:BYTE_3
	v_sub_u16_sdwa v203, v203, v204 dst_sel:DWORD dst_unused:UNUSED_PAD src0_sel:WORD_1 src1_sel:WORD_1
	v_or_b32_sdwa v216, v216, v217 dst_sel:DWORD dst_unused:UNUSED_PAD src0_sel:BYTE_0 src1_sel:DWORD
	v_or_b32_sdwa v193, v203, v193 dst_sel:WORD_1 dst_unused:UNUSED_PAD src0_sel:BYTE_0 src1_sel:DWORD
	v_or_b32_sdwa v203, v216, v193 dst_sel:DWORD dst_unused:UNUSED_PAD src0_sel:WORD_0 src1_sel:DWORD
	v_add_u32_e32 v193, 0x3198, v205
	ds_read2_b32 v[204:205], v193 offset1:1
	ds_read2_b32 v[216:217], v218 offset0:6 offset1:7
	v_dot4_i32_i8 v34, v201, v34, 0
	v_dot4_i32_i8 v34, v203, v35, v34
	;; [unrolled: 1-line block ×3, first 2 shown]
	s_waitcnt lgkmcnt(1)
	v_ashrrev_i32_e32 v193, s21, v204
	s_waitcnt lgkmcnt(0)
	v_ashrrev_i32_e32 v216, s17, v216
	v_lshlrev_b32_e32 v216, 2, v216
	v_and_b32_e32 v204, 0x3030303, v193
	v_bfe_u32 v193, v193, 24, 2
	v_and_b32_e32 v216, 0x4040404, v216
	v_sub_u16_e32 v218, v204, v216
	v_sub_u16_sdwa v219, v204, v216 dst_sel:BYTE_1 dst_unused:UNUSED_PAD src0_sel:BYTE_1 src1_sel:BYTE_1
	v_sub_u16_sdwa v193, v193, v216 dst_sel:BYTE_1 dst_unused:UNUSED_PAD src0_sel:DWORD src1_sel:BYTE_3
	v_sub_u16_sdwa v204, v204, v216 dst_sel:DWORD dst_unused:UNUSED_PAD src0_sel:WORD_1 src1_sel:WORD_1
	v_or_b32_sdwa v218, v218, v219 dst_sel:DWORD dst_unused:UNUSED_PAD src0_sel:BYTE_0 src1_sel:DWORD
	v_or_b32_sdwa v193, v204, v193 dst_sel:WORD_1 dst_unused:UNUSED_PAD src0_sel:BYTE_0 src1_sel:DWORD
	v_ashrrev_i32_e32 v216, s17, v217
	v_or_b32_sdwa v204, v218, v193 dst_sel:DWORD dst_unused:UNUSED_PAD src0_sel:WORD_0 src1_sel:DWORD
	v_ashrrev_i32_e32 v193, s21, v205
	v_lshlrev_b32_e32 v216, 2, v216
	v_and_b32_e32 v205, 0x3030303, v193
	v_bfe_u32 v193, v193, 24, 2
	v_and_b32_e32 v216, 0x4040404, v216
	v_sub_u16_e32 v217, v205, v216
	v_sub_u16_sdwa v218, v205, v216 dst_sel:BYTE_1 dst_unused:UNUSED_PAD src0_sel:BYTE_1 src1_sel:BYTE_1
	v_sub_u16_sdwa v193, v193, v216 dst_sel:BYTE_1 dst_unused:UNUSED_PAD src0_sel:DWORD src1_sel:BYTE_3
	v_sub_u16_sdwa v205, v205, v216 dst_sel:DWORD dst_unused:UNUSED_PAD src0_sel:WORD_1 src1_sel:WORD_1
	v_or_b32_sdwa v217, v217, v218 dst_sel:DWORD dst_unused:UNUSED_PAD src0_sel:BYTE_0 src1_sel:DWORD
	v_or_b32_sdwa v193, v205, v193 dst_sel:WORD_1 dst_unused:UNUSED_PAD src0_sel:BYTE_0 src1_sel:DWORD
	v_or_b32_sdwa v205, v217, v193 dst_sel:DWORD dst_unused:UNUSED_PAD src0_sel:WORD_0 src1_sel:DWORD
	v_add3_u32 v193, s23, v170, v130
	ds_read_b32 v193, v193
	ds_read_b128 v[217:220], v176 offset:1024
	ds_read_b128 v[221:224], v176 offset:1040
	v_dot4_i32_i8 v34, v204, v36, v34
	v_dot4_i32_i8 v34, v205, v37, v34
	v_add_u32_e32 v216, s20, v140
	s_waitcnt lgkmcnt(1)
	v_dot4_i32_i8 v35, v65, v217, 0
	v_dot4_i32_i8 v35, v66, v218, v35
	;; [unrolled: 1-line block ×4, first 2 shown]
	s_waitcnt lgkmcnt(0)
	v_dot4_i32_i8 v35, v69, v221, 0
	v_dot4_i32_i8 v35, v206, v222, v35
	;; [unrolled: 1-line block ×28, first 2 shown]
	ds_read2_b32 v[35:36], v177 offset0:64 offset1:96
	ds_read_b128 v[217:220], v176 offset:2048
	ds_read_b128 v[221:224], v176 offset:2064
	s_add_i32 s17, s17, 1
	s_cmp_lt_u32 s19, 14
	s_waitcnt lgkmcnt(1)
	v_dot4_i32_i8 v39, v65, v217, 0
	v_dot4_i32_i8 v39, v66, v218, v39
	;; [unrolled: 1-line block ×4, first 2 shown]
	s_waitcnt lgkmcnt(0)
	v_dot4_i32_i8 v39, v69, v221, 0
	v_dot4_i32_i8 v39, v206, v222, v39
	;; [unrolled: 1-line block ×28, first 2 shown]
	ds_read_b128 v[219:222], v176 offset:3072
	ds_read_b128 v[223:226], v176 offset:3088
	s_waitcnt lgkmcnt(1)
	v_dot4_i32_i8 v39, v65, v219, 0
	v_dot4_i32_i8 v39, v66, v220, v39
	;; [unrolled: 1-line block ×4, first 2 shown]
	s_waitcnt lgkmcnt(0)
	v_dot4_i32_i8 v39, v69, v223, 0
	v_dot4_i32_i8 v39, v206, v224, v39
	;; [unrolled: 1-line block ×4, first 2 shown]
	ds_read_u16 v39, v64 offset:33538
	s_waitcnt lgkmcnt(0)
	v_lshrrev_b16_e32 v64, 8, v39
	v_bfe_i32 v229, v64, 0, 8
	v_bfe_i32 v230, v39, 0, 8
	v_mul_lo_u32 v37, v37, v230
	v_mul_lo_u32 v41, v41, v229
	;; [unrolled: 1-line block ×4, first 2 shown]
	v_mad_u64_u32 v[217:218], s[20:21], v228, v230, v[41:42]
	v_mad_u64_u32 v[227:228], s[20:21], v227, v229, v[37:38]
                                        ; kill: def $vgpr41 killed $sgpr0 killed $exec
	v_mul_f32_e32 v37, v178, v62
	v_mad_u64_u32 v[40:41], s[20:21], v243, v229, v[40:41]
	v_cvt_f32_i32_e32 v209, v227
	v_mul_f32_e32 v41, v178, v36
	v_mad_u64_u32 v[63:64], s[20:21], v63, v230, v[39:40]
	v_cvt_f32_i32_e32 v40, v40
	v_fmac_f32_e32 v18, v37, v209
	v_dot4_i32_i8 v37, v179, v219, 0
	v_dot4_i32_i8 v37, v180, v220, v37
	;; [unrolled: 1-line block ×3, first 2 shown]
	v_fma_f32 v20, v41, v40, v20
	v_dot4_i32_i8 v40, v184, v222, v37
	v_dot4_i32_i8 v37, v187, v223, 0
	v_dot4_i32_i8 v37, v190, v224, v37
	v_dot4_i32_i8 v37, v194, v225, v37
	v_dot4_i32_i8 v209, v197, v226, v37
	ds_read_u16 v37, v211 offset:34562
	v_cvt_f32_i32_e32 v63, v63
	v_cvt_f32_i32_e32 v217, v217
	v_mul_f32_e32 v39, v178, v61
	v_mul_f32_e32 v64, v178, v35
	v_fma_f32 v19, v39, v63, v19
	s_waitcnt lgkmcnt(0)
	v_lshrrev_b16_e32 v39, 8, v37
	v_fma_f32 v21, v64, v217, v21
	v_bfe_i32 v217, v39, 0, 8
	v_bfe_i32 v218, v37, 0, 8
	v_mul_lo_u32 v41, v238, v217
	v_mul_lo_u32 v40, v40, v218
	;; [unrolled: 1-line block ×4, first 2 shown]
	v_mad_u64_u32 v[63:64], s[20:21], v237, v218, v[41:42]
                                        ; kill: def $vgpr41 killed $sgpr0 killed $exec
	v_mul_f32_e32 v64, v181, v35
	v_mad_u64_u32 v[40:41], s[20:21], v209, v217, v[40:41]
	v_mul_f32_e32 v41, v181, v36
	v_cvt_f32_i32_e32 v63, v63
	v_mad_u64_u32 v[209:210], s[20:21], v210, v218, v[39:40]
	v_mad_u64_u32 v[210:211], s[20:21], v232, v217, v[37:38]
	v_mul_f32_e32 v37, v181, v62
	v_cvt_f32_i32_e32 v40, v40
	v_cvt_f32_i32_e32 v210, v210
	;; [unrolled: 1-line block ×3, first 2 shown]
	v_mul_f32_e32 v39, v181, v61
	v_fma_f32 v32, v41, v40, v32
	v_fmac_f32_e32 v30, v37, v210
	v_dot4_i32_i8 v37, v183, v219, 0
	v_dot4_i32_i8 v37, v185, v220, v37
	;; [unrolled: 1-line block ×7, first 2 shown]
	v_fma_f32 v31, v39, v209, v31
	v_dot4_i32_i8 v209, v202, v226, v37
	ds_read_u16 v37, v214 offset:35586
	v_fma_f32 v33, v64, v63, v33
	s_waitcnt lgkmcnt(0)
	v_lshrrev_b16_e32 v39, 8, v37
	v_bfe_i32 v211, v39, 0, 8
	v_bfe_i32 v212, v37, 0, 8
	v_mul_lo_u32 v41, v240, v211
	v_mul_lo_u32 v40, v40, v212
	;; [unrolled: 1-line block ×4, first 2 shown]
	v_mad_u64_u32 v[63:64], s[20:21], v239, v212, v[41:42]
                                        ; kill: def $vgpr41 killed $sgpr0 killed $exec
	v_mul_f32_e32 v64, v186, v35
	v_mad_u64_u32 v[40:41], s[20:21], v209, v211, v[40:41]
	v_cvt_f32_i32_e32 v63, v63
	v_mul_f32_e32 v41, v186, v36
	v_mad_u64_u32 v[209:210], s[20:21], v213, v212, v[39:40]
	v_mad_u64_u32 v[213:214], s[20:21], v234, v211, v[37:38]
	v_mul_f32_e32 v37, v186, v62
	v_cvt_f32_i32_e32 v209, v209
	v_cvt_f32_i32_e32 v210, v213
	v_mul_f32_e32 v39, v186, v61
	v_fma_f32 v29, v64, v63, v29
	v_fma_f32 v27, v39, v209, v27
	v_fmac_f32_e32 v26, v37, v210
	v_dot4_i32_i8 v37, v189, v219, 0
	v_dot4_i32_i8 v37, v192, v220, v37
	;; [unrolled: 1-line block ×8, first 2 shown]
	ds_read_u16 v37, v216 offset:36610
	v_cvt_f32_i32_e32 v40, v40
	v_mul_f32_e32 v36, v193, v36
	v_fma_f32 v28, v41, v40, v28
	s_waitcnt lgkmcnt(0)
	v_lshrrev_b16_e32 v40, 8, v37
	v_bfe_i32 v209, v40, 0, 8
	v_mul_lo_u32 v40, v242, v209
	v_bfe_i32 v210, v37, 0, 8
                                        ; kill: def $vgpr41 killed $sgpr0 killed $exec
	v_mul_lo_u32 v34, v34, v209
	v_mul_lo_u32 v39, v39, v210
	v_mad_u64_u32 v[40:41], s[20:21], v241, v210, v[40:41]
	v_mul_lo_u32 v37, v235, v210
	v_mad_u64_u32 v[63:64], s[20:21], v63, v209, v[39:40]
	v_mad_u64_u32 v[38:39], s[20:21], v38, v210, v[34:35]
	v_cvt_f32_i32_e32 v41, v63
	v_cvt_f32_i32_e32 v40, v40
	v_mad_u64_u32 v[213:214], s[20:21], v236, v209, v[37:38]
	v_cvt_f32_i32_e32 v38, v38
	v_mul_f32_e32 v34, v193, v62
	v_cvt_f32_i32_e32 v39, v213
	v_mul_f32_e32 v37, v193, v61
	v_mul_f32_e32 v35, v193, v35
	v_fma_f32 v25, v35, v40, v25
	v_fma_f32 v24, v36, v41, v24
	;; [unrolled: 1-line block ×3, first 2 shown]
	v_fmac_f32_e32 v22, v34, v39
	ds_read2_b32 v[61:62], v177 offset0:128 offset1:160
	ds_read_b128 v[34:37], v176 offset:4096
	ds_read_b128 v[38:41], v176 offset:4112
	s_waitcnt lgkmcnt(1)
	v_dot4_i32_i8 v63, v65, v34, 0
	v_dot4_i32_i8 v63, v66, v35, v63
	;; [unrolled: 1-line block ×4, first 2 shown]
	s_waitcnt lgkmcnt(0)
	v_dot4_i32_i8 v63, v69, v38, 0
	v_dot4_i32_i8 v63, v206, v39, v63
	;; [unrolled: 1-line block ×28, first 2 shown]
	ds_read_b128 v[34:37], v176 offset:5120
	ds_read_b128 v[38:41], v176 offset:5136
	s_waitcnt lgkmcnt(1)
	v_dot4_i32_i8 v63, v65, v34, 0
	v_dot4_i32_i8 v63, v66, v35, v63
	;; [unrolled: 1-line block ×4, first 2 shown]
	s_waitcnt lgkmcnt(0)
	v_dot4_i32_i8 v63, v69, v38, 0
	v_dot4_i32_i8 v63, v206, v39, v63
	;; [unrolled: 1-line block ×28, first 2 shown]
	ds_read2_b32 v[63:64], v177 offset0:192 offset1:224
	ds_read_b128 v[34:37], v176 offset:6144
	ds_read_b128 v[38:41], v176 offset:6160
	v_add_u32_e32 v177, 4, v177
	s_waitcnt lgkmcnt(1)
	v_dot4_i32_i8 v225, v65, v34, 0
	v_dot4_i32_i8 v225, v66, v35, v225
	;; [unrolled: 1-line block ×4, first 2 shown]
	s_waitcnt lgkmcnt(0)
	v_dot4_i32_i8 v225, v69, v38, 0
	v_dot4_i32_i8 v225, v206, v39, v225
	;; [unrolled: 1-line block ×28, first 2 shown]
	ds_read_b128 v[38:41], v176 offset:7168
	ds_read_b128 v[34:37], v176 offset:7184
	v_add_u32_e32 v176, 32, v176
	s_waitcnt lgkmcnt(1)
	v_dot4_i32_i8 v65, v65, v38, 0
	v_dot4_i32_i8 v65, v66, v39, v65
	;; [unrolled: 1-line block ×4, first 2 shown]
	s_waitcnt lgkmcnt(0)
	v_dot4_i32_i8 v66, v69, v34, 0
	v_mul_lo_u32 v67, v65, v230
	v_mul_lo_u32 v65, v240, v229
	v_dot4_i32_i8 v66, v206, v35, v66
	v_mul_lo_u32 v68, v236, v229
	v_dot4_i32_i8 v66, v207, v36, v66
	v_mul_lo_u32 v69, v237, v230
	v_dot4_i32_i8 v206, v208, v37, v66
                                        ; kill: def $vgpr66 killed $sgpr0 killed $exec
	v_mul_f32_e32 v207, v178, v64
	v_mad_u64_u32 v[65:66], s[20:21], v239, v230, v[65:66]
	v_mad_u64_u32 v[66:67], s[20:21], v206, v229, v[67:68]
	v_mad_u64_u32 v[67:68], s[20:21], v235, v230, v[68:69]
	v_mad_u64_u32 v[68:69], s[20:21], v238, v229, v[69:70]
	v_cvt_f32_i32_e32 v65, v65
	v_mul_f32_e32 v69, v178, v62
	v_cvt_f32_i32_e32 v68, v68
	v_mul_f32_e32 v206, v178, v61
	v_mul_f32_e32 v178, v178, v63
	v_cvt_f32_i32_e32 v67, v67
	v_fma_f32 v17, v178, v65, v17
	v_fmac_f32_e32 v14, v69, v68
	v_dot4_i32_i8 v65, v179, v38, 0
	v_mul_lo_u32 v68, v234, v217
	v_cvt_f32_i32_e32 v66, v66
	v_dot4_i32_i8 v65, v180, v39, v65
	v_dot4_i32_i8 v65, v182, v40, v65
	v_fma_f32 v15, v206, v67, v15
	v_dot4_i32_i8 v67, v184, v41, v65
                                        ; kill: def $vgpr69 killed $sgpr0 killed $exec
	v_dot4_i32_i8 v65, v187, v34, 0
	v_mul_lo_u32 v67, v67, v218
	v_mad_u64_u32 v[68:69], s[20:21], v233, v218, v[68:69]
	v_fma_f32 v16, v207, v66, v16
	v_dot4_i32_i8 v65, v190, v35, v65
	v_mul_lo_u32 v66, v224, v217
	v_dot4_i32_i8 v65, v194, v36, v65
	v_dot4_i32_i8 v178, v197, v37, v65
	v_mad_u64_u32 v[178:179], s[20:21], v178, v217, v[67:68]
                                        ; kill: def $vgpr67 killed $sgpr0 killed $exec
	v_mul_lo_u32 v65, v228, v218
	v_mad_u64_u32 v[66:67], s[20:21], v223, v218, v[66:67]
	v_mul_f32_e32 v67, v181, v61
	v_cvt_f32_i32_e32 v178, v178
	v_mad_u64_u32 v[179:180], s[20:21], v227, v217, v[65:66]
	v_mul_f32_e32 v65, v181, v62
	v_cvt_f32_i32_e32 v66, v66
	v_cvt_f32_i32_e32 v179, v179
	;; [unrolled: 1-line block ×3, first 2 shown]
	v_mul_f32_e32 v69, v181, v64
	v_fma_f32 v11, v67, v66, v11
	v_fmac_f32_e32 v10, v65, v179
	v_dot4_i32_i8 v65, v183, v38, 0
	v_dot4_i32_i8 v65, v185, v39, v65
	;; [unrolled: 1-line block ×8, first 2 shown]
	v_mul_f32_e32 v180, v181, v63
	v_dot4_i32_i8 v65, v200, v36, v65
	v_dot4_i32_i8 v38, v189, v38, 0
	;; [unrolled: 1-line block ×3, first 2 shown]
	v_fma_f32 v13, v180, v68, v13
	v_fma_f32 v12, v69, v178, v12
	v_dot4_i32_i8 v178, v202, v37, v65
	v_mul_lo_u32 v68, v232, v211
	v_dot4_i32_i8 v38, v192, v39, v38
	v_dot4_i32_i8 v39, v205, v37, v34
	v_mul_lo_u32 v37, v226, v209
	v_dot4_i32_i8 v38, v196, v40, v38
	v_dot4_i32_i8 v38, v199, v41, v38
                                        ; kill: def $vgpr69 killed $sgpr0 killed $exec
	v_mul_lo_u32 v36, v38, v210
                                        ; kill: def $vgpr38 killed $sgpr0 killed $exec
	v_mul_lo_u32 v67, v67, v212
	v_mad_u64_u32 v[68:69], s[20:21], v231, v212, v[68:69]
	v_mad_u64_u32 v[37:38], s[20:21], v225, v210, v[37:38]
	v_mul_lo_u32 v66, v220, v211
	v_mul_lo_u32 v35, v214, v209
	v_mad_u64_u32 v[178:179], s[20:21], v178, v211, v[67:68]
                                        ; kill: def $vgpr67 killed $sgpr0 killed $exec
	v_mad_u64_u32 v[38:39], s[20:21], v39, v209, v[36:37]
                                        ; kill: def $vgpr36 killed $sgpr0 killed $exec
	v_mul_lo_u32 v65, v222, v212
	v_mad_u64_u32 v[66:67], s[20:21], v219, v212, v[66:67]
	v_mul_lo_u32 v34, v216, v210
	v_mad_u64_u32 v[35:36], s[20:21], v213, v210, v[35:36]
	v_mad_u64_u32 v[179:180], s[20:21], v221, v211, v[65:66]
	;; [unrolled: 1-line block ×3, first 2 shown]
	v_cvt_f32_i32_e32 v179, v179
	v_cvt_f32_i32_e32 v66, v66
	v_cvt_f32_i32_e32 v178, v178
	v_cvt_f32_i32_e32 v68, v68
	v_cvt_f32_i32_e32 v39, v39
	v_cvt_f32_i32_e32 v35, v35
	v_cvt_f32_i32_e32 v38, v38
	v_cvt_f32_i32_e32 v37, v37
	v_mul_f32_e32 v65, v186, v62
	v_mul_f32_e32 v67, v186, v61
	;; [unrolled: 1-line block ×8, first 2 shown]
	v_fma_f32 v9, v180, v68, v9
	v_fma_f32 v8, v69, v178, v8
	;; [unrolled: 1-line block ×3, first 2 shown]
	v_fmac_f32_e32 v6, v65, v179
	v_fma_f32 v5, v41, v37, v5
	v_fma_f32 v4, v40, v38, v4
	;; [unrolled: 1-line block ×3, first 2 shown]
	v_fmac_f32_e32 v2, v34, v39
	s_mov_b32 s20, s19
	s_cbranch_scc1 .LBB170_9
; %bb.10:                               ;   in Loop: Header=BB170_6 Depth=1
	s_or_b32 s17, s7, 1
	s_cmp_ge_i32 s17, s4
	s_barrier
	s_cbranch_scc1 .LBB170_5
; %bb.11:                               ;   in Loop: Header=BB170_6 Depth=1
	v_add_u32_e32 v69, s16, v132
	v_add_u32_e32 v67, 8, v174
	;; [unrolled: 1-line block ×3, first 2 shown]
	v_mad_u64_u32 v[67:68], s[18:19], v67, 36, s[2:3]
	v_mad_i64_i32 v[34:35], s[18:19], v34, 36, v[59:60]
	v_add_u32_e32 v36, v69, v116
	v_mad_i64_i32 v[36:37], s[18:19], v36, 36, v[59:60]
	v_add_u32_e32 v38, v69, v117
	v_add_u32_e32 v40, v69, v118
	v_mad_i64_i32 v[38:39], s[18:19], v38, 36, v[59:60]
	v_mad_i64_i32 v[40:41], s[18:19], v40, 36, v[59:60]
	v_add_u32_e32 v61, v69, v119
	v_add_u32_e32 v63, v69, v120
	v_add_u32_e32 v65, v69, v121
	v_add_u32_e32 v69, v69, v122
	v_mad_i64_i32 v[61:62], s[18:19], v61, 36, v[59:60]
	v_mad_i64_i32 v[63:64], s[18:19], v63, 36, v[59:60]
	;; [unrolled: 1-line block ×4, first 2 shown]
	global_load_dword v67, v[67:68], off
	s_nop 0
	global_load_dword v34, v[34:35], off offset:4
	s_nop 0
	global_load_dword v35, v[36:37], off offset:4
	;; [unrolled: 2-line block ×3, first 2 shown]
	global_load_dword v37, v[40:41], off offset:4
	s_nop 0
	global_load_dword v38, v[61:62], off offset:4
	global_load_dword v39, v[63:64], off offset:4
	;; [unrolled: 1-line block ×4, first 2 shown]
	s_mov_b32 s17, 16
	s_mov_b32 s20, 14
	s_mov_b32 s18, 0
	v_mov_b32_e32 v176, v143
	v_mov_b32_e32 v177, v142
	s_waitcnt vmcnt(8)
	v_cvt_f32_f16_e32 v61, v67
	s_waitcnt vmcnt(7)
	ds_write_b32 v175, v34
	s_waitcnt vmcnt(6)
	ds_write_b32 v158, v35
	;; [unrolled: 2-line block ×8, first 2 shown]
	ds_write_b32 v113, v61
	s_waitcnt lgkmcnt(0)
	s_barrier
.LBB170_12:                             ;   Parent Loop BB170_6 Depth=1
                                        ; =>  This Inner Loop Header: Depth=2
	s_add_i32 s19, s20, 2
	s_lshr_b32 s24, s19, 4
	s_and_b32 s22, s19, 0x3ffffff8
	v_lshl_add_u32 v205, s22, 2, v123
	s_lshl_b32 s22, s24, 5
	s_addk_i32 s22, 0x4200
	v_add3_u32 v180, s22, v171, v124
	ds_read2_b32 v[61:62], v177 offset1:32
	ds_read_b128 v[38:41], v176
	ds_read_b128 v[34:37], v176 offset:16
	ds_read2_b32 v[65:66], v180 offset1:1
	ds_read2_b32 v[63:64], v205 offset1:1
	v_add3_u32 v199, s22, v167, v127
	s_add_i32 s21, s20, -14
	ds_read2_b32 v[200:201], v199 offset0:6 offset1:7
	s_waitcnt lgkmcnt(2)
	v_ashrrev_i32_e32 v65, s18, v65
	s_waitcnt lgkmcnt(1)
	v_ashrrev_i32_e32 v63, s21, v63
	v_lshlrev_b32_e32 v65, 2, v65
	v_and_b32_e32 v67, 0x3030303, v63
	v_bfe_u32 v63, v63, 24, 2
	v_and_b32_e32 v65, 0x4040404, v65
	v_sub_u16_e32 v68, v67, v65
	v_sub_u16_sdwa v69, v67, v65 dst_sel:BYTE_1 dst_unused:UNUSED_PAD src0_sel:BYTE_1 src1_sel:BYTE_1
	v_sub_u16_sdwa v63, v63, v65 dst_sel:BYTE_1 dst_unused:UNUSED_PAD src0_sel:DWORD src1_sel:BYTE_3
	v_sub_u16_sdwa v65, v67, v65 dst_sel:DWORD dst_unused:UNUSED_PAD src0_sel:WORD_1 src1_sel:WORD_1
	v_or_b32_sdwa v68, v68, v69 dst_sel:DWORD dst_unused:UNUSED_PAD src0_sel:BYTE_0 src1_sel:DWORD
	v_or_b32_sdwa v63, v65, v63 dst_sel:WORD_1 dst_unused:UNUSED_PAD src0_sel:BYTE_0 src1_sel:DWORD
	v_ashrrev_i32_e32 v66, s18, v66
	v_or_b32_sdwa v65, v68, v63 dst_sel:DWORD dst_unused:UNUSED_PAD src0_sel:WORD_0 src1_sel:DWORD
	v_ashrrev_i32_e32 v63, s21, v64
	v_lshlrev_b32_e32 v66, 2, v66
	v_and_b32_e32 v64, 0x3030303, v63
	v_bfe_u32 v63, v63, 24, 2
	v_and_b32_e32 v66, 0x4040404, v66
	v_sub_u16_e32 v67, v64, v66
	v_sub_u16_sdwa v68, v64, v66 dst_sel:BYTE_1 dst_unused:UNUSED_PAD src0_sel:BYTE_1 src1_sel:BYTE_1
	v_sub_u16_sdwa v63, v63, v66 dst_sel:BYTE_1 dst_unused:UNUSED_PAD src0_sel:DWORD src1_sel:BYTE_3
	v_sub_u16_sdwa v64, v64, v66 dst_sel:DWORD dst_unused:UNUSED_PAD src0_sel:WORD_1 src1_sel:WORD_1
	v_or_b32_sdwa v67, v67, v68 dst_sel:DWORD dst_unused:UNUSED_PAD src0_sel:BYTE_0 src1_sel:DWORD
	v_or_b32_sdwa v63, v64, v63 dst_sel:WORD_1 dst_unused:UNUSED_PAD src0_sel:BYTE_0 src1_sel:DWORD
	v_or_b32_sdwa v66, v67, v63 dst_sel:DWORD dst_unused:UNUSED_PAD src0_sel:WORD_0 src1_sel:DWORD
	ds_read2_b32 v[63:64], v205 offset0:2 offset1:3
	ds_read2_b32 v[67:68], v180 offset0:2 offset1:3
	s_and_b32 s23, s17, -16
	s_add_i32 s20, s20, s23
	s_lshl_b32 s23, s24, 2
	s_waitcnt lgkmcnt(1)
	v_ashrrev_i32_e32 v63, s21, v63
	s_waitcnt lgkmcnt(0)
	v_ashrrev_i32_e32 v67, s18, v67
	v_lshlrev_b32_e32 v67, 2, v67
	v_and_b32_e32 v69, 0x3030303, v63
	v_bfe_u32 v63, v63, 24, 2
	v_and_b32_e32 v67, 0x4040404, v67
	v_sub_u16_e32 v178, v69, v67
	v_sub_u16_sdwa v179, v69, v67 dst_sel:BYTE_1 dst_unused:UNUSED_PAD src0_sel:BYTE_1 src1_sel:BYTE_1
	v_sub_u16_sdwa v63, v63, v67 dst_sel:BYTE_1 dst_unused:UNUSED_PAD src0_sel:DWORD src1_sel:BYTE_3
	v_sub_u16_sdwa v67, v69, v67 dst_sel:DWORD dst_unused:UNUSED_PAD src0_sel:WORD_1 src1_sel:WORD_1
	v_or_b32_sdwa v178, v178, v179 dst_sel:DWORD dst_unused:UNUSED_PAD src0_sel:BYTE_0 src1_sel:DWORD
	v_or_b32_sdwa v63, v67, v63 dst_sel:WORD_1 dst_unused:UNUSED_PAD src0_sel:BYTE_0 src1_sel:DWORD
	v_ashrrev_i32_e32 v68, s18, v68
	v_or_b32_sdwa v67, v178, v63 dst_sel:DWORD dst_unused:UNUSED_PAD src0_sel:WORD_0 src1_sel:DWORD
	v_ashrrev_i32_e32 v63, s21, v64
	v_lshlrev_b32_e32 v68, 2, v68
	v_and_b32_e32 v64, 0x3030303, v63
	v_bfe_u32 v63, v63, 24, 2
	v_and_b32_e32 v68, 0x4040404, v68
	v_sub_u16_e32 v69, v64, v68
	v_sub_u16_sdwa v178, v64, v68 dst_sel:BYTE_1 dst_unused:UNUSED_PAD src0_sel:BYTE_1 src1_sel:BYTE_1
	v_sub_u16_sdwa v63, v63, v68 dst_sel:BYTE_1 dst_unused:UNUSED_PAD src0_sel:DWORD src1_sel:BYTE_3
	v_sub_u16_sdwa v64, v64, v68 dst_sel:DWORD dst_unused:UNUSED_PAD src0_sel:WORD_1 src1_sel:WORD_1
	v_or_b32_sdwa v69, v69, v178 dst_sel:DWORD dst_unused:UNUSED_PAD src0_sel:BYTE_0 src1_sel:DWORD
	v_or_b32_sdwa v63, v64, v63 dst_sel:WORD_1 dst_unused:UNUSED_PAD src0_sel:BYTE_0 src1_sel:DWORD
	v_or_b32_sdwa v68, v69, v63 dst_sel:DWORD dst_unused:UNUSED_PAD src0_sel:WORD_0 src1_sel:DWORD
	ds_read2_b32 v[63:64], v205 offset0:4 offset1:5
	ds_read2_b32 v[178:179], v180 offset0:4 offset1:5
	s_add_i32 s23, s23, 0x9380
	v_add3_u32 v189, s22, v165, v125
	v_add3_u32 v218, s22, v169, v129
	s_waitcnt lgkmcnt(1)
	v_ashrrev_i32_e32 v63, s21, v63
	s_waitcnt lgkmcnt(0)
	v_ashrrev_i32_e32 v178, s18, v178
	v_lshlrev_b32_e32 v178, 2, v178
	v_and_b32_e32 v69, 0x3030303, v63
	v_bfe_u32 v63, v63, 24, 2
	v_and_b32_e32 v178, 0x4040404, v178
	v_sub_u16_e32 v181, v69, v178
	v_sub_u16_sdwa v182, v69, v178 dst_sel:BYTE_1 dst_unused:UNUSED_PAD src0_sel:BYTE_1 src1_sel:BYTE_1
	v_sub_u16_sdwa v63, v63, v178 dst_sel:BYTE_1 dst_unused:UNUSED_PAD src0_sel:DWORD src1_sel:BYTE_3
	v_sub_u16_sdwa v69, v69, v178 dst_sel:DWORD dst_unused:UNUSED_PAD src0_sel:WORD_1 src1_sel:WORD_1
	v_or_b32_sdwa v181, v181, v182 dst_sel:DWORD dst_unused:UNUSED_PAD src0_sel:BYTE_0 src1_sel:DWORD
	v_or_b32_sdwa v63, v69, v63 dst_sel:WORD_1 dst_unused:UNUSED_PAD src0_sel:BYTE_0 src1_sel:DWORD
	v_ashrrev_i32_e32 v178, s18, v179
	v_or_b32_sdwa v69, v181, v63 dst_sel:DWORD dst_unused:UNUSED_PAD src0_sel:WORD_0 src1_sel:DWORD
	v_ashrrev_i32_e32 v63, s21, v64
	v_lshlrev_b32_e32 v178, 2, v178
	v_and_b32_e32 v64, 0x3030303, v63
	v_bfe_u32 v63, v63, 24, 2
	v_and_b32_e32 v178, 0x4040404, v178
	v_sub_u16_e32 v179, v64, v178
	v_sub_u16_sdwa v181, v64, v178 dst_sel:BYTE_1 dst_unused:UNUSED_PAD src0_sel:BYTE_1 src1_sel:BYTE_1
	v_sub_u16_sdwa v63, v63, v178 dst_sel:BYTE_1 dst_unused:UNUSED_PAD src0_sel:DWORD src1_sel:BYTE_3
	v_sub_u16_sdwa v64, v64, v178 dst_sel:DWORD dst_unused:UNUSED_PAD src0_sel:WORD_1 src1_sel:WORD_1
	v_or_b32_sdwa v179, v179, v181 dst_sel:DWORD dst_unused:UNUSED_PAD src0_sel:BYTE_0 src1_sel:DWORD
	v_or_b32_sdwa v63, v64, v63 dst_sel:WORD_1 dst_unused:UNUSED_PAD src0_sel:BYTE_0 src1_sel:DWORD
	v_or_b32_sdwa v206, v179, v63 dst_sel:DWORD dst_unused:UNUSED_PAD src0_sel:WORD_0 src1_sel:DWORD
	ds_read2_b32 v[63:64], v205 offset0:6 offset1:7
	ds_read2_b32 v[178:179], v180 offset0:6 offset1:7
	;; [unrolled: 1-line block ×3, first 2 shown]
	v_add_u32_e32 v211, s20, v136
	v_add_u32_e32 v214, s20, v138
	s_waitcnt lgkmcnt(2)
	v_ashrrev_i32_e32 v63, s21, v63
	s_waitcnt lgkmcnt(1)
	v_ashrrev_i32_e32 v178, s18, v178
	v_lshlrev_b32_e32 v178, 2, v178
	v_and_b32_e32 v181, 0x3030303, v63
	v_bfe_u32 v63, v63, 24, 2
	v_and_b32_e32 v178, 0x4040404, v178
	v_sub_u16_e32 v180, v181, v178
	v_sub_u16_sdwa v182, v181, v178 dst_sel:BYTE_1 dst_unused:UNUSED_PAD src0_sel:BYTE_1 src1_sel:BYTE_1
	v_sub_u16_sdwa v63, v63, v178 dst_sel:BYTE_1 dst_unused:UNUSED_PAD src0_sel:DWORD src1_sel:BYTE_3
	v_sub_u16_sdwa v178, v181, v178 dst_sel:DWORD dst_unused:UNUSED_PAD src0_sel:WORD_1 src1_sel:WORD_1
	v_or_b32_sdwa v180, v180, v182 dst_sel:DWORD dst_unused:UNUSED_PAD src0_sel:BYTE_0 src1_sel:DWORD
	v_or_b32_sdwa v63, v178, v63 dst_sel:WORD_1 dst_unused:UNUSED_PAD src0_sel:BYTE_0 src1_sel:DWORD
	v_ashrrev_i32_e32 v178, s18, v179
	v_or_b32_sdwa v207, v180, v63 dst_sel:DWORD dst_unused:UNUSED_PAD src0_sel:WORD_0 src1_sel:DWORD
	v_ashrrev_i32_e32 v63, s21, v64
	v_lshlrev_b32_e32 v178, 2, v178
	v_and_b32_e32 v64, 0x3030303, v63
	v_bfe_u32 v63, v63, 24, 2
	v_and_b32_e32 v178, 0x4040404, v178
	v_sub_u16_e32 v179, v64, v178
	v_sub_u16_sdwa v180, v64, v178 dst_sel:BYTE_1 dst_unused:UNUSED_PAD src0_sel:BYTE_1 src1_sel:BYTE_1
	v_sub_u16_sdwa v63, v63, v178 dst_sel:BYTE_1 dst_unused:UNUSED_PAD src0_sel:DWORD src1_sel:BYTE_3
	v_sub_u16_sdwa v64, v64, v178 dst_sel:DWORD dst_unused:UNUSED_PAD src0_sel:WORD_1 src1_sel:WORD_1
	v_or_b32_sdwa v179, v179, v180 dst_sel:DWORD dst_unused:UNUSED_PAD src0_sel:BYTE_0 src1_sel:DWORD
	v_or_b32_sdwa v63, v64, v63 dst_sel:WORD_1 dst_unused:UNUSED_PAD src0_sel:BYTE_0 src1_sel:DWORD
	v_or_b32_sdwa v208, v179, v63 dst_sel:DWORD dst_unused:UNUSED_PAD src0_sel:WORD_0 src1_sel:DWORD
	v_dot4_i32_i8 v179, v69, v34, 0
	v_dot4_i32_i8 v179, v206, v35, v179
	;; [unrolled: 1-line block ×3, first 2 shown]
	v_add3_u32 v63, s23, v172, v173
	v_dot4_i32_i8 v209, v208, v37, v179
	v_add_u32_e32 v179, 0x1080, v205
	ds_read_b32 v178, v63
	ds_read2_b32 v[179:180], v179 offset1:1
	ds_read2_b32 v[181:182], v189 offset1:1
	v_dot4_i32_i8 v63, v65, v38, 0
	v_dot4_i32_i8 v63, v66, v39, v63
	;; [unrolled: 1-line block ×3, first 2 shown]
	s_waitcnt lgkmcnt(1)
	v_ashrrev_i32_e32 v179, s21, v179
	s_waitcnt lgkmcnt(0)
	v_ashrrev_i32_e32 v181, s18, v181
	v_lshlrev_b32_e32 v181, 2, v181
	v_and_b32_e32 v183, 0x3030303, v179
	v_bfe_u32 v179, v179, 24, 2
	v_and_b32_e32 v181, 0x4040404, v181
	v_ashrrev_i32_e32 v182, s18, v182
	v_sub_u16_e32 v184, v183, v181
	v_sub_u16_sdwa v185, v183, v181 dst_sel:BYTE_1 dst_unused:UNUSED_PAD src0_sel:BYTE_1 src1_sel:BYTE_1
	v_sub_u16_sdwa v179, v179, v181 dst_sel:BYTE_1 dst_unused:UNUSED_PAD src0_sel:DWORD src1_sel:BYTE_3
	v_sub_u16_sdwa v181, v183, v181 dst_sel:DWORD dst_unused:UNUSED_PAD src0_sel:WORD_1 src1_sel:WORD_1
	v_ashrrev_i32_e32 v180, s21, v180
	v_lshlrev_b32_e32 v182, 2, v182
	v_or_b32_sdwa v184, v184, v185 dst_sel:DWORD dst_unused:UNUSED_PAD src0_sel:BYTE_0 src1_sel:DWORD
	v_or_b32_sdwa v179, v181, v179 dst_sel:WORD_1 dst_unused:UNUSED_PAD src0_sel:BYTE_0 src1_sel:DWORD
	v_and_b32_e32 v181, 0x3030303, v180
	v_bfe_u32 v180, v180, 24, 2
	v_and_b32_e32 v182, 0x4040404, v182
	v_or_b32_sdwa v179, v184, v179 dst_sel:DWORD dst_unused:UNUSED_PAD src0_sel:WORD_0 src1_sel:DWORD
	v_sub_u16_e32 v183, v181, v182
	v_sub_u16_sdwa v184, v181, v182 dst_sel:BYTE_1 dst_unused:UNUSED_PAD src0_sel:BYTE_1 src1_sel:BYTE_1
	v_sub_u16_sdwa v180, v180, v182 dst_sel:BYTE_1 dst_unused:UNUSED_PAD src0_sel:DWORD src1_sel:BYTE_3
	v_sub_u16_sdwa v181, v181, v182 dst_sel:DWORD dst_unused:UNUSED_PAD src0_sel:WORD_1 src1_sel:WORD_1
	v_or_b32_sdwa v183, v183, v184 dst_sel:DWORD dst_unused:UNUSED_PAD src0_sel:BYTE_0 src1_sel:DWORD
	v_or_b32_sdwa v180, v181, v180 dst_sel:WORD_1 dst_unused:UNUSED_PAD src0_sel:BYTE_0 src1_sel:DWORD
	v_add_u32_e32 v181, 0x1088, v205
	v_or_b32_sdwa v180, v183, v180 dst_sel:DWORD dst_unused:UNUSED_PAD src0_sel:WORD_0 src1_sel:DWORD
	ds_read2_b32 v[182:183], v181 offset1:1
	ds_read2_b32 v[184:185], v189 offset0:2 offset1:3
	ds_read2_b32 v[203:204], v218 offset1:1
	v_dot4_i32_i8 v63, v68, v41, v63
	v_add_u32_e32 v64, s20, v134
	s_waitcnt lgkmcnt(2)
	v_ashrrev_i32_e32 v181, s21, v182
	s_waitcnt lgkmcnt(1)
	v_ashrrev_i32_e32 v184, s18, v184
	v_lshlrev_b32_e32 v184, 2, v184
	v_and_b32_e32 v182, 0x3030303, v181
	v_bfe_u32 v181, v181, 24, 2
	v_and_b32_e32 v184, 0x4040404, v184
	v_sub_u16_e32 v186, v182, v184
	v_sub_u16_sdwa v187, v182, v184 dst_sel:BYTE_1 dst_unused:UNUSED_PAD src0_sel:BYTE_1 src1_sel:BYTE_1
	v_sub_u16_sdwa v181, v181, v184 dst_sel:BYTE_1 dst_unused:UNUSED_PAD src0_sel:DWORD src1_sel:BYTE_3
	v_sub_u16_sdwa v182, v182, v184 dst_sel:DWORD dst_unused:UNUSED_PAD src0_sel:WORD_1 src1_sel:WORD_1
	v_or_b32_sdwa v186, v186, v187 dst_sel:DWORD dst_unused:UNUSED_PAD src0_sel:BYTE_0 src1_sel:DWORD
	v_or_b32_sdwa v181, v182, v181 dst_sel:WORD_1 dst_unused:UNUSED_PAD src0_sel:BYTE_0 src1_sel:DWORD
	v_ashrrev_i32_e32 v184, s18, v185
	v_or_b32_sdwa v182, v186, v181 dst_sel:DWORD dst_unused:UNUSED_PAD src0_sel:WORD_0 src1_sel:DWORD
	v_ashrrev_i32_e32 v181, s21, v183
	v_lshlrev_b32_e32 v184, 2, v184
	v_and_b32_e32 v183, 0x3030303, v181
	v_bfe_u32 v181, v181, 24, 2
	v_and_b32_e32 v184, 0x4040404, v184
	v_sub_u16_e32 v185, v183, v184
	v_sub_u16_sdwa v186, v183, v184 dst_sel:BYTE_1 dst_unused:UNUSED_PAD src0_sel:BYTE_1 src1_sel:BYTE_1
	v_sub_u16_sdwa v181, v181, v184 dst_sel:BYTE_1 dst_unused:UNUSED_PAD src0_sel:DWORD src1_sel:BYTE_3
	v_sub_u16_sdwa v183, v183, v184 dst_sel:DWORD dst_unused:UNUSED_PAD src0_sel:WORD_1 src1_sel:WORD_1
	v_or_b32_sdwa v185, v185, v186 dst_sel:DWORD dst_unused:UNUSED_PAD src0_sel:BYTE_0 src1_sel:DWORD
	v_or_b32_sdwa v181, v183, v181 dst_sel:WORD_1 dst_unused:UNUSED_PAD src0_sel:BYTE_0 src1_sel:DWORD
	v_or_b32_sdwa v184, v185, v181 dst_sel:DWORD dst_unused:UNUSED_PAD src0_sel:WORD_0 src1_sel:DWORD
	v_add_u32_e32 v181, 0x1090, v205
	ds_read2_b32 v[185:186], v181 offset1:1
	ds_read2_b32 v[187:188], v189 offset0:4 offset1:5
	s_add_i32 s17, s17, 2
	s_waitcnt lgkmcnt(1)
	v_ashrrev_i32_e32 v181, s21, v185
	s_waitcnt lgkmcnt(0)
	v_ashrrev_i32_e32 v185, s18, v187
	v_lshlrev_b32_e32 v185, 2, v185
	v_and_b32_e32 v183, 0x3030303, v181
	v_bfe_u32 v181, v181, 24, 2
	v_and_b32_e32 v185, 0x4040404, v185
	v_sub_u16_e32 v187, v183, v185
	v_sub_u16_sdwa v190, v183, v185 dst_sel:BYTE_1 dst_unused:UNUSED_PAD src0_sel:BYTE_1 src1_sel:BYTE_1
	v_sub_u16_sdwa v181, v181, v185 dst_sel:BYTE_1 dst_unused:UNUSED_PAD src0_sel:DWORD src1_sel:BYTE_3
	v_sub_u16_sdwa v183, v183, v185 dst_sel:DWORD dst_unused:UNUSED_PAD src0_sel:WORD_1 src1_sel:WORD_1
	v_or_b32_sdwa v187, v187, v190 dst_sel:DWORD dst_unused:UNUSED_PAD src0_sel:BYTE_0 src1_sel:DWORD
	v_or_b32_sdwa v181, v183, v181 dst_sel:WORD_1 dst_unused:UNUSED_PAD src0_sel:BYTE_0 src1_sel:DWORD
	v_ashrrev_i32_e32 v185, s18, v188
	v_or_b32_sdwa v187, v187, v181 dst_sel:DWORD dst_unused:UNUSED_PAD src0_sel:WORD_0 src1_sel:DWORD
	v_ashrrev_i32_e32 v181, s21, v186
	v_lshlrev_b32_e32 v185, 2, v185
	v_and_b32_e32 v183, 0x3030303, v181
	v_bfe_u32 v181, v181, 24, 2
	v_and_b32_e32 v185, 0x4040404, v185
	v_sub_u16_e32 v186, v183, v185
	v_sub_u16_sdwa v188, v183, v185 dst_sel:BYTE_1 dst_unused:UNUSED_PAD src0_sel:BYTE_1 src1_sel:BYTE_1
	v_sub_u16_sdwa v181, v181, v185 dst_sel:BYTE_1 dst_unused:UNUSED_PAD src0_sel:DWORD src1_sel:BYTE_3
	v_sub_u16_sdwa v183, v183, v185 dst_sel:DWORD dst_unused:UNUSED_PAD src0_sel:WORD_1 src1_sel:WORD_1
	v_or_b32_sdwa v186, v186, v188 dst_sel:DWORD dst_unused:UNUSED_PAD src0_sel:BYTE_0 src1_sel:DWORD
	v_or_b32_sdwa v181, v183, v181 dst_sel:WORD_1 dst_unused:UNUSED_PAD src0_sel:BYTE_0 src1_sel:DWORD
	v_or_b32_sdwa v190, v186, v181 dst_sel:DWORD dst_unused:UNUSED_PAD src0_sel:WORD_0 src1_sel:DWORD
	v_add_u32_e32 v181, 0x1098, v205
	ds_read2_b32 v[185:186], v181 offset1:1
	ds_read2_b32 v[188:189], v189 offset0:6 offset1:7
	s_waitcnt lgkmcnt(1)
	v_ashrrev_i32_e32 v181, s21, v185
	s_waitcnt lgkmcnt(0)
	v_ashrrev_i32_e32 v185, s18, v188
	v_lshlrev_b32_e32 v185, 2, v185
	v_and_b32_e32 v183, 0x3030303, v181
	v_bfe_u32 v181, v181, 24, 2
	v_and_b32_e32 v185, 0x4040404, v185
	v_sub_u16_e32 v188, v183, v185
	v_sub_u16_sdwa v191, v183, v185 dst_sel:BYTE_1 dst_unused:UNUSED_PAD src0_sel:BYTE_1 src1_sel:BYTE_1
	v_sub_u16_sdwa v181, v181, v185 dst_sel:BYTE_1 dst_unused:UNUSED_PAD src0_sel:DWORD src1_sel:BYTE_3
	v_sub_u16_sdwa v183, v183, v185 dst_sel:DWORD dst_unused:UNUSED_PAD src0_sel:WORD_1 src1_sel:WORD_1
	v_or_b32_sdwa v188, v188, v191 dst_sel:DWORD dst_unused:UNUSED_PAD src0_sel:BYTE_0 src1_sel:DWORD
	v_or_b32_sdwa v181, v183, v181 dst_sel:WORD_1 dst_unused:UNUSED_PAD src0_sel:BYTE_0 src1_sel:DWORD
	v_ashrrev_i32_e32 v185, s18, v189
	v_or_b32_sdwa v194, v188, v181 dst_sel:DWORD dst_unused:UNUSED_PAD src0_sel:WORD_0 src1_sel:DWORD
	v_ashrrev_i32_e32 v181, s21, v186
	v_lshlrev_b32_e32 v185, 2, v185
	v_and_b32_e32 v183, 0x3030303, v181
	v_bfe_u32 v181, v181, 24, 2
	v_and_b32_e32 v185, 0x4040404, v185
	v_sub_u16_e32 v186, v183, v185
	v_sub_u16_sdwa v188, v183, v185 dst_sel:BYTE_1 dst_unused:UNUSED_PAD src0_sel:BYTE_1 src1_sel:BYTE_1
	v_sub_u16_sdwa v181, v181, v185 dst_sel:BYTE_1 dst_unused:UNUSED_PAD src0_sel:DWORD src1_sel:BYTE_3
	v_sub_u16_sdwa v183, v183, v185 dst_sel:DWORD dst_unused:UNUSED_PAD src0_sel:WORD_1 src1_sel:WORD_1
	v_or_b32_sdwa v181, v183, v181 dst_sel:WORD_1 dst_unused:UNUSED_PAD src0_sel:BYTE_0 src1_sel:DWORD
	v_dot4_i32_i8 v183, v179, v38, 0
	v_dot4_i32_i8 v183, v180, v39, v183
	;; [unrolled: 1-line block ×5, first 2 shown]
	v_or_b32_sdwa v186, v186, v188 dst_sel:DWORD dst_unused:UNUSED_PAD src0_sel:BYTE_0 src1_sel:DWORD
	v_dot4_i32_i8 v183, v190, v35, v183
	v_or_b32_sdwa v197, v186, v181 dst_sel:DWORD dst_unused:UNUSED_PAD src0_sel:WORD_0 src1_sel:DWORD
	v_dot4_i32_i8 v183, v194, v36, v183
	v_add3_u32 v181, s23, v166, v126
	v_dot4_i32_i8 v212, v197, v37, v183
	v_add_u32_e32 v183, 0x2100, v205
	ds_read_b32 v181, v181
	ds_read2_b32 v[185:186], v183 offset1:1
	ds_read2_b32 v[188:189], v199 offset1:1
	s_waitcnt lgkmcnt(1)
	v_ashrrev_i32_e32 v183, s21, v185
	s_waitcnt lgkmcnt(0)
	v_ashrrev_i32_e32 v188, s18, v188
	v_lshlrev_b32_e32 v188, 2, v188
	v_and_b32_e32 v185, 0x3030303, v183
	v_bfe_u32 v183, v183, 24, 2
	v_and_b32_e32 v188, 0x4040404, v188
	v_sub_u16_e32 v191, v185, v188
	v_sub_u16_sdwa v192, v185, v188 dst_sel:BYTE_1 dst_unused:UNUSED_PAD src0_sel:BYTE_1 src1_sel:BYTE_1
	v_sub_u16_sdwa v183, v183, v188 dst_sel:BYTE_1 dst_unused:UNUSED_PAD src0_sel:DWORD src1_sel:BYTE_3
	v_sub_u16_sdwa v185, v185, v188 dst_sel:DWORD dst_unused:UNUSED_PAD src0_sel:WORD_1 src1_sel:WORD_1
	v_ashrrev_i32_e32 v188, s18, v189
	v_or_b32_sdwa v183, v185, v183 dst_sel:WORD_1 dst_unused:UNUSED_PAD src0_sel:BYTE_0 src1_sel:DWORD
	v_ashrrev_i32_e32 v185, s21, v186
	v_lshlrev_b32_e32 v188, 2, v188
	v_or_b32_sdwa v191, v191, v192 dst_sel:DWORD dst_unused:UNUSED_PAD src0_sel:BYTE_0 src1_sel:DWORD
	v_and_b32_e32 v186, 0x3030303, v185
	v_bfe_u32 v185, v185, 24, 2
	v_and_b32_e32 v188, 0x4040404, v188
	v_or_b32_sdwa v183, v191, v183 dst_sel:DWORD dst_unused:UNUSED_PAD src0_sel:WORD_0 src1_sel:DWORD
	v_sub_u16_e32 v189, v186, v188
	v_sub_u16_sdwa v191, v186, v188 dst_sel:BYTE_1 dst_unused:UNUSED_PAD src0_sel:BYTE_1 src1_sel:BYTE_1
	v_sub_u16_sdwa v185, v185, v188 dst_sel:BYTE_1 dst_unused:UNUSED_PAD src0_sel:DWORD src1_sel:BYTE_3
	v_sub_u16_sdwa v186, v186, v188 dst_sel:DWORD dst_unused:UNUSED_PAD src0_sel:WORD_1 src1_sel:WORD_1
	v_or_b32_sdwa v189, v189, v191 dst_sel:DWORD dst_unused:UNUSED_PAD src0_sel:BYTE_0 src1_sel:DWORD
	v_or_b32_sdwa v185, v186, v185 dst_sel:WORD_1 dst_unused:UNUSED_PAD src0_sel:BYTE_0 src1_sel:DWORD
	v_add_u32_e32 v186, 0x2108, v205
	v_or_b32_sdwa v185, v189, v185 dst_sel:DWORD dst_unused:UNUSED_PAD src0_sel:WORD_0 src1_sel:DWORD
	ds_read2_b32 v[188:189], v186 offset1:1
	ds_read2_b32 v[191:192], v199 offset0:2 offset1:3
	s_waitcnt lgkmcnt(1)
	v_ashrrev_i32_e32 v186, s21, v188
	s_waitcnt lgkmcnt(0)
	v_ashrrev_i32_e32 v191, s18, v191
	v_lshlrev_b32_e32 v191, 2, v191
	v_and_b32_e32 v188, 0x3030303, v186
	v_bfe_u32 v186, v186, 24, 2
	v_and_b32_e32 v191, 0x4040404, v191
	v_sub_u16_e32 v193, v188, v191
	v_sub_u16_sdwa v195, v188, v191 dst_sel:BYTE_1 dst_unused:UNUSED_PAD src0_sel:BYTE_1 src1_sel:BYTE_1
	v_sub_u16_sdwa v186, v186, v191 dst_sel:BYTE_1 dst_unused:UNUSED_PAD src0_sel:DWORD src1_sel:BYTE_3
	v_sub_u16_sdwa v188, v188, v191 dst_sel:DWORD dst_unused:UNUSED_PAD src0_sel:WORD_1 src1_sel:WORD_1
	v_or_b32_sdwa v193, v193, v195 dst_sel:DWORD dst_unused:UNUSED_PAD src0_sel:BYTE_0 src1_sel:DWORD
	v_or_b32_sdwa v186, v188, v186 dst_sel:WORD_1 dst_unused:UNUSED_PAD src0_sel:BYTE_0 src1_sel:DWORD
	v_ashrrev_i32_e32 v191, s18, v192
	v_or_b32_sdwa v188, v193, v186 dst_sel:DWORD dst_unused:UNUSED_PAD src0_sel:WORD_0 src1_sel:DWORD
	v_ashrrev_i32_e32 v186, s21, v189
	v_lshlrev_b32_e32 v191, 2, v191
	v_and_b32_e32 v189, 0x3030303, v186
	v_bfe_u32 v186, v186, 24, 2
	v_and_b32_e32 v191, 0x4040404, v191
	v_sub_u16_e32 v192, v189, v191
	v_sub_u16_sdwa v193, v189, v191 dst_sel:BYTE_1 dst_unused:UNUSED_PAD src0_sel:BYTE_1 src1_sel:BYTE_1
	v_sub_u16_sdwa v186, v186, v191 dst_sel:BYTE_1 dst_unused:UNUSED_PAD src0_sel:DWORD src1_sel:BYTE_3
	v_sub_u16_sdwa v189, v189, v191 dst_sel:DWORD dst_unused:UNUSED_PAD src0_sel:WORD_1 src1_sel:WORD_1
	v_or_b32_sdwa v192, v192, v193 dst_sel:DWORD dst_unused:UNUSED_PAD src0_sel:BYTE_0 src1_sel:DWORD
	v_or_b32_sdwa v186, v189, v186 dst_sel:WORD_1 dst_unused:UNUSED_PAD src0_sel:BYTE_0 src1_sel:DWORD
	v_or_b32_sdwa v191, v192, v186 dst_sel:DWORD dst_unused:UNUSED_PAD src0_sel:WORD_0 src1_sel:DWORD
	v_add_u32_e32 v186, 0x2110, v205
	ds_read2_b32 v[192:193], v186 offset1:1
	ds_read2_b32 v[195:196], v199 offset0:4 offset1:5
	s_waitcnt lgkmcnt(1)
	v_ashrrev_i32_e32 v186, s21, v192
	s_waitcnt lgkmcnt(0)
	v_ashrrev_i32_e32 v192, s18, v195
	v_lshlrev_b32_e32 v192, 2, v192
	v_and_b32_e32 v189, 0x3030303, v186
	v_bfe_u32 v186, v186, 24, 2
	v_and_b32_e32 v192, 0x4040404, v192
	v_sub_u16_e32 v195, v189, v192
	v_sub_u16_sdwa v198, v189, v192 dst_sel:BYTE_1 dst_unused:UNUSED_PAD src0_sel:BYTE_1 src1_sel:BYTE_1
	v_sub_u16_sdwa v186, v186, v192 dst_sel:BYTE_1 dst_unused:UNUSED_PAD src0_sel:DWORD src1_sel:BYTE_3
	v_sub_u16_sdwa v189, v189, v192 dst_sel:DWORD dst_unused:UNUSED_PAD src0_sel:WORD_1 src1_sel:WORD_1
	v_or_b32_sdwa v195, v195, v198 dst_sel:DWORD dst_unused:UNUSED_PAD src0_sel:BYTE_0 src1_sel:DWORD
	v_or_b32_sdwa v186, v189, v186 dst_sel:WORD_1 dst_unused:UNUSED_PAD src0_sel:BYTE_0 src1_sel:DWORD
	v_ashrrev_i32_e32 v192, s18, v196
	v_or_b32_sdwa v195, v195, v186 dst_sel:DWORD dst_unused:UNUSED_PAD src0_sel:WORD_0 src1_sel:DWORD
	v_ashrrev_i32_e32 v186, s21, v193
	v_lshlrev_b32_e32 v192, 2, v192
	v_and_b32_e32 v189, 0x3030303, v186
	v_bfe_u32 v186, v186, 24, 2
	v_and_b32_e32 v192, 0x4040404, v192
	v_sub_u16_e32 v193, v189, v192
	v_sub_u16_sdwa v196, v189, v192 dst_sel:BYTE_1 dst_unused:UNUSED_PAD src0_sel:BYTE_1 src1_sel:BYTE_1
	v_sub_u16_sdwa v186, v186, v192 dst_sel:BYTE_1 dst_unused:UNUSED_PAD src0_sel:DWORD src1_sel:BYTE_3
	v_sub_u16_sdwa v189, v189, v192 dst_sel:DWORD dst_unused:UNUSED_PAD src0_sel:WORD_1 src1_sel:WORD_1
	v_or_b32_sdwa v193, v193, v196 dst_sel:DWORD dst_unused:UNUSED_PAD src0_sel:BYTE_0 src1_sel:DWORD
	v_or_b32_sdwa v186, v189, v186 dst_sel:WORD_1 dst_unused:UNUSED_PAD src0_sel:BYTE_0 src1_sel:DWORD
	v_or_b32_sdwa v198, v193, v186 dst_sel:DWORD dst_unused:UNUSED_PAD src0_sel:WORD_0 src1_sel:DWORD
	v_add_u32_e32 v186, 0x2118, v205
	ds_read2_b32 v[192:193], v186 offset1:1
	s_waitcnt lgkmcnt(0)
	v_ashrrev_i32_e32 v186, s21, v192
	v_ashrrev_i32_e32 v192, s18, v200
	v_lshlrev_b32_e32 v192, 2, v192
	v_and_b32_e32 v189, 0x3030303, v186
	v_bfe_u32 v186, v186, 24, 2
	v_and_b32_e32 v192, 0x4040404, v192
	v_sub_u16_e32 v196, v189, v192
	v_sub_u16_sdwa v199, v189, v192 dst_sel:BYTE_1 dst_unused:UNUSED_PAD src0_sel:BYTE_1 src1_sel:BYTE_1
	v_sub_u16_sdwa v186, v186, v192 dst_sel:BYTE_1 dst_unused:UNUSED_PAD src0_sel:DWORD src1_sel:BYTE_3
	v_sub_u16_sdwa v189, v189, v192 dst_sel:DWORD dst_unused:UNUSED_PAD src0_sel:WORD_1 src1_sel:WORD_1
	v_or_b32_sdwa v196, v196, v199 dst_sel:DWORD dst_unused:UNUSED_PAD src0_sel:BYTE_0 src1_sel:DWORD
	v_or_b32_sdwa v186, v189, v186 dst_sel:WORD_1 dst_unused:UNUSED_PAD src0_sel:BYTE_0 src1_sel:DWORD
	v_ashrrev_i32_e32 v192, s18, v201
	v_or_b32_sdwa v200, v196, v186 dst_sel:DWORD dst_unused:UNUSED_PAD src0_sel:WORD_0 src1_sel:DWORD
	v_ashrrev_i32_e32 v186, s21, v193
	v_lshlrev_b32_e32 v192, 2, v192
	v_and_b32_e32 v189, 0x3030303, v186
	v_bfe_u32 v186, v186, 24, 2
	v_and_b32_e32 v192, 0x4040404, v192
	v_sub_u16_e32 v193, v189, v192
	v_sub_u16_sdwa v196, v189, v192 dst_sel:BYTE_1 dst_unused:UNUSED_PAD src0_sel:BYTE_1 src1_sel:BYTE_1
	v_sub_u16_sdwa v186, v186, v192 dst_sel:BYTE_1 dst_unused:UNUSED_PAD src0_sel:DWORD src1_sel:BYTE_3
	v_sub_u16_sdwa v189, v189, v192 dst_sel:DWORD dst_unused:UNUSED_PAD src0_sel:WORD_1 src1_sel:WORD_1
	v_or_b32_sdwa v186, v189, v186 dst_sel:WORD_1 dst_unused:UNUSED_PAD src0_sel:BYTE_0 src1_sel:DWORD
	v_dot4_i32_i8 v189, v183, v38, 0
	v_dot4_i32_i8 v189, v185, v39, v189
	;; [unrolled: 1-line block ×5, first 2 shown]
	v_or_b32_sdwa v193, v193, v196 dst_sel:DWORD dst_unused:UNUSED_PAD src0_sel:BYTE_0 src1_sel:DWORD
	v_dot4_i32_i8 v189, v198, v35, v189
	v_or_b32_sdwa v202, v193, v186 dst_sel:DWORD dst_unused:UNUSED_PAD src0_sel:WORD_0 src1_sel:DWORD
	v_dot4_i32_i8 v189, v200, v36, v189
	v_add3_u32 v186, s23, v168, v128
	v_dot4_i32_i8 v215, v202, v37, v189
	v_add_u32_e32 v189, 0x3180, v205
	ds_read_b32 v186, v186
	ds_read2_b32 v[192:193], v189 offset1:1
	v_ashrrev_i32_e32 v196, s18, v203
	v_lshlrev_b32_e32 v196, 2, v196
	v_and_b32_e32 v196, 0x4040404, v196
	s_waitcnt lgkmcnt(0)
	v_ashrrev_i32_e32 v189, s21, v192
	v_and_b32_e32 v192, 0x3030303, v189
	v_bfe_u32 v189, v189, 24, 2
	v_sub_u16_e32 v199, v192, v196
	v_sub_u16_sdwa v201, v192, v196 dst_sel:BYTE_1 dst_unused:UNUSED_PAD src0_sel:BYTE_1 src1_sel:BYTE_1
	v_sub_u16_sdwa v189, v189, v196 dst_sel:BYTE_1 dst_unused:UNUSED_PAD src0_sel:DWORD src1_sel:BYTE_3
	v_sub_u16_sdwa v192, v192, v196 dst_sel:DWORD dst_unused:UNUSED_PAD src0_sel:WORD_1 src1_sel:WORD_1
	v_ashrrev_i32_e32 v196, s18, v204
	v_or_b32_sdwa v189, v192, v189 dst_sel:WORD_1 dst_unused:UNUSED_PAD src0_sel:BYTE_0 src1_sel:DWORD
	v_ashrrev_i32_e32 v192, s21, v193
	v_lshlrev_b32_e32 v196, 2, v196
	v_or_b32_sdwa v199, v199, v201 dst_sel:DWORD dst_unused:UNUSED_PAD src0_sel:BYTE_0 src1_sel:DWORD
	v_and_b32_e32 v193, 0x3030303, v192
	v_bfe_u32 v192, v192, 24, 2
	v_and_b32_e32 v196, 0x4040404, v196
	v_or_b32_sdwa v189, v199, v189 dst_sel:DWORD dst_unused:UNUSED_PAD src0_sel:WORD_0 src1_sel:DWORD
	v_sub_u16_e32 v199, v193, v196
	v_sub_u16_sdwa v201, v193, v196 dst_sel:BYTE_1 dst_unused:UNUSED_PAD src0_sel:BYTE_1 src1_sel:BYTE_1
	v_sub_u16_sdwa v192, v192, v196 dst_sel:BYTE_1 dst_unused:UNUSED_PAD src0_sel:DWORD src1_sel:BYTE_3
	v_sub_u16_sdwa v193, v193, v196 dst_sel:DWORD dst_unused:UNUSED_PAD src0_sel:WORD_1 src1_sel:WORD_1
	v_or_b32_sdwa v192, v193, v192 dst_sel:WORD_1 dst_unused:UNUSED_PAD src0_sel:BYTE_0 src1_sel:DWORD
	v_add_u32_e32 v193, 0x3188, v205
	ds_read2_b32 v[203:204], v193 offset1:1
	v_or_b32_sdwa v199, v199, v201 dst_sel:DWORD dst_unused:UNUSED_PAD src0_sel:BYTE_0 src1_sel:DWORD
	v_or_b32_sdwa v192, v199, v192 dst_sel:DWORD dst_unused:UNUSED_PAD src0_sel:WORD_0 src1_sel:DWORD
	v_ashrrev_i32_e32 v199, s18, v216
	v_lshlrev_b32_e32 v199, 2, v199
	s_waitcnt lgkmcnt(0)
	v_ashrrev_i32_e32 v193, s21, v203
	v_and_b32_e32 v196, 0x3030303, v193
	v_bfe_u32 v193, v193, 24, 2
	v_and_b32_e32 v199, 0x4040404, v199
	v_sub_u16_e32 v201, v196, v199
	v_sub_u16_sdwa v203, v196, v199 dst_sel:BYTE_1 dst_unused:UNUSED_PAD src0_sel:BYTE_1 src1_sel:BYTE_1
	v_sub_u16_sdwa v193, v193, v199 dst_sel:BYTE_1 dst_unused:UNUSED_PAD src0_sel:DWORD src1_sel:BYTE_3
	v_sub_u16_sdwa v196, v196, v199 dst_sel:DWORD dst_unused:UNUSED_PAD src0_sel:WORD_1 src1_sel:WORD_1
	v_or_b32_sdwa v201, v201, v203 dst_sel:DWORD dst_unused:UNUSED_PAD src0_sel:BYTE_0 src1_sel:DWORD
	v_or_b32_sdwa v193, v196, v193 dst_sel:WORD_1 dst_unused:UNUSED_PAD src0_sel:BYTE_0 src1_sel:DWORD
	v_or_b32_sdwa v196, v201, v193 dst_sel:DWORD dst_unused:UNUSED_PAD src0_sel:WORD_0 src1_sel:DWORD
	v_ashrrev_i32_e32 v201, s18, v217
	v_ashrrev_i32_e32 v193, s21, v204
	v_lshlrev_b32_e32 v201, 2, v201
	v_and_b32_e32 v199, 0x3030303, v193
	v_bfe_u32 v193, v193, 24, 2
	v_and_b32_e32 v201, 0x4040404, v201
	v_sub_u16_e32 v203, v199, v201
	v_sub_u16_sdwa v204, v199, v201 dst_sel:BYTE_1 dst_unused:UNUSED_PAD src0_sel:BYTE_1 src1_sel:BYTE_1
	v_sub_u16_sdwa v193, v193, v201 dst_sel:BYTE_1 dst_unused:UNUSED_PAD src0_sel:DWORD src1_sel:BYTE_3
	v_sub_u16_sdwa v199, v199, v201 dst_sel:DWORD dst_unused:UNUSED_PAD src0_sel:WORD_1 src1_sel:WORD_1
	v_or_b32_sdwa v203, v203, v204 dst_sel:DWORD dst_unused:UNUSED_PAD src0_sel:BYTE_0 src1_sel:DWORD
	v_or_b32_sdwa v193, v199, v193 dst_sel:WORD_1 dst_unused:UNUSED_PAD src0_sel:BYTE_0 src1_sel:DWORD
	v_or_b32_sdwa v199, v203, v193 dst_sel:DWORD dst_unused:UNUSED_PAD src0_sel:WORD_0 src1_sel:DWORD
	v_add_u32_e32 v193, 0x3190, v205
	ds_read2_b32 v[203:204], v193 offset1:1
	ds_read2_b32 v[216:217], v218 offset0:4 offset1:5
	v_dot4_i32_i8 v38, v189, v38, 0
	v_dot4_i32_i8 v38, v192, v39, v38
	v_dot4_i32_i8 v38, v196, v40, v38
	s_waitcnt lgkmcnt(1)
	v_ashrrev_i32_e32 v193, s21, v203
	s_waitcnt lgkmcnt(0)
	v_ashrrev_i32_e32 v203, s18, v216
	v_lshlrev_b32_e32 v203, 2, v203
	v_and_b32_e32 v201, 0x3030303, v193
	v_bfe_u32 v193, v193, 24, 2
	v_and_b32_e32 v203, 0x4040404, v203
	v_sub_u16_e32 v216, v201, v203
	v_sub_u16_sdwa v219, v201, v203 dst_sel:BYTE_1 dst_unused:UNUSED_PAD src0_sel:BYTE_1 src1_sel:BYTE_1
	v_sub_u16_sdwa v193, v193, v203 dst_sel:BYTE_1 dst_unused:UNUSED_PAD src0_sel:DWORD src1_sel:BYTE_3
	v_sub_u16_sdwa v201, v201, v203 dst_sel:DWORD dst_unused:UNUSED_PAD src0_sel:WORD_1 src1_sel:WORD_1
	v_or_b32_sdwa v216, v216, v219 dst_sel:DWORD dst_unused:UNUSED_PAD src0_sel:BYTE_0 src1_sel:DWORD
	v_or_b32_sdwa v193, v201, v193 dst_sel:WORD_1 dst_unused:UNUSED_PAD src0_sel:BYTE_0 src1_sel:DWORD
	v_or_b32_sdwa v201, v216, v193 dst_sel:DWORD dst_unused:UNUSED_PAD src0_sel:WORD_0 src1_sel:DWORD
	v_ashrrev_i32_e32 v193, s21, v204
	v_ashrrev_i32_e32 v204, s18, v217
	v_lshlrev_b32_e32 v204, 2, v204
	v_and_b32_e32 v203, 0x3030303, v193
	v_bfe_u32 v193, v193, 24, 2
	v_and_b32_e32 v204, 0x4040404, v204
	v_sub_u16_e32 v216, v203, v204
	v_sub_u16_sdwa v217, v203, v204 dst_sel:BYTE_1 dst_unused:UNUSED_PAD src0_sel:BYTE_1 src1_sel:BYTE_1
	v_sub_u16_sdwa v193, v193, v204 dst_sel:BYTE_1 dst_unused:UNUSED_PAD src0_sel:DWORD src1_sel:BYTE_3
	v_sub_u16_sdwa v203, v203, v204 dst_sel:DWORD dst_unused:UNUSED_PAD src0_sel:WORD_1 src1_sel:WORD_1
	v_or_b32_sdwa v216, v216, v217 dst_sel:DWORD dst_unused:UNUSED_PAD src0_sel:BYTE_0 src1_sel:DWORD
	v_or_b32_sdwa v193, v203, v193 dst_sel:WORD_1 dst_unused:UNUSED_PAD src0_sel:BYTE_0 src1_sel:DWORD
	v_or_b32_sdwa v203, v216, v193 dst_sel:DWORD dst_unused:UNUSED_PAD src0_sel:WORD_0 src1_sel:DWORD
	v_add_u32_e32 v193, 0x3198, v205
	ds_read2_b32 v[204:205], v193 offset1:1
	ds_read2_b32 v[216:217], v218 offset0:6 offset1:7
	v_dot4_i32_i8 v34, v201, v34, 0
	v_dot4_i32_i8 v34, v203, v35, v34
	;; [unrolled: 1-line block ×3, first 2 shown]
	s_waitcnt lgkmcnt(1)
	v_ashrrev_i32_e32 v193, s21, v204
	s_waitcnt lgkmcnt(0)
	v_ashrrev_i32_e32 v216, s18, v216
	v_lshlrev_b32_e32 v216, 2, v216
	v_and_b32_e32 v204, 0x3030303, v193
	v_bfe_u32 v193, v193, 24, 2
	v_and_b32_e32 v216, 0x4040404, v216
	v_sub_u16_e32 v218, v204, v216
	v_sub_u16_sdwa v219, v204, v216 dst_sel:BYTE_1 dst_unused:UNUSED_PAD src0_sel:BYTE_1 src1_sel:BYTE_1
	v_sub_u16_sdwa v193, v193, v216 dst_sel:BYTE_1 dst_unused:UNUSED_PAD src0_sel:DWORD src1_sel:BYTE_3
	v_sub_u16_sdwa v204, v204, v216 dst_sel:DWORD dst_unused:UNUSED_PAD src0_sel:WORD_1 src1_sel:WORD_1
	v_or_b32_sdwa v218, v218, v219 dst_sel:DWORD dst_unused:UNUSED_PAD src0_sel:BYTE_0 src1_sel:DWORD
	v_or_b32_sdwa v193, v204, v193 dst_sel:WORD_1 dst_unused:UNUSED_PAD src0_sel:BYTE_0 src1_sel:DWORD
	v_ashrrev_i32_e32 v216, s18, v217
	v_or_b32_sdwa v204, v218, v193 dst_sel:DWORD dst_unused:UNUSED_PAD src0_sel:WORD_0 src1_sel:DWORD
	v_ashrrev_i32_e32 v193, s21, v205
	v_lshlrev_b32_e32 v216, 2, v216
	v_and_b32_e32 v205, 0x3030303, v193
	v_bfe_u32 v193, v193, 24, 2
	v_and_b32_e32 v216, 0x4040404, v216
	v_sub_u16_e32 v217, v205, v216
	v_sub_u16_sdwa v218, v205, v216 dst_sel:BYTE_1 dst_unused:UNUSED_PAD src0_sel:BYTE_1 src1_sel:BYTE_1
	v_sub_u16_sdwa v193, v193, v216 dst_sel:BYTE_1 dst_unused:UNUSED_PAD src0_sel:DWORD src1_sel:BYTE_3
	v_sub_u16_sdwa v205, v205, v216 dst_sel:DWORD dst_unused:UNUSED_PAD src0_sel:WORD_1 src1_sel:WORD_1
	v_or_b32_sdwa v217, v217, v218 dst_sel:DWORD dst_unused:UNUSED_PAD src0_sel:BYTE_0 src1_sel:DWORD
	v_or_b32_sdwa v193, v205, v193 dst_sel:WORD_1 dst_unused:UNUSED_PAD src0_sel:BYTE_0 src1_sel:DWORD
	v_or_b32_sdwa v205, v217, v193 dst_sel:DWORD dst_unused:UNUSED_PAD src0_sel:WORD_0 src1_sel:DWORD
	v_add3_u32 v193, s23, v170, v130
	ds_read_b32 v193, v193
	ds_read_b128 v[217:220], v176 offset:1024
	ds_read_b128 v[221:224], v176 offset:1040
	v_dot4_i32_i8 v34, v204, v36, v34
	v_dot4_i32_i8 v34, v205, v37, v34
	v_add_u32_e32 v216, s20, v140
	s_waitcnt lgkmcnt(1)
	v_dot4_i32_i8 v35, v65, v217, 0
	v_dot4_i32_i8 v35, v66, v218, v35
	;; [unrolled: 1-line block ×4, first 2 shown]
	s_waitcnt lgkmcnt(0)
	v_dot4_i32_i8 v35, v69, v221, 0
	v_dot4_i32_i8 v35, v206, v222, v35
	;; [unrolled: 1-line block ×28, first 2 shown]
	ds_read2_b32 v[35:36], v177 offset0:64 offset1:96
	ds_read_b128 v[217:220], v176 offset:2048
	ds_read_b128 v[221:224], v176 offset:2064
	s_add_i32 s18, s18, 1
	s_cmp_lt_u32 s19, 22
	s_waitcnt lgkmcnt(1)
	v_dot4_i32_i8 v39, v65, v217, 0
	v_dot4_i32_i8 v39, v66, v218, v39
	;; [unrolled: 1-line block ×4, first 2 shown]
	s_waitcnt lgkmcnt(0)
	v_dot4_i32_i8 v39, v69, v221, 0
	v_dot4_i32_i8 v39, v206, v222, v39
	;; [unrolled: 1-line block ×28, first 2 shown]
	ds_read_b128 v[219:222], v176 offset:3072
	ds_read_b128 v[223:226], v176 offset:3088
	s_waitcnt lgkmcnt(1)
	v_dot4_i32_i8 v39, v65, v219, 0
	v_dot4_i32_i8 v39, v66, v220, v39
	;; [unrolled: 1-line block ×4, first 2 shown]
	s_waitcnt lgkmcnt(0)
	v_dot4_i32_i8 v39, v69, v223, 0
	v_dot4_i32_i8 v39, v206, v224, v39
	;; [unrolled: 1-line block ×4, first 2 shown]
	ds_read_u16 v39, v64 offset:33522
	s_waitcnt lgkmcnt(0)
	v_lshrrev_b16_e32 v64, 8, v39
	v_bfe_i32 v229, v64, 0, 8
	v_bfe_i32 v230, v39, 0, 8
	v_mul_lo_u32 v37, v37, v230
	v_mul_lo_u32 v41, v41, v229
	;; [unrolled: 1-line block ×4, first 2 shown]
	v_mad_u64_u32 v[217:218], s[20:21], v228, v230, v[41:42]
	v_mad_u64_u32 v[227:228], s[20:21], v227, v229, v[37:38]
                                        ; kill: def $vgpr41 killed $sgpr0 killed $exec
	v_mul_f32_e32 v37, v178, v62
	v_mad_u64_u32 v[40:41], s[20:21], v243, v229, v[40:41]
	v_cvt_f32_i32_e32 v209, v227
	v_mul_f32_e32 v41, v178, v36
	v_mad_u64_u32 v[63:64], s[20:21], v63, v230, v[39:40]
	v_cvt_f32_i32_e32 v40, v40
	v_fmac_f32_e32 v18, v37, v209
	v_dot4_i32_i8 v37, v179, v219, 0
	v_dot4_i32_i8 v37, v180, v220, v37
	;; [unrolled: 1-line block ×3, first 2 shown]
	v_fma_f32 v20, v41, v40, v20
	v_dot4_i32_i8 v40, v184, v222, v37
	v_dot4_i32_i8 v37, v187, v223, 0
	;; [unrolled: 1-line block ×5, first 2 shown]
	ds_read_u16 v37, v211 offset:34546
	v_cvt_f32_i32_e32 v63, v63
	v_cvt_f32_i32_e32 v217, v217
	v_mul_f32_e32 v39, v178, v61
	v_mul_f32_e32 v64, v178, v35
	v_fma_f32 v19, v39, v63, v19
	s_waitcnt lgkmcnt(0)
	v_lshrrev_b16_e32 v39, 8, v37
	v_fma_f32 v21, v64, v217, v21
	v_bfe_i32 v217, v39, 0, 8
	v_bfe_i32 v218, v37, 0, 8
	v_mul_lo_u32 v41, v238, v217
	v_mul_lo_u32 v40, v40, v218
	;; [unrolled: 1-line block ×4, first 2 shown]
	v_mad_u64_u32 v[63:64], s[20:21], v237, v218, v[41:42]
                                        ; kill: def $vgpr41 killed $sgpr0 killed $exec
	v_mul_f32_e32 v64, v181, v35
	v_mad_u64_u32 v[40:41], s[20:21], v209, v217, v[40:41]
	v_mul_f32_e32 v41, v181, v36
	v_cvt_f32_i32_e32 v63, v63
	v_mad_u64_u32 v[209:210], s[20:21], v210, v218, v[39:40]
	v_mad_u64_u32 v[210:211], s[20:21], v232, v217, v[37:38]
	v_mul_f32_e32 v37, v181, v62
	v_cvt_f32_i32_e32 v40, v40
	v_cvt_f32_i32_e32 v210, v210
	;; [unrolled: 1-line block ×3, first 2 shown]
	v_mul_f32_e32 v39, v181, v61
	v_fma_f32 v32, v41, v40, v32
	v_fmac_f32_e32 v30, v37, v210
	v_dot4_i32_i8 v37, v183, v219, 0
	v_dot4_i32_i8 v37, v185, v220, v37
	;; [unrolled: 1-line block ×7, first 2 shown]
	v_fma_f32 v31, v39, v209, v31
	v_dot4_i32_i8 v209, v202, v226, v37
	ds_read_u16 v37, v214 offset:35570
	v_fma_f32 v33, v64, v63, v33
	s_waitcnt lgkmcnt(0)
	v_lshrrev_b16_e32 v39, 8, v37
	v_bfe_i32 v211, v39, 0, 8
	v_bfe_i32 v212, v37, 0, 8
	v_mul_lo_u32 v41, v240, v211
	v_mul_lo_u32 v40, v40, v212
	;; [unrolled: 1-line block ×4, first 2 shown]
	v_mad_u64_u32 v[63:64], s[20:21], v239, v212, v[41:42]
                                        ; kill: def $vgpr41 killed $sgpr0 killed $exec
	v_mul_f32_e32 v64, v186, v35
	v_mad_u64_u32 v[40:41], s[20:21], v209, v211, v[40:41]
	v_cvt_f32_i32_e32 v63, v63
	v_mul_f32_e32 v41, v186, v36
	v_mad_u64_u32 v[209:210], s[20:21], v213, v212, v[39:40]
	v_mad_u64_u32 v[213:214], s[20:21], v234, v211, v[37:38]
	v_mul_f32_e32 v37, v186, v62
	v_cvt_f32_i32_e32 v209, v209
	v_cvt_f32_i32_e32 v210, v213
	v_mul_f32_e32 v39, v186, v61
	v_fma_f32 v29, v64, v63, v29
	v_fma_f32 v27, v39, v209, v27
	v_fmac_f32_e32 v26, v37, v210
	v_dot4_i32_i8 v37, v189, v219, 0
	v_dot4_i32_i8 v37, v192, v220, v37
	;; [unrolled: 1-line block ×8, first 2 shown]
	ds_read_u16 v37, v216 offset:36594
	v_cvt_f32_i32_e32 v40, v40
	v_mul_f32_e32 v36, v193, v36
	v_fma_f32 v28, v41, v40, v28
	s_waitcnt lgkmcnt(0)
	v_lshrrev_b16_e32 v40, 8, v37
	v_bfe_i32 v209, v40, 0, 8
	v_mul_lo_u32 v40, v242, v209
	v_bfe_i32 v210, v37, 0, 8
                                        ; kill: def $vgpr41 killed $sgpr0 killed $exec
	v_mul_lo_u32 v34, v34, v209
	v_mul_lo_u32 v39, v39, v210
	v_mad_u64_u32 v[40:41], s[20:21], v241, v210, v[40:41]
	v_mul_lo_u32 v37, v235, v210
	v_mad_u64_u32 v[63:64], s[20:21], v63, v209, v[39:40]
	v_mad_u64_u32 v[38:39], s[20:21], v38, v210, v[34:35]
	v_cvt_f32_i32_e32 v41, v63
	v_cvt_f32_i32_e32 v40, v40
	v_mad_u64_u32 v[213:214], s[20:21], v236, v209, v[37:38]
	v_cvt_f32_i32_e32 v38, v38
	v_mul_f32_e32 v34, v193, v62
	v_cvt_f32_i32_e32 v39, v213
	v_mul_f32_e32 v37, v193, v61
	v_mul_f32_e32 v35, v193, v35
	v_fma_f32 v25, v35, v40, v25
	v_fma_f32 v24, v36, v41, v24
	;; [unrolled: 1-line block ×3, first 2 shown]
	v_fmac_f32_e32 v22, v34, v39
	ds_read2_b32 v[61:62], v177 offset0:128 offset1:160
	ds_read_b128 v[34:37], v176 offset:4096
	ds_read_b128 v[38:41], v176 offset:4112
	s_waitcnt lgkmcnt(1)
	v_dot4_i32_i8 v63, v65, v34, 0
	v_dot4_i32_i8 v63, v66, v35, v63
	;; [unrolled: 1-line block ×4, first 2 shown]
	s_waitcnt lgkmcnt(0)
	v_dot4_i32_i8 v63, v69, v38, 0
	v_dot4_i32_i8 v63, v206, v39, v63
	;; [unrolled: 1-line block ×28, first 2 shown]
	ds_read_b128 v[34:37], v176 offset:5120
	ds_read_b128 v[38:41], v176 offset:5136
	s_waitcnt lgkmcnt(1)
	v_dot4_i32_i8 v63, v65, v34, 0
	v_dot4_i32_i8 v63, v66, v35, v63
	;; [unrolled: 1-line block ×4, first 2 shown]
	s_waitcnt lgkmcnt(0)
	v_dot4_i32_i8 v63, v69, v38, 0
	v_dot4_i32_i8 v63, v206, v39, v63
	;; [unrolled: 1-line block ×28, first 2 shown]
	ds_read2_b32 v[63:64], v177 offset0:192 offset1:224
	ds_read_b128 v[34:37], v176 offset:6144
	ds_read_b128 v[38:41], v176 offset:6160
	v_add_u32_e32 v177, 4, v177
	s_waitcnt lgkmcnt(1)
	v_dot4_i32_i8 v225, v65, v34, 0
	v_dot4_i32_i8 v225, v66, v35, v225
	;; [unrolled: 1-line block ×4, first 2 shown]
	s_waitcnt lgkmcnt(0)
	v_dot4_i32_i8 v225, v69, v38, 0
	v_dot4_i32_i8 v225, v206, v39, v225
	;; [unrolled: 1-line block ×28, first 2 shown]
	ds_read_b128 v[38:41], v176 offset:7168
	ds_read_b128 v[34:37], v176 offset:7184
	v_add_u32_e32 v176, 32, v176
	s_waitcnt lgkmcnt(1)
	v_dot4_i32_i8 v65, v65, v38, 0
	v_dot4_i32_i8 v65, v66, v39, v65
	;; [unrolled: 1-line block ×4, first 2 shown]
	s_waitcnt lgkmcnt(0)
	v_dot4_i32_i8 v66, v69, v34, 0
	v_mul_lo_u32 v67, v65, v230
	v_mul_lo_u32 v65, v240, v229
	v_dot4_i32_i8 v66, v206, v35, v66
	v_mul_lo_u32 v68, v236, v229
	v_dot4_i32_i8 v66, v207, v36, v66
	v_mul_lo_u32 v69, v237, v230
	v_dot4_i32_i8 v206, v208, v37, v66
                                        ; kill: def $vgpr66 killed $sgpr0 killed $exec
	v_mul_f32_e32 v207, v178, v64
	v_mad_u64_u32 v[65:66], s[20:21], v239, v230, v[65:66]
	v_mad_u64_u32 v[66:67], s[20:21], v206, v229, v[67:68]
	;; [unrolled: 1-line block ×4, first 2 shown]
	v_cvt_f32_i32_e32 v65, v65
	v_mul_f32_e32 v69, v178, v62
	v_cvt_f32_i32_e32 v68, v68
	v_mul_f32_e32 v206, v178, v61
	v_mul_f32_e32 v178, v178, v63
	v_cvt_f32_i32_e32 v67, v67
	v_fma_f32 v17, v178, v65, v17
	v_fmac_f32_e32 v14, v69, v68
	v_dot4_i32_i8 v65, v179, v38, 0
	v_mul_lo_u32 v68, v234, v217
	v_cvt_f32_i32_e32 v66, v66
	v_dot4_i32_i8 v65, v180, v39, v65
	v_dot4_i32_i8 v65, v182, v40, v65
	v_fma_f32 v15, v206, v67, v15
	v_dot4_i32_i8 v67, v184, v41, v65
                                        ; kill: def $vgpr69 killed $sgpr0 killed $exec
	v_dot4_i32_i8 v65, v187, v34, 0
	v_mul_lo_u32 v67, v67, v218
	v_mad_u64_u32 v[68:69], s[20:21], v233, v218, v[68:69]
	v_fma_f32 v16, v207, v66, v16
	v_dot4_i32_i8 v65, v190, v35, v65
	v_mul_lo_u32 v66, v224, v217
	v_dot4_i32_i8 v65, v194, v36, v65
	v_dot4_i32_i8 v178, v197, v37, v65
	v_mad_u64_u32 v[178:179], s[20:21], v178, v217, v[67:68]
                                        ; kill: def $vgpr67 killed $sgpr0 killed $exec
	v_mul_lo_u32 v65, v228, v218
	v_mad_u64_u32 v[66:67], s[20:21], v223, v218, v[66:67]
	v_mul_f32_e32 v67, v181, v61
	v_cvt_f32_i32_e32 v178, v178
	v_mad_u64_u32 v[179:180], s[20:21], v227, v217, v[65:66]
	v_mul_f32_e32 v65, v181, v62
	v_cvt_f32_i32_e32 v66, v66
	v_cvt_f32_i32_e32 v179, v179
	;; [unrolled: 1-line block ×3, first 2 shown]
	v_mul_f32_e32 v69, v181, v64
	v_fma_f32 v11, v67, v66, v11
	v_fmac_f32_e32 v10, v65, v179
	v_dot4_i32_i8 v65, v183, v38, 0
	v_dot4_i32_i8 v65, v185, v39, v65
	;; [unrolled: 1-line block ×8, first 2 shown]
	v_mul_f32_e32 v180, v181, v63
	v_dot4_i32_i8 v65, v200, v36, v65
	v_dot4_i32_i8 v38, v189, v38, 0
	;; [unrolled: 1-line block ×3, first 2 shown]
	v_fma_f32 v13, v180, v68, v13
	v_fma_f32 v12, v69, v178, v12
	v_dot4_i32_i8 v178, v202, v37, v65
	v_mul_lo_u32 v68, v232, v211
	v_dot4_i32_i8 v38, v192, v39, v38
	v_dot4_i32_i8 v39, v205, v37, v34
	v_mul_lo_u32 v37, v226, v209
	v_dot4_i32_i8 v38, v196, v40, v38
	v_dot4_i32_i8 v38, v199, v41, v38
                                        ; kill: def $vgpr69 killed $sgpr0 killed $exec
	v_mul_lo_u32 v36, v38, v210
                                        ; kill: def $vgpr38 killed $sgpr0 killed $exec
	v_mul_lo_u32 v67, v67, v212
	v_mad_u64_u32 v[68:69], s[20:21], v231, v212, v[68:69]
	v_mad_u64_u32 v[37:38], s[20:21], v225, v210, v[37:38]
	v_mul_lo_u32 v66, v220, v211
	v_mul_lo_u32 v35, v214, v209
	v_mad_u64_u32 v[178:179], s[20:21], v178, v211, v[67:68]
                                        ; kill: def $vgpr67 killed $sgpr0 killed $exec
	v_mad_u64_u32 v[38:39], s[20:21], v39, v209, v[36:37]
                                        ; kill: def $vgpr36 killed $sgpr0 killed $exec
	v_mul_lo_u32 v65, v222, v212
	v_mad_u64_u32 v[66:67], s[20:21], v219, v212, v[66:67]
	v_mul_lo_u32 v34, v216, v210
	v_mad_u64_u32 v[35:36], s[20:21], v213, v210, v[35:36]
	v_mad_u64_u32 v[179:180], s[20:21], v221, v211, v[65:66]
	;; [unrolled: 1-line block ×3, first 2 shown]
	v_cvt_f32_i32_e32 v179, v179
	v_cvt_f32_i32_e32 v66, v66
	;; [unrolled: 1-line block ×8, first 2 shown]
	v_mul_f32_e32 v65, v186, v62
	v_mul_f32_e32 v67, v186, v61
	;; [unrolled: 1-line block ×8, first 2 shown]
	v_fma_f32 v9, v180, v68, v9
	v_fma_f32 v8, v69, v178, v8
	;; [unrolled: 1-line block ×3, first 2 shown]
	v_fmac_f32_e32 v6, v65, v179
	v_fma_f32 v5, v41, v37, v5
	v_fma_f32 v4, v40, v38, v4
	;; [unrolled: 1-line block ×3, first 2 shown]
	v_fmac_f32_e32 v2, v34, v39
	s_mov_b32 s20, s19
	s_cbranch_scc1 .LBB170_12
; %bb.13:                               ;   in Loop: Header=BB170_6 Depth=1
	v_add_u32_e32 v69, s16, v133
	v_add_u32_e32 v67, 12, v174
	;; [unrolled: 1-line block ×3, first 2 shown]
	v_mad_u64_u32 v[67:68], s[16:17], v67, 36, s[2:3]
	v_mad_i64_i32 v[34:35], s[16:17], v34, 36, v[59:60]
	v_add_u32_e32 v36, v69, v116
	v_mad_i64_i32 v[36:37], s[16:17], v36, 36, v[59:60]
	v_add_u32_e32 v38, v69, v117
	v_add_u32_e32 v40, v69, v118
	v_mad_i64_i32 v[38:39], s[16:17], v38, 36, v[59:60]
	v_mad_i64_i32 v[40:41], s[16:17], v40, 36, v[59:60]
	v_add_u32_e32 v61, v69, v119
	v_add_u32_e32 v63, v69, v120
	;; [unrolled: 1-line block ×4, first 2 shown]
	s_barrier
	v_mad_i64_i32 v[61:62], s[16:17], v61, 36, v[59:60]
	v_mad_i64_i32 v[63:64], s[16:17], v63, 36, v[59:60]
	;; [unrolled: 1-line block ×4, first 2 shown]
	global_load_dword v67, v[67:68], off
	s_nop 0
	global_load_dword v34, v[34:35], off offset:4
	s_nop 0
	global_load_dword v35, v[36:37], off offset:4
	s_nop 0
	global_load_dword v36, v[38:39], off offset:4
	global_load_dword v37, v[40:41], off offset:4
	s_nop 0
	global_load_dword v38, v[61:62], off offset:4
	global_load_dword v39, v[63:64], off offset:4
	;; [unrolled: 1-line block ×4, first 2 shown]
	s_mov_b32 s16, 24
	s_mov_b32 s19, 22
	;; [unrolled: 1-line block ×3, first 2 shown]
	v_mov_b32_e32 v174, v143
	s_waitcnt vmcnt(8)
	v_cvt_f32_f16_e32 v61, v67
	s_waitcnt vmcnt(7)
	ds_write_b32 v175, v34
	s_waitcnt vmcnt(6)
	ds_write_b32 v158, v35
	;; [unrolled: 2-line block ×8, first 2 shown]
	ds_write_b32 v113, v61
	v_mov_b32_e32 v175, v142
	s_waitcnt lgkmcnt(0)
	s_barrier
.LBB170_14:                             ;   Parent Loop BB170_6 Depth=1
                                        ; =>  This Inner Loop Header: Depth=2
	s_add_i32 s18, s19, 2
	s_lshr_b32 s23, s18, 4
	s_and_b32 s21, s18, 0x3ffffff8
	v_lshl_add_u32 v203, s21, 2, v123
	s_lshl_b32 s21, s23, 5
	s_addk_i32 s21, 0x4200
	v_add3_u32 v178, s21, v171, v124
	ds_read2_b32 v[61:62], v175 offset1:32
	ds_read_b128 v[38:41], v174
	ds_read_b128 v[34:37], v174 offset:16
	ds_read2_b32 v[65:66], v178 offset1:1
	ds_read2_b32 v[63:64], v203 offset1:1
	v_add3_u32 v197, s21, v167, v127
	s_sub_i32 s20, s19, 22
	ds_read2_b32 v[198:199], v197 offset0:6 offset1:7
	s_waitcnt lgkmcnt(2)
	v_ashrrev_i32_e32 v65, s17, v65
	s_waitcnt lgkmcnt(1)
	v_ashrrev_i32_e32 v63, s20, v63
	v_lshlrev_b32_e32 v65, 2, v65
	v_and_b32_e32 v67, 0x3030303, v63
	v_bfe_u32 v63, v63, 24, 2
	v_and_b32_e32 v65, 0x4040404, v65
	v_sub_u16_e32 v68, v67, v65
	v_sub_u16_sdwa v69, v67, v65 dst_sel:BYTE_1 dst_unused:UNUSED_PAD src0_sel:BYTE_1 src1_sel:BYTE_1
	v_sub_u16_sdwa v63, v63, v65 dst_sel:BYTE_1 dst_unused:UNUSED_PAD src0_sel:DWORD src1_sel:BYTE_3
	v_sub_u16_sdwa v65, v67, v65 dst_sel:DWORD dst_unused:UNUSED_PAD src0_sel:WORD_1 src1_sel:WORD_1
	v_or_b32_sdwa v68, v68, v69 dst_sel:DWORD dst_unused:UNUSED_PAD src0_sel:BYTE_0 src1_sel:DWORD
	v_or_b32_sdwa v63, v65, v63 dst_sel:WORD_1 dst_unused:UNUSED_PAD src0_sel:BYTE_0 src1_sel:DWORD
	v_ashrrev_i32_e32 v66, s17, v66
	v_or_b32_sdwa v65, v68, v63 dst_sel:DWORD dst_unused:UNUSED_PAD src0_sel:WORD_0 src1_sel:DWORD
	v_ashrrev_i32_e32 v63, s20, v64
	v_lshlrev_b32_e32 v66, 2, v66
	v_and_b32_e32 v64, 0x3030303, v63
	v_bfe_u32 v63, v63, 24, 2
	v_and_b32_e32 v66, 0x4040404, v66
	v_sub_u16_e32 v67, v64, v66
	v_sub_u16_sdwa v68, v64, v66 dst_sel:BYTE_1 dst_unused:UNUSED_PAD src0_sel:BYTE_1 src1_sel:BYTE_1
	v_sub_u16_sdwa v63, v63, v66 dst_sel:BYTE_1 dst_unused:UNUSED_PAD src0_sel:DWORD src1_sel:BYTE_3
	v_sub_u16_sdwa v64, v64, v66 dst_sel:DWORD dst_unused:UNUSED_PAD src0_sel:WORD_1 src1_sel:WORD_1
	v_or_b32_sdwa v67, v67, v68 dst_sel:DWORD dst_unused:UNUSED_PAD src0_sel:BYTE_0 src1_sel:DWORD
	v_or_b32_sdwa v63, v64, v63 dst_sel:WORD_1 dst_unused:UNUSED_PAD src0_sel:BYTE_0 src1_sel:DWORD
	v_or_b32_sdwa v66, v67, v63 dst_sel:DWORD dst_unused:UNUSED_PAD src0_sel:WORD_0 src1_sel:DWORD
	ds_read2_b32 v[63:64], v203 offset0:2 offset1:3
	ds_read2_b32 v[67:68], v178 offset0:2 offset1:3
	s_and_b32 s22, s16, -16
	s_add_i32 s19, s19, s22
	s_lshl_b32 s22, s23, 2
	s_waitcnt lgkmcnt(1)
	v_ashrrev_i32_e32 v63, s20, v63
	s_waitcnt lgkmcnt(0)
	v_ashrrev_i32_e32 v67, s17, v67
	v_lshlrev_b32_e32 v67, 2, v67
	v_and_b32_e32 v69, 0x3030303, v63
	v_bfe_u32 v63, v63, 24, 2
	v_and_b32_e32 v67, 0x4040404, v67
	v_sub_u16_e32 v176, v69, v67
	v_sub_u16_sdwa v177, v69, v67 dst_sel:BYTE_1 dst_unused:UNUSED_PAD src0_sel:BYTE_1 src1_sel:BYTE_1
	v_sub_u16_sdwa v63, v63, v67 dst_sel:BYTE_1 dst_unused:UNUSED_PAD src0_sel:DWORD src1_sel:BYTE_3
	v_sub_u16_sdwa v67, v69, v67 dst_sel:DWORD dst_unused:UNUSED_PAD src0_sel:WORD_1 src1_sel:WORD_1
	v_or_b32_sdwa v176, v176, v177 dst_sel:DWORD dst_unused:UNUSED_PAD src0_sel:BYTE_0 src1_sel:DWORD
	v_or_b32_sdwa v63, v67, v63 dst_sel:WORD_1 dst_unused:UNUSED_PAD src0_sel:BYTE_0 src1_sel:DWORD
	v_ashrrev_i32_e32 v68, s17, v68
	v_or_b32_sdwa v67, v176, v63 dst_sel:DWORD dst_unused:UNUSED_PAD src0_sel:WORD_0 src1_sel:DWORD
	v_ashrrev_i32_e32 v63, s20, v64
	v_lshlrev_b32_e32 v68, 2, v68
	v_and_b32_e32 v64, 0x3030303, v63
	v_bfe_u32 v63, v63, 24, 2
	v_and_b32_e32 v68, 0x4040404, v68
	v_sub_u16_e32 v69, v64, v68
	v_sub_u16_sdwa v176, v64, v68 dst_sel:BYTE_1 dst_unused:UNUSED_PAD src0_sel:BYTE_1 src1_sel:BYTE_1
	v_sub_u16_sdwa v63, v63, v68 dst_sel:BYTE_1 dst_unused:UNUSED_PAD src0_sel:DWORD src1_sel:BYTE_3
	v_sub_u16_sdwa v64, v64, v68 dst_sel:DWORD dst_unused:UNUSED_PAD src0_sel:WORD_1 src1_sel:WORD_1
	v_or_b32_sdwa v69, v69, v176 dst_sel:DWORD dst_unused:UNUSED_PAD src0_sel:BYTE_0 src1_sel:DWORD
	v_or_b32_sdwa v63, v64, v63 dst_sel:WORD_1 dst_unused:UNUSED_PAD src0_sel:BYTE_0 src1_sel:DWORD
	v_or_b32_sdwa v68, v69, v63 dst_sel:DWORD dst_unused:UNUSED_PAD src0_sel:WORD_0 src1_sel:DWORD
	ds_read2_b32 v[63:64], v203 offset0:4 offset1:5
	ds_read2_b32 v[176:177], v178 offset0:4 offset1:5
	s_add_i32 s22, s22, 0x9380
	v_add3_u32 v187, s21, v165, v125
	v_add3_u32 v216, s21, v169, v129
	s_waitcnt lgkmcnt(1)
	v_ashrrev_i32_e32 v63, s20, v63
	s_waitcnt lgkmcnt(0)
	v_ashrrev_i32_e32 v176, s17, v176
	v_lshlrev_b32_e32 v176, 2, v176
	v_and_b32_e32 v69, 0x3030303, v63
	v_bfe_u32 v63, v63, 24, 2
	v_and_b32_e32 v176, 0x4040404, v176
	v_sub_u16_e32 v179, v69, v176
	v_sub_u16_sdwa v180, v69, v176 dst_sel:BYTE_1 dst_unused:UNUSED_PAD src0_sel:BYTE_1 src1_sel:BYTE_1
	v_sub_u16_sdwa v63, v63, v176 dst_sel:BYTE_1 dst_unused:UNUSED_PAD src0_sel:DWORD src1_sel:BYTE_3
	v_sub_u16_sdwa v69, v69, v176 dst_sel:DWORD dst_unused:UNUSED_PAD src0_sel:WORD_1 src1_sel:WORD_1
	v_or_b32_sdwa v179, v179, v180 dst_sel:DWORD dst_unused:UNUSED_PAD src0_sel:BYTE_0 src1_sel:DWORD
	v_or_b32_sdwa v63, v69, v63 dst_sel:WORD_1 dst_unused:UNUSED_PAD src0_sel:BYTE_0 src1_sel:DWORD
	v_ashrrev_i32_e32 v176, s17, v177
	v_or_b32_sdwa v69, v179, v63 dst_sel:DWORD dst_unused:UNUSED_PAD src0_sel:WORD_0 src1_sel:DWORD
	v_ashrrev_i32_e32 v63, s20, v64
	v_lshlrev_b32_e32 v176, 2, v176
	v_and_b32_e32 v64, 0x3030303, v63
	v_bfe_u32 v63, v63, 24, 2
	v_and_b32_e32 v176, 0x4040404, v176
	v_sub_u16_e32 v177, v64, v176
	v_sub_u16_sdwa v179, v64, v176 dst_sel:BYTE_1 dst_unused:UNUSED_PAD src0_sel:BYTE_1 src1_sel:BYTE_1
	v_sub_u16_sdwa v63, v63, v176 dst_sel:BYTE_1 dst_unused:UNUSED_PAD src0_sel:DWORD src1_sel:BYTE_3
	v_sub_u16_sdwa v64, v64, v176 dst_sel:DWORD dst_unused:UNUSED_PAD src0_sel:WORD_1 src1_sel:WORD_1
	v_or_b32_sdwa v177, v177, v179 dst_sel:DWORD dst_unused:UNUSED_PAD src0_sel:BYTE_0 src1_sel:DWORD
	v_or_b32_sdwa v63, v64, v63 dst_sel:WORD_1 dst_unused:UNUSED_PAD src0_sel:BYTE_0 src1_sel:DWORD
	v_or_b32_sdwa v204, v177, v63 dst_sel:DWORD dst_unused:UNUSED_PAD src0_sel:WORD_0 src1_sel:DWORD
	ds_read2_b32 v[63:64], v203 offset0:6 offset1:7
	ds_read2_b32 v[176:177], v178 offset0:6 offset1:7
	ds_read2_b32 v[214:215], v216 offset0:2 offset1:3
	v_add_u32_e32 v209, s19, v136
	v_add_u32_e32 v212, s19, v138
	s_waitcnt lgkmcnt(2)
	v_ashrrev_i32_e32 v63, s20, v63
	s_waitcnt lgkmcnt(1)
	v_ashrrev_i32_e32 v176, s17, v176
	v_lshlrev_b32_e32 v176, 2, v176
	v_and_b32_e32 v179, 0x3030303, v63
	v_bfe_u32 v63, v63, 24, 2
	v_and_b32_e32 v176, 0x4040404, v176
	v_sub_u16_e32 v178, v179, v176
	v_sub_u16_sdwa v180, v179, v176 dst_sel:BYTE_1 dst_unused:UNUSED_PAD src0_sel:BYTE_1 src1_sel:BYTE_1
	v_sub_u16_sdwa v63, v63, v176 dst_sel:BYTE_1 dst_unused:UNUSED_PAD src0_sel:DWORD src1_sel:BYTE_3
	v_sub_u16_sdwa v176, v179, v176 dst_sel:DWORD dst_unused:UNUSED_PAD src0_sel:WORD_1 src1_sel:WORD_1
	v_or_b32_sdwa v178, v178, v180 dst_sel:DWORD dst_unused:UNUSED_PAD src0_sel:BYTE_0 src1_sel:DWORD
	v_or_b32_sdwa v63, v176, v63 dst_sel:WORD_1 dst_unused:UNUSED_PAD src0_sel:BYTE_0 src1_sel:DWORD
	v_ashrrev_i32_e32 v176, s17, v177
	v_or_b32_sdwa v205, v178, v63 dst_sel:DWORD dst_unused:UNUSED_PAD src0_sel:WORD_0 src1_sel:DWORD
	v_ashrrev_i32_e32 v63, s20, v64
	v_lshlrev_b32_e32 v176, 2, v176
	v_and_b32_e32 v64, 0x3030303, v63
	v_bfe_u32 v63, v63, 24, 2
	v_and_b32_e32 v176, 0x4040404, v176
	v_sub_u16_e32 v177, v64, v176
	v_sub_u16_sdwa v178, v64, v176 dst_sel:BYTE_1 dst_unused:UNUSED_PAD src0_sel:BYTE_1 src1_sel:BYTE_1
	v_sub_u16_sdwa v63, v63, v176 dst_sel:BYTE_1 dst_unused:UNUSED_PAD src0_sel:DWORD src1_sel:BYTE_3
	v_sub_u16_sdwa v64, v64, v176 dst_sel:DWORD dst_unused:UNUSED_PAD src0_sel:WORD_1 src1_sel:WORD_1
	v_or_b32_sdwa v177, v177, v178 dst_sel:DWORD dst_unused:UNUSED_PAD src0_sel:BYTE_0 src1_sel:DWORD
	v_or_b32_sdwa v63, v64, v63 dst_sel:WORD_1 dst_unused:UNUSED_PAD src0_sel:BYTE_0 src1_sel:DWORD
	v_or_b32_sdwa v206, v177, v63 dst_sel:DWORD dst_unused:UNUSED_PAD src0_sel:WORD_0 src1_sel:DWORD
	v_dot4_i32_i8 v177, v69, v34, 0
	v_dot4_i32_i8 v177, v204, v35, v177
	;; [unrolled: 1-line block ×3, first 2 shown]
	v_add3_u32 v63, s22, v172, v173
	v_dot4_i32_i8 v207, v206, v37, v177
	v_add_u32_e32 v177, 0x1080, v203
	ds_read_b32 v176, v63
	ds_read2_b32 v[177:178], v177 offset1:1
	ds_read2_b32 v[179:180], v187 offset1:1
	v_dot4_i32_i8 v63, v65, v38, 0
	v_dot4_i32_i8 v63, v66, v39, v63
	v_dot4_i32_i8 v63, v67, v40, v63
	s_waitcnt lgkmcnt(1)
	v_ashrrev_i32_e32 v177, s20, v177
	s_waitcnt lgkmcnt(0)
	v_ashrrev_i32_e32 v179, s17, v179
	v_lshlrev_b32_e32 v179, 2, v179
	v_and_b32_e32 v181, 0x3030303, v177
	v_bfe_u32 v177, v177, 24, 2
	v_and_b32_e32 v179, 0x4040404, v179
	v_ashrrev_i32_e32 v180, s17, v180
	v_sub_u16_e32 v182, v181, v179
	v_sub_u16_sdwa v183, v181, v179 dst_sel:BYTE_1 dst_unused:UNUSED_PAD src0_sel:BYTE_1 src1_sel:BYTE_1
	v_sub_u16_sdwa v177, v177, v179 dst_sel:BYTE_1 dst_unused:UNUSED_PAD src0_sel:DWORD src1_sel:BYTE_3
	v_sub_u16_sdwa v179, v181, v179 dst_sel:DWORD dst_unused:UNUSED_PAD src0_sel:WORD_1 src1_sel:WORD_1
	v_ashrrev_i32_e32 v178, s20, v178
	v_lshlrev_b32_e32 v180, 2, v180
	v_or_b32_sdwa v182, v182, v183 dst_sel:DWORD dst_unused:UNUSED_PAD src0_sel:BYTE_0 src1_sel:DWORD
	v_or_b32_sdwa v177, v179, v177 dst_sel:WORD_1 dst_unused:UNUSED_PAD src0_sel:BYTE_0 src1_sel:DWORD
	v_and_b32_e32 v179, 0x3030303, v178
	v_bfe_u32 v178, v178, 24, 2
	v_and_b32_e32 v180, 0x4040404, v180
	v_or_b32_sdwa v177, v182, v177 dst_sel:DWORD dst_unused:UNUSED_PAD src0_sel:WORD_0 src1_sel:DWORD
	v_sub_u16_e32 v181, v179, v180
	v_sub_u16_sdwa v182, v179, v180 dst_sel:BYTE_1 dst_unused:UNUSED_PAD src0_sel:BYTE_1 src1_sel:BYTE_1
	v_sub_u16_sdwa v178, v178, v180 dst_sel:BYTE_1 dst_unused:UNUSED_PAD src0_sel:DWORD src1_sel:BYTE_3
	v_sub_u16_sdwa v179, v179, v180 dst_sel:DWORD dst_unused:UNUSED_PAD src0_sel:WORD_1 src1_sel:WORD_1
	v_or_b32_sdwa v181, v181, v182 dst_sel:DWORD dst_unused:UNUSED_PAD src0_sel:BYTE_0 src1_sel:DWORD
	v_or_b32_sdwa v178, v179, v178 dst_sel:WORD_1 dst_unused:UNUSED_PAD src0_sel:BYTE_0 src1_sel:DWORD
	v_add_u32_e32 v179, 0x1088, v203
	v_or_b32_sdwa v178, v181, v178 dst_sel:DWORD dst_unused:UNUSED_PAD src0_sel:WORD_0 src1_sel:DWORD
	ds_read2_b32 v[180:181], v179 offset1:1
	ds_read2_b32 v[182:183], v187 offset0:2 offset1:3
	ds_read2_b32 v[201:202], v216 offset1:1
	v_dot4_i32_i8 v63, v68, v41, v63
	v_add_u32_e32 v64, s19, v134
	s_waitcnt lgkmcnt(2)
	v_ashrrev_i32_e32 v179, s20, v180
	s_waitcnt lgkmcnt(1)
	v_ashrrev_i32_e32 v182, s17, v182
	v_lshlrev_b32_e32 v182, 2, v182
	v_and_b32_e32 v180, 0x3030303, v179
	v_bfe_u32 v179, v179, 24, 2
	v_and_b32_e32 v182, 0x4040404, v182
	v_sub_u16_e32 v184, v180, v182
	v_sub_u16_sdwa v185, v180, v182 dst_sel:BYTE_1 dst_unused:UNUSED_PAD src0_sel:BYTE_1 src1_sel:BYTE_1
	v_sub_u16_sdwa v179, v179, v182 dst_sel:BYTE_1 dst_unused:UNUSED_PAD src0_sel:DWORD src1_sel:BYTE_3
	v_sub_u16_sdwa v180, v180, v182 dst_sel:DWORD dst_unused:UNUSED_PAD src0_sel:WORD_1 src1_sel:WORD_1
	v_or_b32_sdwa v184, v184, v185 dst_sel:DWORD dst_unused:UNUSED_PAD src0_sel:BYTE_0 src1_sel:DWORD
	v_or_b32_sdwa v179, v180, v179 dst_sel:WORD_1 dst_unused:UNUSED_PAD src0_sel:BYTE_0 src1_sel:DWORD
	v_ashrrev_i32_e32 v182, s17, v183
	v_or_b32_sdwa v180, v184, v179 dst_sel:DWORD dst_unused:UNUSED_PAD src0_sel:WORD_0 src1_sel:DWORD
	v_ashrrev_i32_e32 v179, s20, v181
	v_lshlrev_b32_e32 v182, 2, v182
	v_and_b32_e32 v181, 0x3030303, v179
	v_bfe_u32 v179, v179, 24, 2
	v_and_b32_e32 v182, 0x4040404, v182
	v_sub_u16_e32 v183, v181, v182
	v_sub_u16_sdwa v184, v181, v182 dst_sel:BYTE_1 dst_unused:UNUSED_PAD src0_sel:BYTE_1 src1_sel:BYTE_1
	v_sub_u16_sdwa v179, v179, v182 dst_sel:BYTE_1 dst_unused:UNUSED_PAD src0_sel:DWORD src1_sel:BYTE_3
	v_sub_u16_sdwa v181, v181, v182 dst_sel:DWORD dst_unused:UNUSED_PAD src0_sel:WORD_1 src1_sel:WORD_1
	v_or_b32_sdwa v183, v183, v184 dst_sel:DWORD dst_unused:UNUSED_PAD src0_sel:BYTE_0 src1_sel:DWORD
	v_or_b32_sdwa v179, v181, v179 dst_sel:WORD_1 dst_unused:UNUSED_PAD src0_sel:BYTE_0 src1_sel:DWORD
	v_or_b32_sdwa v182, v183, v179 dst_sel:DWORD dst_unused:UNUSED_PAD src0_sel:WORD_0 src1_sel:DWORD
	v_add_u32_e32 v179, 0x1090, v203
	ds_read2_b32 v[183:184], v179 offset1:1
	ds_read2_b32 v[185:186], v187 offset0:4 offset1:5
	s_add_i32 s16, s16, 2
	s_waitcnt lgkmcnt(1)
	v_ashrrev_i32_e32 v179, s20, v183
	s_waitcnt lgkmcnt(0)
	v_ashrrev_i32_e32 v183, s17, v185
	v_lshlrev_b32_e32 v183, 2, v183
	v_and_b32_e32 v181, 0x3030303, v179
	v_bfe_u32 v179, v179, 24, 2
	v_and_b32_e32 v183, 0x4040404, v183
	v_sub_u16_e32 v185, v181, v183
	v_sub_u16_sdwa v188, v181, v183 dst_sel:BYTE_1 dst_unused:UNUSED_PAD src0_sel:BYTE_1 src1_sel:BYTE_1
	v_sub_u16_sdwa v179, v179, v183 dst_sel:BYTE_1 dst_unused:UNUSED_PAD src0_sel:DWORD src1_sel:BYTE_3
	v_sub_u16_sdwa v181, v181, v183 dst_sel:DWORD dst_unused:UNUSED_PAD src0_sel:WORD_1 src1_sel:WORD_1
	v_or_b32_sdwa v185, v185, v188 dst_sel:DWORD dst_unused:UNUSED_PAD src0_sel:BYTE_0 src1_sel:DWORD
	v_or_b32_sdwa v179, v181, v179 dst_sel:WORD_1 dst_unused:UNUSED_PAD src0_sel:BYTE_0 src1_sel:DWORD
	v_ashrrev_i32_e32 v183, s17, v186
	v_or_b32_sdwa v185, v185, v179 dst_sel:DWORD dst_unused:UNUSED_PAD src0_sel:WORD_0 src1_sel:DWORD
	v_ashrrev_i32_e32 v179, s20, v184
	v_lshlrev_b32_e32 v183, 2, v183
	v_and_b32_e32 v181, 0x3030303, v179
	v_bfe_u32 v179, v179, 24, 2
	v_and_b32_e32 v183, 0x4040404, v183
	v_sub_u16_e32 v184, v181, v183
	v_sub_u16_sdwa v186, v181, v183 dst_sel:BYTE_1 dst_unused:UNUSED_PAD src0_sel:BYTE_1 src1_sel:BYTE_1
	v_sub_u16_sdwa v179, v179, v183 dst_sel:BYTE_1 dst_unused:UNUSED_PAD src0_sel:DWORD src1_sel:BYTE_3
	v_sub_u16_sdwa v181, v181, v183 dst_sel:DWORD dst_unused:UNUSED_PAD src0_sel:WORD_1 src1_sel:WORD_1
	v_or_b32_sdwa v184, v184, v186 dst_sel:DWORD dst_unused:UNUSED_PAD src0_sel:BYTE_0 src1_sel:DWORD
	v_or_b32_sdwa v179, v181, v179 dst_sel:WORD_1 dst_unused:UNUSED_PAD src0_sel:BYTE_0 src1_sel:DWORD
	v_or_b32_sdwa v188, v184, v179 dst_sel:DWORD dst_unused:UNUSED_PAD src0_sel:WORD_0 src1_sel:DWORD
	v_add_u32_e32 v179, 0x1098, v203
	ds_read2_b32 v[183:184], v179 offset1:1
	ds_read2_b32 v[186:187], v187 offset0:6 offset1:7
	s_waitcnt lgkmcnt(1)
	v_ashrrev_i32_e32 v179, s20, v183
	s_waitcnt lgkmcnt(0)
	v_ashrrev_i32_e32 v183, s17, v186
	v_lshlrev_b32_e32 v183, 2, v183
	v_and_b32_e32 v181, 0x3030303, v179
	v_bfe_u32 v179, v179, 24, 2
	v_and_b32_e32 v183, 0x4040404, v183
	v_sub_u16_e32 v186, v181, v183
	v_sub_u16_sdwa v189, v181, v183 dst_sel:BYTE_1 dst_unused:UNUSED_PAD src0_sel:BYTE_1 src1_sel:BYTE_1
	v_sub_u16_sdwa v179, v179, v183 dst_sel:BYTE_1 dst_unused:UNUSED_PAD src0_sel:DWORD src1_sel:BYTE_3
	v_sub_u16_sdwa v181, v181, v183 dst_sel:DWORD dst_unused:UNUSED_PAD src0_sel:WORD_1 src1_sel:WORD_1
	v_or_b32_sdwa v186, v186, v189 dst_sel:DWORD dst_unused:UNUSED_PAD src0_sel:BYTE_0 src1_sel:DWORD
	v_or_b32_sdwa v179, v181, v179 dst_sel:WORD_1 dst_unused:UNUSED_PAD src0_sel:BYTE_0 src1_sel:DWORD
	v_ashrrev_i32_e32 v183, s17, v187
	v_or_b32_sdwa v192, v186, v179 dst_sel:DWORD dst_unused:UNUSED_PAD src0_sel:WORD_0 src1_sel:DWORD
	v_ashrrev_i32_e32 v179, s20, v184
	v_lshlrev_b32_e32 v183, 2, v183
	v_and_b32_e32 v181, 0x3030303, v179
	v_bfe_u32 v179, v179, 24, 2
	v_and_b32_e32 v183, 0x4040404, v183
	v_sub_u16_e32 v184, v181, v183
	v_sub_u16_sdwa v186, v181, v183 dst_sel:BYTE_1 dst_unused:UNUSED_PAD src0_sel:BYTE_1 src1_sel:BYTE_1
	v_sub_u16_sdwa v179, v179, v183 dst_sel:BYTE_1 dst_unused:UNUSED_PAD src0_sel:DWORD src1_sel:BYTE_3
	v_sub_u16_sdwa v181, v181, v183 dst_sel:DWORD dst_unused:UNUSED_PAD src0_sel:WORD_1 src1_sel:WORD_1
	v_or_b32_sdwa v179, v181, v179 dst_sel:WORD_1 dst_unused:UNUSED_PAD src0_sel:BYTE_0 src1_sel:DWORD
	v_dot4_i32_i8 v181, v177, v38, 0
	v_dot4_i32_i8 v181, v178, v39, v181
	;; [unrolled: 1-line block ×5, first 2 shown]
	v_or_b32_sdwa v184, v184, v186 dst_sel:DWORD dst_unused:UNUSED_PAD src0_sel:BYTE_0 src1_sel:DWORD
	v_dot4_i32_i8 v181, v188, v35, v181
	v_or_b32_sdwa v195, v184, v179 dst_sel:DWORD dst_unused:UNUSED_PAD src0_sel:WORD_0 src1_sel:DWORD
	v_dot4_i32_i8 v181, v192, v36, v181
	v_add3_u32 v179, s22, v166, v126
	v_dot4_i32_i8 v210, v195, v37, v181
	v_add_u32_e32 v181, 0x2100, v203
	ds_read_b32 v179, v179
	ds_read2_b32 v[183:184], v181 offset1:1
	ds_read2_b32 v[186:187], v197 offset1:1
	s_waitcnt lgkmcnt(1)
	v_ashrrev_i32_e32 v181, s20, v183
	s_waitcnt lgkmcnt(0)
	v_ashrrev_i32_e32 v186, s17, v186
	v_lshlrev_b32_e32 v186, 2, v186
	v_and_b32_e32 v183, 0x3030303, v181
	v_bfe_u32 v181, v181, 24, 2
	v_and_b32_e32 v186, 0x4040404, v186
	v_sub_u16_e32 v189, v183, v186
	v_sub_u16_sdwa v190, v183, v186 dst_sel:BYTE_1 dst_unused:UNUSED_PAD src0_sel:BYTE_1 src1_sel:BYTE_1
	v_sub_u16_sdwa v181, v181, v186 dst_sel:BYTE_1 dst_unused:UNUSED_PAD src0_sel:DWORD src1_sel:BYTE_3
	v_sub_u16_sdwa v183, v183, v186 dst_sel:DWORD dst_unused:UNUSED_PAD src0_sel:WORD_1 src1_sel:WORD_1
	v_ashrrev_i32_e32 v186, s17, v187
	v_or_b32_sdwa v181, v183, v181 dst_sel:WORD_1 dst_unused:UNUSED_PAD src0_sel:BYTE_0 src1_sel:DWORD
	v_ashrrev_i32_e32 v183, s20, v184
	v_lshlrev_b32_e32 v186, 2, v186
	v_or_b32_sdwa v189, v189, v190 dst_sel:DWORD dst_unused:UNUSED_PAD src0_sel:BYTE_0 src1_sel:DWORD
	v_and_b32_e32 v184, 0x3030303, v183
	v_bfe_u32 v183, v183, 24, 2
	v_and_b32_e32 v186, 0x4040404, v186
	v_or_b32_sdwa v181, v189, v181 dst_sel:DWORD dst_unused:UNUSED_PAD src0_sel:WORD_0 src1_sel:DWORD
	v_sub_u16_e32 v187, v184, v186
	v_sub_u16_sdwa v189, v184, v186 dst_sel:BYTE_1 dst_unused:UNUSED_PAD src0_sel:BYTE_1 src1_sel:BYTE_1
	v_sub_u16_sdwa v183, v183, v186 dst_sel:BYTE_1 dst_unused:UNUSED_PAD src0_sel:DWORD src1_sel:BYTE_3
	v_sub_u16_sdwa v184, v184, v186 dst_sel:DWORD dst_unused:UNUSED_PAD src0_sel:WORD_1 src1_sel:WORD_1
	v_or_b32_sdwa v187, v187, v189 dst_sel:DWORD dst_unused:UNUSED_PAD src0_sel:BYTE_0 src1_sel:DWORD
	v_or_b32_sdwa v183, v184, v183 dst_sel:WORD_1 dst_unused:UNUSED_PAD src0_sel:BYTE_0 src1_sel:DWORD
	v_add_u32_e32 v184, 0x2108, v203
	v_or_b32_sdwa v183, v187, v183 dst_sel:DWORD dst_unused:UNUSED_PAD src0_sel:WORD_0 src1_sel:DWORD
	ds_read2_b32 v[186:187], v184 offset1:1
	ds_read2_b32 v[189:190], v197 offset0:2 offset1:3
	s_waitcnt lgkmcnt(1)
	v_ashrrev_i32_e32 v184, s20, v186
	s_waitcnt lgkmcnt(0)
	v_ashrrev_i32_e32 v189, s17, v189
	v_lshlrev_b32_e32 v189, 2, v189
	v_and_b32_e32 v186, 0x3030303, v184
	v_bfe_u32 v184, v184, 24, 2
	v_and_b32_e32 v189, 0x4040404, v189
	v_sub_u16_e32 v191, v186, v189
	v_sub_u16_sdwa v193, v186, v189 dst_sel:BYTE_1 dst_unused:UNUSED_PAD src0_sel:BYTE_1 src1_sel:BYTE_1
	v_sub_u16_sdwa v184, v184, v189 dst_sel:BYTE_1 dst_unused:UNUSED_PAD src0_sel:DWORD src1_sel:BYTE_3
	v_sub_u16_sdwa v186, v186, v189 dst_sel:DWORD dst_unused:UNUSED_PAD src0_sel:WORD_1 src1_sel:WORD_1
	v_or_b32_sdwa v191, v191, v193 dst_sel:DWORD dst_unused:UNUSED_PAD src0_sel:BYTE_0 src1_sel:DWORD
	v_or_b32_sdwa v184, v186, v184 dst_sel:WORD_1 dst_unused:UNUSED_PAD src0_sel:BYTE_0 src1_sel:DWORD
	v_ashrrev_i32_e32 v189, s17, v190
	v_or_b32_sdwa v186, v191, v184 dst_sel:DWORD dst_unused:UNUSED_PAD src0_sel:WORD_0 src1_sel:DWORD
	v_ashrrev_i32_e32 v184, s20, v187
	v_lshlrev_b32_e32 v189, 2, v189
	v_and_b32_e32 v187, 0x3030303, v184
	v_bfe_u32 v184, v184, 24, 2
	v_and_b32_e32 v189, 0x4040404, v189
	v_sub_u16_e32 v190, v187, v189
	v_sub_u16_sdwa v191, v187, v189 dst_sel:BYTE_1 dst_unused:UNUSED_PAD src0_sel:BYTE_1 src1_sel:BYTE_1
	v_sub_u16_sdwa v184, v184, v189 dst_sel:BYTE_1 dst_unused:UNUSED_PAD src0_sel:DWORD src1_sel:BYTE_3
	v_sub_u16_sdwa v187, v187, v189 dst_sel:DWORD dst_unused:UNUSED_PAD src0_sel:WORD_1 src1_sel:WORD_1
	v_or_b32_sdwa v190, v190, v191 dst_sel:DWORD dst_unused:UNUSED_PAD src0_sel:BYTE_0 src1_sel:DWORD
	v_or_b32_sdwa v184, v187, v184 dst_sel:WORD_1 dst_unused:UNUSED_PAD src0_sel:BYTE_0 src1_sel:DWORD
	v_or_b32_sdwa v189, v190, v184 dst_sel:DWORD dst_unused:UNUSED_PAD src0_sel:WORD_0 src1_sel:DWORD
	v_add_u32_e32 v184, 0x2110, v203
	ds_read2_b32 v[190:191], v184 offset1:1
	ds_read2_b32 v[193:194], v197 offset0:4 offset1:5
	s_waitcnt lgkmcnt(1)
	v_ashrrev_i32_e32 v184, s20, v190
	s_waitcnt lgkmcnt(0)
	v_ashrrev_i32_e32 v190, s17, v193
	v_lshlrev_b32_e32 v190, 2, v190
	v_and_b32_e32 v187, 0x3030303, v184
	v_bfe_u32 v184, v184, 24, 2
	v_and_b32_e32 v190, 0x4040404, v190
	v_sub_u16_e32 v193, v187, v190
	v_sub_u16_sdwa v196, v187, v190 dst_sel:BYTE_1 dst_unused:UNUSED_PAD src0_sel:BYTE_1 src1_sel:BYTE_1
	v_sub_u16_sdwa v184, v184, v190 dst_sel:BYTE_1 dst_unused:UNUSED_PAD src0_sel:DWORD src1_sel:BYTE_3
	v_sub_u16_sdwa v187, v187, v190 dst_sel:DWORD dst_unused:UNUSED_PAD src0_sel:WORD_1 src1_sel:WORD_1
	v_or_b32_sdwa v193, v193, v196 dst_sel:DWORD dst_unused:UNUSED_PAD src0_sel:BYTE_0 src1_sel:DWORD
	v_or_b32_sdwa v184, v187, v184 dst_sel:WORD_1 dst_unused:UNUSED_PAD src0_sel:BYTE_0 src1_sel:DWORD
	v_ashrrev_i32_e32 v190, s17, v194
	v_or_b32_sdwa v193, v193, v184 dst_sel:DWORD dst_unused:UNUSED_PAD src0_sel:WORD_0 src1_sel:DWORD
	v_ashrrev_i32_e32 v184, s20, v191
	v_lshlrev_b32_e32 v190, 2, v190
	v_and_b32_e32 v187, 0x3030303, v184
	v_bfe_u32 v184, v184, 24, 2
	v_and_b32_e32 v190, 0x4040404, v190
	v_sub_u16_e32 v191, v187, v190
	v_sub_u16_sdwa v194, v187, v190 dst_sel:BYTE_1 dst_unused:UNUSED_PAD src0_sel:BYTE_1 src1_sel:BYTE_1
	v_sub_u16_sdwa v184, v184, v190 dst_sel:BYTE_1 dst_unused:UNUSED_PAD src0_sel:DWORD src1_sel:BYTE_3
	v_sub_u16_sdwa v187, v187, v190 dst_sel:DWORD dst_unused:UNUSED_PAD src0_sel:WORD_1 src1_sel:WORD_1
	v_or_b32_sdwa v191, v191, v194 dst_sel:DWORD dst_unused:UNUSED_PAD src0_sel:BYTE_0 src1_sel:DWORD
	v_or_b32_sdwa v184, v187, v184 dst_sel:WORD_1 dst_unused:UNUSED_PAD src0_sel:BYTE_0 src1_sel:DWORD
	v_or_b32_sdwa v196, v191, v184 dst_sel:DWORD dst_unused:UNUSED_PAD src0_sel:WORD_0 src1_sel:DWORD
	v_add_u32_e32 v184, 0x2118, v203
	ds_read2_b32 v[190:191], v184 offset1:1
	s_waitcnt lgkmcnt(0)
	v_ashrrev_i32_e32 v184, s20, v190
	v_ashrrev_i32_e32 v190, s17, v198
	v_lshlrev_b32_e32 v190, 2, v190
	v_and_b32_e32 v187, 0x3030303, v184
	v_bfe_u32 v184, v184, 24, 2
	v_and_b32_e32 v190, 0x4040404, v190
	v_sub_u16_e32 v194, v187, v190
	v_sub_u16_sdwa v197, v187, v190 dst_sel:BYTE_1 dst_unused:UNUSED_PAD src0_sel:BYTE_1 src1_sel:BYTE_1
	v_sub_u16_sdwa v184, v184, v190 dst_sel:BYTE_1 dst_unused:UNUSED_PAD src0_sel:DWORD src1_sel:BYTE_3
	v_sub_u16_sdwa v187, v187, v190 dst_sel:DWORD dst_unused:UNUSED_PAD src0_sel:WORD_1 src1_sel:WORD_1
	v_or_b32_sdwa v194, v194, v197 dst_sel:DWORD dst_unused:UNUSED_PAD src0_sel:BYTE_0 src1_sel:DWORD
	v_or_b32_sdwa v184, v187, v184 dst_sel:WORD_1 dst_unused:UNUSED_PAD src0_sel:BYTE_0 src1_sel:DWORD
	v_ashrrev_i32_e32 v190, s17, v199
	v_or_b32_sdwa v198, v194, v184 dst_sel:DWORD dst_unused:UNUSED_PAD src0_sel:WORD_0 src1_sel:DWORD
	v_ashrrev_i32_e32 v184, s20, v191
	v_lshlrev_b32_e32 v190, 2, v190
	v_and_b32_e32 v187, 0x3030303, v184
	v_bfe_u32 v184, v184, 24, 2
	v_and_b32_e32 v190, 0x4040404, v190
	v_sub_u16_e32 v191, v187, v190
	v_sub_u16_sdwa v194, v187, v190 dst_sel:BYTE_1 dst_unused:UNUSED_PAD src0_sel:BYTE_1 src1_sel:BYTE_1
	v_sub_u16_sdwa v184, v184, v190 dst_sel:BYTE_1 dst_unused:UNUSED_PAD src0_sel:DWORD src1_sel:BYTE_3
	v_sub_u16_sdwa v187, v187, v190 dst_sel:DWORD dst_unused:UNUSED_PAD src0_sel:WORD_1 src1_sel:WORD_1
	v_or_b32_sdwa v184, v187, v184 dst_sel:WORD_1 dst_unused:UNUSED_PAD src0_sel:BYTE_0 src1_sel:DWORD
	v_dot4_i32_i8 v187, v181, v38, 0
	v_dot4_i32_i8 v187, v183, v39, v187
	;; [unrolled: 1-line block ×5, first 2 shown]
	v_or_b32_sdwa v191, v191, v194 dst_sel:DWORD dst_unused:UNUSED_PAD src0_sel:BYTE_0 src1_sel:DWORD
	v_dot4_i32_i8 v187, v196, v35, v187
	v_or_b32_sdwa v200, v191, v184 dst_sel:DWORD dst_unused:UNUSED_PAD src0_sel:WORD_0 src1_sel:DWORD
	v_dot4_i32_i8 v187, v198, v36, v187
	v_add3_u32 v184, s22, v168, v128
	v_dot4_i32_i8 v213, v200, v37, v187
	v_add_u32_e32 v187, 0x3180, v203
	ds_read_b32 v184, v184
	ds_read2_b32 v[190:191], v187 offset1:1
	v_ashrrev_i32_e32 v194, s17, v201
	v_lshlrev_b32_e32 v194, 2, v194
	v_and_b32_e32 v194, 0x4040404, v194
	s_waitcnt lgkmcnt(0)
	v_ashrrev_i32_e32 v187, s20, v190
	v_and_b32_e32 v190, 0x3030303, v187
	v_bfe_u32 v187, v187, 24, 2
	v_sub_u16_e32 v197, v190, v194
	v_sub_u16_sdwa v199, v190, v194 dst_sel:BYTE_1 dst_unused:UNUSED_PAD src0_sel:BYTE_1 src1_sel:BYTE_1
	v_sub_u16_sdwa v187, v187, v194 dst_sel:BYTE_1 dst_unused:UNUSED_PAD src0_sel:DWORD src1_sel:BYTE_3
	v_sub_u16_sdwa v190, v190, v194 dst_sel:DWORD dst_unused:UNUSED_PAD src0_sel:WORD_1 src1_sel:WORD_1
	v_ashrrev_i32_e32 v194, s17, v202
	v_or_b32_sdwa v187, v190, v187 dst_sel:WORD_1 dst_unused:UNUSED_PAD src0_sel:BYTE_0 src1_sel:DWORD
	v_ashrrev_i32_e32 v190, s20, v191
	v_lshlrev_b32_e32 v194, 2, v194
	v_or_b32_sdwa v197, v197, v199 dst_sel:DWORD dst_unused:UNUSED_PAD src0_sel:BYTE_0 src1_sel:DWORD
	v_and_b32_e32 v191, 0x3030303, v190
	v_bfe_u32 v190, v190, 24, 2
	v_and_b32_e32 v194, 0x4040404, v194
	v_or_b32_sdwa v187, v197, v187 dst_sel:DWORD dst_unused:UNUSED_PAD src0_sel:WORD_0 src1_sel:DWORD
	v_sub_u16_e32 v197, v191, v194
	v_sub_u16_sdwa v199, v191, v194 dst_sel:BYTE_1 dst_unused:UNUSED_PAD src0_sel:BYTE_1 src1_sel:BYTE_1
	v_sub_u16_sdwa v190, v190, v194 dst_sel:BYTE_1 dst_unused:UNUSED_PAD src0_sel:DWORD src1_sel:BYTE_3
	v_sub_u16_sdwa v191, v191, v194 dst_sel:DWORD dst_unused:UNUSED_PAD src0_sel:WORD_1 src1_sel:WORD_1
	v_or_b32_sdwa v190, v191, v190 dst_sel:WORD_1 dst_unused:UNUSED_PAD src0_sel:BYTE_0 src1_sel:DWORD
	v_add_u32_e32 v191, 0x3188, v203
	ds_read2_b32 v[201:202], v191 offset1:1
	v_or_b32_sdwa v197, v197, v199 dst_sel:DWORD dst_unused:UNUSED_PAD src0_sel:BYTE_0 src1_sel:DWORD
	v_or_b32_sdwa v190, v197, v190 dst_sel:DWORD dst_unused:UNUSED_PAD src0_sel:WORD_0 src1_sel:DWORD
	v_ashrrev_i32_e32 v197, s17, v214
	v_lshlrev_b32_e32 v197, 2, v197
	s_waitcnt lgkmcnt(0)
	v_ashrrev_i32_e32 v191, s20, v201
	v_and_b32_e32 v194, 0x3030303, v191
	v_bfe_u32 v191, v191, 24, 2
	v_and_b32_e32 v197, 0x4040404, v197
	v_sub_u16_e32 v199, v194, v197
	v_sub_u16_sdwa v201, v194, v197 dst_sel:BYTE_1 dst_unused:UNUSED_PAD src0_sel:BYTE_1 src1_sel:BYTE_1
	v_sub_u16_sdwa v191, v191, v197 dst_sel:BYTE_1 dst_unused:UNUSED_PAD src0_sel:DWORD src1_sel:BYTE_3
	v_sub_u16_sdwa v194, v194, v197 dst_sel:DWORD dst_unused:UNUSED_PAD src0_sel:WORD_1 src1_sel:WORD_1
	v_or_b32_sdwa v199, v199, v201 dst_sel:DWORD dst_unused:UNUSED_PAD src0_sel:BYTE_0 src1_sel:DWORD
	v_or_b32_sdwa v191, v194, v191 dst_sel:WORD_1 dst_unused:UNUSED_PAD src0_sel:BYTE_0 src1_sel:DWORD
	v_or_b32_sdwa v194, v199, v191 dst_sel:DWORD dst_unused:UNUSED_PAD src0_sel:WORD_0 src1_sel:DWORD
	v_ashrrev_i32_e32 v199, s17, v215
	v_ashrrev_i32_e32 v191, s20, v202
	v_lshlrev_b32_e32 v199, 2, v199
	v_and_b32_e32 v197, 0x3030303, v191
	v_bfe_u32 v191, v191, 24, 2
	v_and_b32_e32 v199, 0x4040404, v199
	v_sub_u16_e32 v201, v197, v199
	v_sub_u16_sdwa v202, v197, v199 dst_sel:BYTE_1 dst_unused:UNUSED_PAD src0_sel:BYTE_1 src1_sel:BYTE_1
	v_sub_u16_sdwa v191, v191, v199 dst_sel:BYTE_1 dst_unused:UNUSED_PAD src0_sel:DWORD src1_sel:BYTE_3
	v_sub_u16_sdwa v197, v197, v199 dst_sel:DWORD dst_unused:UNUSED_PAD src0_sel:WORD_1 src1_sel:WORD_1
	v_or_b32_sdwa v201, v201, v202 dst_sel:DWORD dst_unused:UNUSED_PAD src0_sel:BYTE_0 src1_sel:DWORD
	v_or_b32_sdwa v191, v197, v191 dst_sel:WORD_1 dst_unused:UNUSED_PAD src0_sel:BYTE_0 src1_sel:DWORD
	v_or_b32_sdwa v197, v201, v191 dst_sel:DWORD dst_unused:UNUSED_PAD src0_sel:WORD_0 src1_sel:DWORD
	v_add_u32_e32 v191, 0x3190, v203
	ds_read2_b32 v[201:202], v191 offset1:1
	ds_read2_b32 v[214:215], v216 offset0:4 offset1:5
	v_dot4_i32_i8 v38, v187, v38, 0
	v_dot4_i32_i8 v38, v190, v39, v38
	;; [unrolled: 1-line block ×3, first 2 shown]
	s_waitcnt lgkmcnt(1)
	v_ashrrev_i32_e32 v191, s20, v201
	s_waitcnt lgkmcnt(0)
	v_ashrrev_i32_e32 v201, s17, v214
	v_lshlrev_b32_e32 v201, 2, v201
	v_and_b32_e32 v199, 0x3030303, v191
	v_bfe_u32 v191, v191, 24, 2
	v_and_b32_e32 v201, 0x4040404, v201
	v_sub_u16_e32 v214, v199, v201
	v_sub_u16_sdwa v217, v199, v201 dst_sel:BYTE_1 dst_unused:UNUSED_PAD src0_sel:BYTE_1 src1_sel:BYTE_1
	v_sub_u16_sdwa v191, v191, v201 dst_sel:BYTE_1 dst_unused:UNUSED_PAD src0_sel:DWORD src1_sel:BYTE_3
	v_sub_u16_sdwa v199, v199, v201 dst_sel:DWORD dst_unused:UNUSED_PAD src0_sel:WORD_1 src1_sel:WORD_1
	v_or_b32_sdwa v214, v214, v217 dst_sel:DWORD dst_unused:UNUSED_PAD src0_sel:BYTE_0 src1_sel:DWORD
	v_or_b32_sdwa v191, v199, v191 dst_sel:WORD_1 dst_unused:UNUSED_PAD src0_sel:BYTE_0 src1_sel:DWORD
	v_or_b32_sdwa v199, v214, v191 dst_sel:DWORD dst_unused:UNUSED_PAD src0_sel:WORD_0 src1_sel:DWORD
	v_ashrrev_i32_e32 v191, s20, v202
	v_ashrrev_i32_e32 v202, s17, v215
	v_lshlrev_b32_e32 v202, 2, v202
	v_and_b32_e32 v201, 0x3030303, v191
	v_bfe_u32 v191, v191, 24, 2
	v_and_b32_e32 v202, 0x4040404, v202
	v_sub_u16_e32 v214, v201, v202
	v_sub_u16_sdwa v215, v201, v202 dst_sel:BYTE_1 dst_unused:UNUSED_PAD src0_sel:BYTE_1 src1_sel:BYTE_1
	v_sub_u16_sdwa v191, v191, v202 dst_sel:BYTE_1 dst_unused:UNUSED_PAD src0_sel:DWORD src1_sel:BYTE_3
	v_sub_u16_sdwa v201, v201, v202 dst_sel:DWORD dst_unused:UNUSED_PAD src0_sel:WORD_1 src1_sel:WORD_1
	v_or_b32_sdwa v214, v214, v215 dst_sel:DWORD dst_unused:UNUSED_PAD src0_sel:BYTE_0 src1_sel:DWORD
	v_or_b32_sdwa v191, v201, v191 dst_sel:WORD_1 dst_unused:UNUSED_PAD src0_sel:BYTE_0 src1_sel:DWORD
	v_or_b32_sdwa v201, v214, v191 dst_sel:DWORD dst_unused:UNUSED_PAD src0_sel:WORD_0 src1_sel:DWORD
	v_add_u32_e32 v191, 0x3198, v203
	ds_read2_b32 v[202:203], v191 offset1:1
	ds_read2_b32 v[214:215], v216 offset0:6 offset1:7
	v_dot4_i32_i8 v34, v199, v34, 0
	v_dot4_i32_i8 v34, v201, v35, v34
	;; [unrolled: 1-line block ×3, first 2 shown]
	s_waitcnt lgkmcnt(1)
	v_ashrrev_i32_e32 v191, s20, v202
	s_waitcnt lgkmcnt(0)
	v_ashrrev_i32_e32 v214, s17, v214
	v_lshlrev_b32_e32 v214, 2, v214
	v_and_b32_e32 v202, 0x3030303, v191
	v_bfe_u32 v191, v191, 24, 2
	v_and_b32_e32 v214, 0x4040404, v214
	v_sub_u16_e32 v216, v202, v214
	v_sub_u16_sdwa v217, v202, v214 dst_sel:BYTE_1 dst_unused:UNUSED_PAD src0_sel:BYTE_1 src1_sel:BYTE_1
	v_sub_u16_sdwa v191, v191, v214 dst_sel:BYTE_1 dst_unused:UNUSED_PAD src0_sel:DWORD src1_sel:BYTE_3
	v_sub_u16_sdwa v202, v202, v214 dst_sel:DWORD dst_unused:UNUSED_PAD src0_sel:WORD_1 src1_sel:WORD_1
	v_or_b32_sdwa v216, v216, v217 dst_sel:DWORD dst_unused:UNUSED_PAD src0_sel:BYTE_0 src1_sel:DWORD
	v_or_b32_sdwa v191, v202, v191 dst_sel:WORD_1 dst_unused:UNUSED_PAD src0_sel:BYTE_0 src1_sel:DWORD
	v_ashrrev_i32_e32 v214, s17, v215
	v_or_b32_sdwa v202, v216, v191 dst_sel:DWORD dst_unused:UNUSED_PAD src0_sel:WORD_0 src1_sel:DWORD
	v_ashrrev_i32_e32 v191, s20, v203
	v_lshlrev_b32_e32 v214, 2, v214
	v_and_b32_e32 v203, 0x3030303, v191
	v_bfe_u32 v191, v191, 24, 2
	v_and_b32_e32 v214, 0x4040404, v214
	v_sub_u16_e32 v215, v203, v214
	v_sub_u16_sdwa v216, v203, v214 dst_sel:BYTE_1 dst_unused:UNUSED_PAD src0_sel:BYTE_1 src1_sel:BYTE_1
	v_sub_u16_sdwa v191, v191, v214 dst_sel:BYTE_1 dst_unused:UNUSED_PAD src0_sel:DWORD src1_sel:BYTE_3
	v_sub_u16_sdwa v203, v203, v214 dst_sel:DWORD dst_unused:UNUSED_PAD src0_sel:WORD_1 src1_sel:WORD_1
	v_or_b32_sdwa v215, v215, v216 dst_sel:DWORD dst_unused:UNUSED_PAD src0_sel:BYTE_0 src1_sel:DWORD
	v_or_b32_sdwa v191, v203, v191 dst_sel:WORD_1 dst_unused:UNUSED_PAD src0_sel:BYTE_0 src1_sel:DWORD
	v_or_b32_sdwa v203, v215, v191 dst_sel:DWORD dst_unused:UNUSED_PAD src0_sel:WORD_0 src1_sel:DWORD
	v_add3_u32 v191, s22, v170, v130
	ds_read_b32 v191, v191
	ds_read_b128 v[215:218], v174 offset:1024
	ds_read_b128 v[219:222], v174 offset:1040
	v_dot4_i32_i8 v34, v202, v36, v34
	v_dot4_i32_i8 v34, v203, v37, v34
	v_add_u32_e32 v214, s19, v140
	s_waitcnt lgkmcnt(1)
	v_dot4_i32_i8 v35, v65, v215, 0
	v_dot4_i32_i8 v35, v66, v216, v35
	;; [unrolled: 1-line block ×4, first 2 shown]
	s_waitcnt lgkmcnt(0)
	v_dot4_i32_i8 v35, v69, v219, 0
	v_dot4_i32_i8 v35, v204, v220, v35
	;; [unrolled: 1-line block ×28, first 2 shown]
	ds_read2_b32 v[35:36], v175 offset0:64 offset1:96
	ds_read_b128 v[215:218], v174 offset:2048
	ds_read_b128 v[219:222], v174 offset:2064
	s_add_i32 s17, s17, 1
	s_cmp_lt_u32 s18, 30
	s_mov_b32 s19, s18
	s_waitcnt lgkmcnt(1)
	v_dot4_i32_i8 v39, v65, v215, 0
	v_dot4_i32_i8 v39, v66, v216, v39
	;; [unrolled: 1-line block ×4, first 2 shown]
	s_waitcnt lgkmcnt(0)
	v_dot4_i32_i8 v39, v69, v219, 0
	v_dot4_i32_i8 v39, v204, v220, v39
	;; [unrolled: 1-line block ×28, first 2 shown]
	ds_read_b128 v[217:220], v174 offset:3072
	ds_read_b128 v[221:224], v174 offset:3088
	s_waitcnt lgkmcnt(1)
	v_dot4_i32_i8 v39, v65, v217, 0
	v_dot4_i32_i8 v39, v66, v218, v39
	v_dot4_i32_i8 v39, v67, v219, v39
	v_dot4_i32_i8 v40, v68, v220, v39
	s_waitcnt lgkmcnt(0)
	v_dot4_i32_i8 v39, v69, v221, 0
	v_dot4_i32_i8 v39, v204, v222, v39
	;; [unrolled: 1-line block ×4, first 2 shown]
	ds_read_u16 v39, v64 offset:33522
	s_waitcnt lgkmcnt(0)
	v_lshrrev_b16_e32 v64, 8, v39
	v_bfe_i32 v227, v64, 0, 8
	v_bfe_i32 v228, v39, 0, 8
	v_mul_lo_u32 v37, v37, v228
	v_mul_lo_u32 v41, v41, v227
	;; [unrolled: 1-line block ×4, first 2 shown]
	v_mad_u64_u32 v[215:216], s[20:21], v226, v228, v[41:42]
	v_mad_u64_u32 v[225:226], s[20:21], v225, v227, v[37:38]
                                        ; kill: def $vgpr41 killed $sgpr0 killed $exec
	v_mul_f32_e32 v37, v176, v62
	v_mad_u64_u32 v[40:41], s[20:21], v241, v227, v[40:41]
	v_cvt_f32_i32_e32 v207, v225
	v_mul_f32_e32 v41, v176, v36
	v_mad_u64_u32 v[63:64], s[20:21], v63, v228, v[39:40]
	v_cvt_f32_i32_e32 v40, v40
	v_fmac_f32_e32 v18, v37, v207
	v_dot4_i32_i8 v37, v177, v217, 0
	v_dot4_i32_i8 v37, v178, v218, v37
	;; [unrolled: 1-line block ×3, first 2 shown]
	v_fma_f32 v20, v41, v40, v20
	v_dot4_i32_i8 v40, v182, v220, v37
	v_dot4_i32_i8 v37, v185, v221, 0
	;; [unrolled: 1-line block ×5, first 2 shown]
	ds_read_u16 v37, v209 offset:34546
	v_cvt_f32_i32_e32 v63, v63
	v_cvt_f32_i32_e32 v215, v215
	v_mul_f32_e32 v39, v176, v61
	v_mul_f32_e32 v64, v176, v35
	v_fma_f32 v19, v39, v63, v19
	s_waitcnt lgkmcnt(0)
	v_lshrrev_b16_e32 v39, 8, v37
	v_fma_f32 v21, v64, v215, v21
	v_bfe_i32 v215, v39, 0, 8
	v_bfe_i32 v216, v37, 0, 8
	v_mul_lo_u32 v41, v236, v215
	v_mul_lo_u32 v40, v40, v216
	;; [unrolled: 1-line block ×4, first 2 shown]
	v_mad_u64_u32 v[63:64], s[20:21], v235, v216, v[41:42]
                                        ; kill: def $vgpr41 killed $sgpr0 killed $exec
	v_mul_f32_e32 v64, v179, v35
	v_mad_u64_u32 v[40:41], s[20:21], v207, v215, v[40:41]
	v_mul_f32_e32 v41, v179, v36
	v_cvt_f32_i32_e32 v63, v63
	v_mad_u64_u32 v[207:208], s[20:21], v208, v216, v[39:40]
	v_mad_u64_u32 v[208:209], s[20:21], v230, v215, v[37:38]
	v_mul_f32_e32 v37, v179, v62
	v_cvt_f32_i32_e32 v40, v40
	v_cvt_f32_i32_e32 v208, v208
	;; [unrolled: 1-line block ×3, first 2 shown]
	v_mul_f32_e32 v39, v179, v61
	v_fma_f32 v32, v41, v40, v32
	v_fmac_f32_e32 v30, v37, v208
	v_dot4_i32_i8 v37, v181, v217, 0
	v_dot4_i32_i8 v37, v183, v218, v37
	v_dot4_i32_i8 v37, v186, v219, v37
	v_dot4_i32_i8 v40, v189, v220, v37
	v_dot4_i32_i8 v37, v193, v221, 0
	v_dot4_i32_i8 v37, v196, v222, v37
	v_dot4_i32_i8 v37, v198, v223, v37
	v_fma_f32 v31, v39, v207, v31
	v_dot4_i32_i8 v207, v200, v224, v37
	ds_read_u16 v37, v212 offset:35570
	v_fma_f32 v33, v64, v63, v33
	s_waitcnt lgkmcnt(0)
	v_lshrrev_b16_e32 v39, 8, v37
	v_bfe_i32 v209, v39, 0, 8
	v_bfe_i32 v210, v37, 0, 8
	v_mul_lo_u32 v41, v238, v209
	v_mul_lo_u32 v40, v40, v210
	;; [unrolled: 1-line block ×4, first 2 shown]
	v_mad_u64_u32 v[63:64], s[20:21], v237, v210, v[41:42]
                                        ; kill: def $vgpr41 killed $sgpr0 killed $exec
	v_mul_f32_e32 v64, v184, v35
	v_mad_u64_u32 v[40:41], s[20:21], v207, v209, v[40:41]
	v_cvt_f32_i32_e32 v63, v63
	v_mul_f32_e32 v41, v184, v36
	v_mad_u64_u32 v[207:208], s[20:21], v211, v210, v[39:40]
	v_mad_u64_u32 v[211:212], s[20:21], v232, v209, v[37:38]
	v_mul_f32_e32 v37, v184, v62
	v_cvt_f32_i32_e32 v207, v207
	v_cvt_f32_i32_e32 v208, v211
	v_mul_f32_e32 v39, v184, v61
	v_fma_f32 v29, v64, v63, v29
	v_fma_f32 v27, v39, v207, v27
	v_fmac_f32_e32 v26, v37, v208
	v_dot4_i32_i8 v37, v187, v217, 0
	v_dot4_i32_i8 v37, v190, v218, v37
	v_dot4_i32_i8 v37, v194, v219, v37
	v_dot4_i32_i8 v39, v197, v220, v37
	v_dot4_i32_i8 v37, v199, v221, 0
	v_dot4_i32_i8 v37, v201, v222, v37
	v_dot4_i32_i8 v37, v202, v223, v37
	v_dot4_i32_i8 v63, v203, v224, v37
	ds_read_u16 v37, v214 offset:36594
	v_cvt_f32_i32_e32 v40, v40
	v_mul_f32_e32 v36, v191, v36
	v_fma_f32 v28, v41, v40, v28
	s_waitcnt lgkmcnt(0)
	v_lshrrev_b16_e32 v40, 8, v37
	v_bfe_i32 v207, v40, 0, 8
	v_mul_lo_u32 v40, v240, v207
	v_bfe_i32 v208, v37, 0, 8
                                        ; kill: def $vgpr41 killed $sgpr0 killed $exec
	v_mul_lo_u32 v34, v34, v207
	v_mul_lo_u32 v39, v39, v208
	v_mad_u64_u32 v[40:41], s[20:21], v239, v208, v[40:41]
	v_mul_lo_u32 v37, v233, v208
	v_mad_u64_u32 v[63:64], s[20:21], v63, v207, v[39:40]
	v_mad_u64_u32 v[38:39], s[20:21], v38, v208, v[34:35]
	v_cvt_f32_i32_e32 v41, v63
	v_cvt_f32_i32_e32 v40, v40
	v_mad_u64_u32 v[211:212], s[20:21], v234, v207, v[37:38]
	v_cvt_f32_i32_e32 v38, v38
	v_mul_f32_e32 v34, v191, v62
	v_cvt_f32_i32_e32 v39, v211
	v_mul_f32_e32 v37, v191, v61
	v_mul_f32_e32 v35, v191, v35
	v_fma_f32 v25, v35, v40, v25
	v_fma_f32 v24, v36, v41, v24
	;; [unrolled: 1-line block ×3, first 2 shown]
	v_fmac_f32_e32 v22, v34, v39
	ds_read2_b32 v[61:62], v175 offset0:128 offset1:160
	ds_read_b128 v[34:37], v174 offset:4096
	ds_read_b128 v[38:41], v174 offset:4112
	s_waitcnt lgkmcnt(1)
	v_dot4_i32_i8 v63, v65, v34, 0
	v_dot4_i32_i8 v63, v66, v35, v63
	;; [unrolled: 1-line block ×4, first 2 shown]
	s_waitcnt lgkmcnt(0)
	v_dot4_i32_i8 v63, v69, v38, 0
	v_dot4_i32_i8 v63, v204, v39, v63
	;; [unrolled: 1-line block ×28, first 2 shown]
	ds_read_b128 v[34:37], v174 offset:5120
	ds_read_b128 v[38:41], v174 offset:5136
	s_waitcnt lgkmcnt(1)
	v_dot4_i32_i8 v63, v65, v34, 0
	v_dot4_i32_i8 v63, v66, v35, v63
	;; [unrolled: 1-line block ×4, first 2 shown]
	s_waitcnt lgkmcnt(0)
	v_dot4_i32_i8 v63, v69, v38, 0
	v_dot4_i32_i8 v63, v204, v39, v63
	;; [unrolled: 1-line block ×28, first 2 shown]
	ds_read2_b32 v[63:64], v175 offset0:192 offset1:224
	ds_read_b128 v[34:37], v174 offset:6144
	ds_read_b128 v[38:41], v174 offset:6160
	v_add_u32_e32 v175, 4, v175
	s_waitcnt lgkmcnt(1)
	v_dot4_i32_i8 v223, v65, v34, 0
	v_dot4_i32_i8 v223, v66, v35, v223
	v_dot4_i32_i8 v223, v67, v36, v223
	v_dot4_i32_i8 v237, v68, v37, v223
	s_waitcnt lgkmcnt(0)
	v_dot4_i32_i8 v223, v69, v38, 0
	v_dot4_i32_i8 v223, v204, v39, v223
	;; [unrolled: 1-line block ×28, first 2 shown]
	ds_read_b128 v[38:41], v174 offset:7168
	ds_read_b128 v[34:37], v174 offset:7184
	v_add_u32_e32 v174, 32, v174
	s_waitcnt lgkmcnt(1)
	v_dot4_i32_i8 v65, v65, v38, 0
	v_dot4_i32_i8 v65, v66, v39, v65
	;; [unrolled: 1-line block ×4, first 2 shown]
	s_waitcnt lgkmcnt(0)
	v_dot4_i32_i8 v66, v69, v34, 0
	v_mul_lo_u32 v67, v65, v228
	v_mul_lo_u32 v65, v238, v227
	v_dot4_i32_i8 v66, v204, v35, v66
	v_mul_lo_u32 v68, v234, v227
	v_dot4_i32_i8 v66, v205, v36, v66
	;; [unrolled: 2-line block ×3, first 2 shown]
                                        ; kill: def $vgpr66 killed $sgpr0 killed $exec
	v_mul_f32_e32 v205, v176, v64
	v_mad_u64_u32 v[65:66], s[20:21], v237, v228, v[65:66]
	v_mad_u64_u32 v[66:67], s[20:21], v204, v227, v[67:68]
	v_mad_u64_u32 v[67:68], s[20:21], v233, v228, v[68:69]
	v_mad_u64_u32 v[68:69], s[20:21], v236, v227, v[69:70]
	v_cvt_f32_i32_e32 v65, v65
	v_mul_f32_e32 v69, v176, v62
	v_cvt_f32_i32_e32 v68, v68
	v_mul_f32_e32 v204, v176, v61
	v_mul_f32_e32 v176, v176, v63
	v_cvt_f32_i32_e32 v67, v67
	v_fma_f32 v17, v176, v65, v17
	v_fmac_f32_e32 v14, v69, v68
	v_dot4_i32_i8 v65, v177, v38, 0
	v_mul_lo_u32 v68, v232, v215
	v_cvt_f32_i32_e32 v66, v66
	v_dot4_i32_i8 v65, v178, v39, v65
	v_dot4_i32_i8 v65, v180, v40, v65
	v_fma_f32 v15, v204, v67, v15
	v_dot4_i32_i8 v67, v182, v41, v65
                                        ; kill: def $vgpr69 killed $sgpr0 killed $exec
	v_dot4_i32_i8 v65, v185, v34, 0
	v_mul_lo_u32 v67, v67, v216
	v_mad_u64_u32 v[68:69], s[20:21], v231, v216, v[68:69]
	v_fma_f32 v16, v205, v66, v16
	v_dot4_i32_i8 v65, v188, v35, v65
	v_mul_lo_u32 v66, v222, v215
	v_dot4_i32_i8 v65, v192, v36, v65
	v_dot4_i32_i8 v176, v195, v37, v65
	v_mad_u64_u32 v[176:177], s[20:21], v176, v215, v[67:68]
                                        ; kill: def $vgpr67 killed $sgpr0 killed $exec
	v_mul_lo_u32 v65, v226, v216
	v_mad_u64_u32 v[66:67], s[20:21], v221, v216, v[66:67]
	v_mul_f32_e32 v67, v179, v61
	v_cvt_f32_i32_e32 v176, v176
	v_mad_u64_u32 v[177:178], s[20:21], v225, v215, v[65:66]
	v_mul_f32_e32 v65, v179, v62
	v_cvt_f32_i32_e32 v66, v66
	v_cvt_f32_i32_e32 v177, v177
	;; [unrolled: 1-line block ×3, first 2 shown]
	v_mul_f32_e32 v69, v179, v64
	v_fma_f32 v11, v67, v66, v11
	v_fmac_f32_e32 v10, v65, v177
	v_dot4_i32_i8 v65, v181, v38, 0
	v_dot4_i32_i8 v65, v183, v39, v65
	;; [unrolled: 1-line block ×8, first 2 shown]
	v_mul_f32_e32 v178, v179, v63
	v_dot4_i32_i8 v65, v198, v36, v65
	v_dot4_i32_i8 v38, v187, v38, 0
	;; [unrolled: 1-line block ×3, first 2 shown]
	v_fma_f32 v13, v178, v68, v13
	v_fma_f32 v12, v69, v176, v12
	v_dot4_i32_i8 v176, v200, v37, v65
	v_mul_lo_u32 v68, v230, v209
	v_dot4_i32_i8 v38, v190, v39, v38
	v_dot4_i32_i8 v39, v203, v37, v34
	v_mul_lo_u32 v37, v224, v207
	v_dot4_i32_i8 v38, v194, v40, v38
	v_dot4_i32_i8 v38, v197, v41, v38
                                        ; kill: def $vgpr69 killed $sgpr0 killed $exec
	v_mul_lo_u32 v36, v38, v208
                                        ; kill: def $vgpr38 killed $sgpr0 killed $exec
	v_mul_lo_u32 v67, v67, v210
	v_mad_u64_u32 v[68:69], s[20:21], v229, v210, v[68:69]
	v_mad_u64_u32 v[37:38], s[20:21], v223, v208, v[37:38]
	v_mul_lo_u32 v66, v218, v209
	v_mul_lo_u32 v35, v212, v207
	v_mad_u64_u32 v[176:177], s[20:21], v176, v209, v[67:68]
                                        ; kill: def $vgpr67 killed $sgpr0 killed $exec
	v_mad_u64_u32 v[38:39], s[20:21], v39, v207, v[36:37]
                                        ; kill: def $vgpr36 killed $sgpr0 killed $exec
	v_mul_lo_u32 v65, v220, v210
	v_mad_u64_u32 v[66:67], s[20:21], v217, v210, v[66:67]
	v_mul_lo_u32 v34, v214, v208
	v_mad_u64_u32 v[35:36], s[20:21], v211, v208, v[35:36]
	v_mad_u64_u32 v[177:178], s[20:21], v219, v209, v[65:66]
	;; [unrolled: 1-line block ×3, first 2 shown]
	v_cvt_f32_i32_e32 v177, v177
	v_cvt_f32_i32_e32 v66, v66
	;; [unrolled: 1-line block ×8, first 2 shown]
	v_mul_f32_e32 v65, v184, v62
	v_mul_f32_e32 v67, v184, v61
	;; [unrolled: 1-line block ×8, first 2 shown]
	v_fma_f32 v9, v178, v68, v9
	v_fma_f32 v8, v69, v176, v8
	;; [unrolled: 1-line block ×3, first 2 shown]
	v_fmac_f32_e32 v6, v65, v177
	v_fma_f32 v5, v41, v37, v5
	v_fma_f32 v4, v40, v38, v4
	;; [unrolled: 1-line block ×3, first 2 shown]
	v_fmac_f32_e32 v2, v34, v39
	s_cbranch_scc1 .LBB170_14
; %bb.15:                               ;   in Loop: Header=BB170_6 Depth=1
	s_barrier
	s_branch .LBB170_5
.LBB170_16:
	v_mov_b32_e32 v34, v70
.LBB170_17:
	v_cmp_gt_u32_e32 vcc, s10, v34
	s_and_saveexec_b64 s[0:1], vcc
	s_cbranch_execz .LBB170_68
; %bb.18:
	v_mul_lo_u32 v34, v34, s14
	v_add_u32_e32 v0, s6, v0
	v_cmp_gt_u32_e64 s[0:1], s14, v0
	s_and_saveexec_b64 s[2:3], s[0:1]
	s_cbranch_execz .LBB170_20
; %bb.19:
	v_bfe_u32 v35, v19, 16, 1
	s_movk_i32 s4, 0x7fff
	v_add3_u32 v35, v19, v35, s4
	v_cmp_o_f32_e32 vcc, v19, v19
	v_mov_b32_e32 v19, 0x7fc0
	v_cndmask_b32_sdwa v19, v19, v35, vcc dst_sel:DWORD dst_unused:UNUSED_PAD src0_sel:DWORD src1_sel:WORD_1
	v_add_u32_e32 v35, v0, v34
	v_mov_b32_e32 v36, 0
	v_lshlrev_b64 v[35:36], 1, v[35:36]
	s_waitcnt lgkmcnt(0)
	v_mov_b32_e32 v37, s13
	v_add_co_u32_e32 v35, vcc, s12, v35
	v_addc_co_u32_e32 v36, vcc, v37, v36, vcc
	global_store_short v[35:36], v19, off
.LBB170_20:
	s_or_b64 exec, exec, s[2:3]
	v_add_u32_e32 v19, 32, v0
	v_cmp_gt_u32_e64 s[2:3], s14, v19
	s_and_saveexec_b64 s[4:5], s[2:3]
	s_cbranch_execz .LBB170_22
; %bb.21:
	v_bfe_u32 v35, v31, 16, 1
	s_movk_i32 s6, 0x7fff
	v_add3_u32 v35, v31, v35, s6
	v_cmp_o_f32_e32 vcc, v31, v31
	v_mov_b32_e32 v31, 0x7fc0
	v_cndmask_b32_sdwa v31, v31, v35, vcc dst_sel:DWORD dst_unused:UNUSED_PAD src0_sel:DWORD src1_sel:WORD_1
	v_add_u32_e32 v35, v19, v34
	v_mov_b32_e32 v36, 0
	v_lshlrev_b64 v[35:36], 1, v[35:36]
	s_waitcnt lgkmcnt(0)
	v_mov_b32_e32 v37, s13
	v_add_co_u32_e32 v35, vcc, s12, v35
	v_addc_co_u32_e32 v36, vcc, v37, v36, vcc
	global_store_short v[35:36], v31, off
.LBB170_22:
	s_or_b64 exec, exec, s[4:5]
	;; [unrolled: 21-line block ×4, first 2 shown]
	v_add3_u32 v23, v1, s15, 8
	v_cmp_gt_u32_e32 vcc, s10, v23
	s_and_b64 exec, exec, vcc
	s_cbranch_execz .LBB170_68
; %bb.27:
	v_mul_lo_u32 v23, v23, s14
	s_and_saveexec_b64 s[8:9], s[0:1]
	s_cbranch_execnz .LBB170_69
; %bb.28:
	s_or_b64 exec, exec, s[8:9]
	s_and_saveexec_b64 s[8:9], s[2:3]
	s_cbranch_execnz .LBB170_70
.LBB170_29:
	s_or_b64 exec, exec, s[8:9]
	s_and_saveexec_b64 s[8:9], s[4:5]
	s_cbranch_execnz .LBB170_71
.LBB170_30:
	s_or_b64 exec, exec, s[8:9]
	s_and_saveexec_b64 s[8:9], s[6:7]
	s_cbranch_execz .LBB170_32
.LBB170_31:
	v_bfe_u32 v18, v22, 16, 1
	s_movk_i32 s11, 0x7fff
	v_add3_u32 v18, v22, v18, s11
	v_cmp_o_f32_e32 vcc, v22, v22
	v_mov_b32_e32 v22, 0x7fc0
	v_cndmask_b32_sdwa v18, v22, v18, vcc dst_sel:DWORD dst_unused:UNUSED_PAD src0_sel:DWORD src1_sel:WORD_1
	v_add_u32_e32 v22, v23, v27
	v_mov_b32_e32 v23, 0
	v_lshlrev_b64 v[22:23], 1, v[22:23]
	s_waitcnt lgkmcnt(0)
	v_mov_b32_e32 v26, s13
	v_add_co_u32_e32 v22, vcc, s12, v22
	v_addc_co_u32_e32 v23, vcc, v26, v23, vcc
	global_store_short v[22:23], v18, off
.LBB170_32:
	s_or_b64 exec, exec, s[8:9]
	v_add3_u32 v18, v1, s15, 16
	v_cmp_gt_u32_e32 vcc, s10, v18
	s_and_b64 exec, exec, vcc
	s_cbranch_execz .LBB170_68
; %bb.33:
	v_mul_lo_u32 v18, v18, s14
	s_and_saveexec_b64 s[8:9], s[0:1]
	s_cbranch_execnz .LBB170_72
; %bb.34:
	s_or_b64 exec, exec, s[8:9]
	s_and_saveexec_b64 s[8:9], s[2:3]
	s_cbranch_execnz .LBB170_73
.LBB170_35:
	s_or_b64 exec, exec, s[8:9]
	s_and_saveexec_b64 s[8:9], s[4:5]
	s_cbranch_execnz .LBB170_74
.LBB170_36:
	s_or_b64 exec, exec, s[8:9]
	s_and_saveexec_b64 s[8:9], s[6:7]
	s_cbranch_execz .LBB170_38
.LBB170_37:
	v_bfe_u32 v21, v25, 16, 1
	s_movk_i32 s11, 0x7fff
	v_add3_u32 v21, v25, v21, s11
	v_cmp_o_f32_e32 vcc, v25, v25
	v_mov_b32_e32 v22, 0x7fc0
	v_cndmask_b32_sdwa v23, v22, v21, vcc dst_sel:DWORD dst_unused:UNUSED_PAD src0_sel:DWORD src1_sel:WORD_1
	v_add_u32_e32 v21, v18, v27
	v_mov_b32_e32 v22, 0
	v_lshlrev_b64 v[21:22], 1, v[21:22]
	s_waitcnt lgkmcnt(0)
	v_mov_b32_e32 v18, s13
	v_add_co_u32_e32 v21, vcc, s12, v21
	v_addc_co_u32_e32 v22, vcc, v18, v22, vcc
	global_store_short v[21:22], v23, off
.LBB170_38:
	s_or_b64 exec, exec, s[8:9]
	v_add3_u32 v18, v1, s15, 24
	v_cmp_gt_u32_e32 vcc, s10, v18
	s_and_b64 exec, exec, vcc
	s_cbranch_execz .LBB170_68
; %bb.39:
	v_mul_lo_u32 v18, v18, s14
	s_and_saveexec_b64 s[8:9], s[0:1]
	s_cbranch_execnz .LBB170_75
; %bb.40:
	s_or_b64 exec, exec, s[8:9]
	s_and_saveexec_b64 s[8:9], s[2:3]
	s_cbranch_execnz .LBB170_76
.LBB170_41:
	s_or_b64 exec, exec, s[8:9]
	s_and_saveexec_b64 s[8:9], s[4:5]
	s_cbranch_execnz .LBB170_77
.LBB170_42:
	s_or_b64 exec, exec, s[8:9]
	s_and_saveexec_b64 s[8:9], s[6:7]
	s_cbranch_execz .LBB170_44
.LBB170_43:
	v_bfe_u32 v20, v24, 16, 1
	s_movk_i32 s11, 0x7fff
	v_add3_u32 v20, v24, v20, s11
	v_cmp_o_f32_e32 vcc, v24, v24
	v_mov_b32_e32 v21, 0x7fc0
	v_cndmask_b32_sdwa v22, v21, v20, vcc dst_sel:DWORD dst_unused:UNUSED_PAD src0_sel:DWORD src1_sel:WORD_1
	v_add_u32_e32 v20, v18, v27
	v_mov_b32_e32 v21, 0
	v_lshlrev_b64 v[20:21], 1, v[20:21]
	s_waitcnt lgkmcnt(0)
	v_mov_b32_e32 v18, s13
	v_add_co_u32_e32 v20, vcc, s12, v20
	v_addc_co_u32_e32 v21, vcc, v18, v21, vcc
	global_store_short v[20:21], v22, off
.LBB170_44:
	s_or_b64 exec, exec, s[8:9]
	v_add3_u32 v18, v1, s15, 32
	v_cmp_gt_u32_e32 vcc, s10, v18
	s_and_b64 exec, exec, vcc
	s_cbranch_execz .LBB170_68
; %bb.45:
	v_mul_lo_u32 v18, v18, s14
	s_and_saveexec_b64 s[8:9], s[0:1]
	s_cbranch_execnz .LBB170_78
; %bb.46:
	s_or_b64 exec, exec, s[8:9]
	s_and_saveexec_b64 s[8:9], s[2:3]
	s_cbranch_execnz .LBB170_79
.LBB170_47:
	s_or_b64 exec, exec, s[8:9]
	s_and_saveexec_b64 s[8:9], s[4:5]
	s_cbranch_execnz .LBB170_80
.LBB170_48:
	s_or_b64 exec, exec, s[8:9]
	s_and_saveexec_b64 s[8:9], s[6:7]
	s_cbranch_execz .LBB170_50
.LBB170_49:
	v_add_u32_e32 v20, v18, v27
	v_mov_b32_e32 v21, 0
	v_bfe_u32 v7, v3, 16, 1
	s_movk_i32 s11, 0x7fff
	v_lshlrev_b64 v[20:21], 1, v[20:21]
	v_add3_u32 v7, v3, v7, s11
	v_cmp_o_f32_e32 vcc, v3, v3
	v_mov_b32_e32 v3, 0x7fc0
	v_cndmask_b32_sdwa v3, v3, v7, vcc dst_sel:DWORD dst_unused:UNUSED_PAD src0_sel:DWORD src1_sel:WORD_1
	s_waitcnt lgkmcnt(0)
	v_mov_b32_e32 v7, s13
	v_add_co_u32_e32 v20, vcc, s12, v20
	v_addc_co_u32_e32 v21, vcc, v7, v21, vcc
	global_store_short v[20:21], v3, off
.LBB170_50:
	s_or_b64 exec, exec, s[8:9]
	v_add3_u32 v3, v1, s15, 40
	v_cmp_gt_u32_e32 vcc, s10, v3
	s_and_b64 exec, exec, vcc
	s_cbranch_execz .LBB170_68
; %bb.51:
	v_mul_lo_u32 v3, v3, s14
	s_and_saveexec_b64 s[8:9], s[0:1]
	s_cbranch_execnz .LBB170_81
; %bb.52:
	s_or_b64 exec, exec, s[8:9]
	s_and_saveexec_b64 s[8:9], s[2:3]
	s_cbranch_execnz .LBB170_82
.LBB170_53:
	s_or_b64 exec, exec, s[8:9]
	s_and_saveexec_b64 s[8:9], s[4:5]
	s_cbranch_execnz .LBB170_83
.LBB170_54:
	s_or_b64 exec, exec, s[8:9]
	s_and_saveexec_b64 s[8:9], s[6:7]
	s_cbranch_execz .LBB170_56
.LBB170_55:
	v_bfe_u32 v6, v2, 16, 1
	s_movk_i32 s11, 0x7fff
	v_add3_u32 v6, v2, v6, s11
	v_cmp_o_f32_e32 vcc, v2, v2
	v_mov_b32_e32 v2, 0x7fc0
	v_cndmask_b32_sdwa v6, v2, v6, vcc dst_sel:DWORD dst_unused:UNUSED_PAD src0_sel:DWORD src1_sel:WORD_1
	v_add_u32_e32 v2, v3, v27
	v_mov_b32_e32 v3, 0
	v_lshlrev_b64 v[2:3], 1, v[2:3]
	s_waitcnt lgkmcnt(0)
	v_mov_b32_e32 v7, s13
	v_add_co_u32_e32 v2, vcc, s12, v2
	v_addc_co_u32_e32 v3, vcc, v7, v3, vcc
	global_store_short v[2:3], v6, off
.LBB170_56:
	s_or_b64 exec, exec, s[8:9]
	v_add3_u32 v2, v1, s15, 48
	v_cmp_gt_u32_e32 vcc, s10, v2
	s_and_b64 exec, exec, vcc
	s_cbranch_execz .LBB170_68
; %bb.57:
	v_mul_lo_u32 v2, v2, s14
	s_and_saveexec_b64 s[8:9], s[0:1]
	s_cbranch_execnz .LBB170_84
; %bb.58:
	s_or_b64 exec, exec, s[8:9]
	s_and_saveexec_b64 s[8:9], s[2:3]
	s_cbranch_execnz .LBB170_85
.LBB170_59:
	s_or_b64 exec, exec, s[8:9]
	s_and_saveexec_b64 s[8:9], s[4:5]
	s_cbranch_execnz .LBB170_86
.LBB170_60:
	s_or_b64 exec, exec, s[8:9]
	s_and_saveexec_b64 s[8:9], s[6:7]
	s_cbranch_execz .LBB170_62
.LBB170_61:
	v_bfe_u32 v3, v5, 16, 1
	s_movk_i32 s11, 0x7fff
	v_add3_u32 v3, v5, v3, s11
	v_cmp_o_f32_e32 vcc, v5, v5
	v_mov_b32_e32 v5, 0x7fc0
	v_cndmask_b32_sdwa v5, v5, v3, vcc dst_sel:DWORD dst_unused:UNUSED_PAD src0_sel:DWORD src1_sel:WORD_1
	v_add_u32_e32 v2, v2, v27
	v_mov_b32_e32 v3, 0
	v_lshlrev_b64 v[2:3], 1, v[2:3]
	s_waitcnt lgkmcnt(0)
	v_mov_b32_e32 v6, s13
	v_add_co_u32_e32 v2, vcc, s12, v2
	v_addc_co_u32_e32 v3, vcc, v6, v3, vcc
	global_store_short v[2:3], v5, off
.LBB170_62:
	s_or_b64 exec, exec, s[8:9]
	v_add3_u32 v1, v1, s15, 56
	v_cmp_gt_u32_e32 vcc, s10, v1
	s_and_b64 exec, exec, vcc
	s_cbranch_execz .LBB170_68
; %bb.63:
	v_mul_lo_u32 v1, v1, s14
	s_and_saveexec_b64 s[8:9], s[0:1]
	s_cbranch_execnz .LBB170_87
; %bb.64:
	s_or_b64 exec, exec, s[8:9]
	s_and_saveexec_b64 s[0:1], s[2:3]
	s_cbranch_execnz .LBB170_88
.LBB170_65:
	s_or_b64 exec, exec, s[0:1]
	s_and_saveexec_b64 s[0:1], s[4:5]
	s_cbranch_execnz .LBB170_89
.LBB170_66:
	s_or_b64 exec, exec, s[0:1]
	s_and_b64 exec, exec, s[6:7]
	s_cbranch_execz .LBB170_68
.LBB170_67:
	v_bfe_u32 v0, v4, 16, 1
	s_movk_i32 s0, 0x7fff
	v_add3_u32 v0, v4, v0, s0
	v_cmp_o_f32_e32 vcc, v4, v4
	v_mov_b32_e32 v2, 0x7fc0
	v_cndmask_b32_sdwa v2, v2, v0, vcc dst_sel:DWORD dst_unused:UNUSED_PAD src0_sel:DWORD src1_sel:WORD_1
	v_add_u32_e32 v0, v1, v27
	v_mov_b32_e32 v1, 0
	v_lshlrev_b64 v[0:1], 1, v[0:1]
	s_waitcnt lgkmcnt(0)
	v_mov_b32_e32 v3, s13
	v_add_co_u32_e32 v0, vcc, s12, v0
	v_addc_co_u32_e32 v1, vcc, v3, v1, vcc
	global_store_short v[0:1], v2, off
.LBB170_68:
	s_endpgm
.LBB170_69:
	v_bfe_u32 v34, v18, 16, 1
	s_movk_i32 s11, 0x7fff
	v_add3_u32 v34, v18, v34, s11
	v_cmp_o_f32_e32 vcc, v18, v18
	v_mov_b32_e32 v18, 0x7fc0
	v_cndmask_b32_sdwa v18, v18, v34, vcc dst_sel:DWORD dst_unused:UNUSED_PAD src0_sel:DWORD src1_sel:WORD_1
	v_add_u32_e32 v34, v23, v0
	v_mov_b32_e32 v35, 0
	v_lshlrev_b64 v[34:35], 1, v[34:35]
	s_waitcnt lgkmcnt(0)
	v_mov_b32_e32 v36, s13
	v_add_co_u32_e32 v34, vcc, s12, v34
	v_addc_co_u32_e32 v35, vcc, v36, v35, vcc
	global_store_short v[34:35], v18, off
	s_or_b64 exec, exec, s[8:9]
	s_and_saveexec_b64 s[8:9], s[2:3]
	s_cbranch_execz .LBB170_29
.LBB170_70:
	v_add_u32_e32 v34, v23, v19
	v_mov_b32_e32 v35, 0
	v_bfe_u32 v18, v30, 16, 1
	s_movk_i32 s11, 0x7fff
	v_lshlrev_b64 v[34:35], 1, v[34:35]
	v_add3_u32 v18, v30, v18, s11
	v_cmp_o_f32_e32 vcc, v30, v30
	v_mov_b32_e32 v30, 0x7fc0
	v_cndmask_b32_sdwa v18, v30, v18, vcc dst_sel:DWORD dst_unused:UNUSED_PAD src0_sel:DWORD src1_sel:WORD_1
	s_waitcnt lgkmcnt(0)
	v_mov_b32_e32 v30, s13
	v_add_co_u32_e32 v34, vcc, s12, v34
	v_addc_co_u32_e32 v35, vcc, v30, v35, vcc
	global_store_short v[34:35], v18, off
	s_or_b64 exec, exec, s[8:9]
	s_and_saveexec_b64 s[8:9], s[4:5]
	s_cbranch_execz .LBB170_30
.LBB170_71:
	v_add_u32_e32 v34, v23, v31
	v_mov_b32_e32 v35, 0
	v_bfe_u32 v18, v26, 16, 1
	s_movk_i32 s11, 0x7fff
	v_lshlrev_b64 v[34:35], 1, v[34:35]
	v_add3_u32 v18, v26, v18, s11
	v_cmp_o_f32_e32 vcc, v26, v26
	v_mov_b32_e32 v26, 0x7fc0
	v_cndmask_b32_sdwa v18, v26, v18, vcc dst_sel:DWORD dst_unused:UNUSED_PAD src0_sel:DWORD src1_sel:WORD_1
	s_waitcnt lgkmcnt(0)
	v_mov_b32_e32 v26, s13
	v_add_co_u32_e32 v34, vcc, s12, v34
	v_addc_co_u32_e32 v35, vcc, v26, v35, vcc
	global_store_short v[34:35], v18, off
	s_or_b64 exec, exec, s[8:9]
	s_and_saveexec_b64 s[8:9], s[6:7]
	s_cbranch_execnz .LBB170_31
	s_branch .LBB170_32
.LBB170_72:
	v_bfe_u32 v22, v21, 16, 1
	s_movk_i32 s11, 0x7fff
	v_add3_u32 v22, v21, v22, s11
	v_cmp_o_f32_e32 vcc, v21, v21
	v_mov_b32_e32 v21, 0x7fc0
	v_cndmask_b32_sdwa v23, v21, v22, vcc dst_sel:DWORD dst_unused:UNUSED_PAD src0_sel:DWORD src1_sel:WORD_1
	v_add_u32_e32 v21, v18, v0
	v_mov_b32_e32 v22, 0
	v_lshlrev_b64 v[21:22], 1, v[21:22]
	s_waitcnt lgkmcnt(0)
	v_mov_b32_e32 v26, s13
	v_add_co_u32_e32 v21, vcc, s12, v21
	v_addc_co_u32_e32 v22, vcc, v26, v22, vcc
	global_store_short v[21:22], v23, off
	s_or_b64 exec, exec, s[8:9]
	s_and_saveexec_b64 s[8:9], s[2:3]
	s_cbranch_execz .LBB170_35
.LBB170_73:
	v_bfe_u32 v21, v33, 16, 1
	s_movk_i32 s11, 0x7fff
	v_add3_u32 v21, v33, v21, s11
	v_cmp_o_f32_e32 vcc, v33, v33
	v_mov_b32_e32 v22, 0x7fc0
	v_cndmask_b32_sdwa v23, v22, v21, vcc dst_sel:DWORD dst_unused:UNUSED_PAD src0_sel:DWORD src1_sel:WORD_1
	v_add_u32_e32 v21, v18, v19
	v_mov_b32_e32 v22, 0
	v_lshlrev_b64 v[21:22], 1, v[21:22]
	s_waitcnt lgkmcnt(0)
	v_mov_b32_e32 v26, s13
	v_add_co_u32_e32 v21, vcc, s12, v21
	v_addc_co_u32_e32 v22, vcc, v26, v22, vcc
	global_store_short v[21:22], v23, off
	s_or_b64 exec, exec, s[8:9]
	s_and_saveexec_b64 s[8:9], s[4:5]
	s_cbranch_execz .LBB170_36
.LBB170_74:
	v_bfe_u32 v21, v29, 16, 1
	s_movk_i32 s11, 0x7fff
	v_add3_u32 v21, v29, v21, s11
	v_cmp_o_f32_e32 vcc, v29, v29
	v_mov_b32_e32 v22, 0x7fc0
	v_cndmask_b32_sdwa v23, v22, v21, vcc dst_sel:DWORD dst_unused:UNUSED_PAD src0_sel:DWORD src1_sel:WORD_1
	v_add_u32_e32 v21, v18, v31
	v_mov_b32_e32 v22, 0
	v_lshlrev_b64 v[21:22], 1, v[21:22]
	s_waitcnt lgkmcnt(0)
	v_mov_b32_e32 v26, s13
	v_add_co_u32_e32 v21, vcc, s12, v21
	v_addc_co_u32_e32 v22, vcc, v26, v22, vcc
	global_store_short v[21:22], v23, off
	s_or_b64 exec, exec, s[8:9]
	s_and_saveexec_b64 s[8:9], s[6:7]
	s_cbranch_execnz .LBB170_37
	s_branch .LBB170_38
.LBB170_75:
	v_bfe_u32 v21, v20, 16, 1
	s_movk_i32 s11, 0x7fff
	v_add3_u32 v21, v20, v21, s11
	v_cmp_o_f32_e32 vcc, v20, v20
	v_mov_b32_e32 v20, 0x7fc0
	v_cndmask_b32_sdwa v22, v20, v21, vcc dst_sel:DWORD dst_unused:UNUSED_PAD src0_sel:DWORD src1_sel:WORD_1
	v_add_u32_e32 v20, v18, v0
	v_mov_b32_e32 v21, 0
	v_lshlrev_b64 v[20:21], 1, v[20:21]
	s_waitcnt lgkmcnt(0)
	v_mov_b32_e32 v23, s13
	v_add_co_u32_e32 v20, vcc, s12, v20
	v_addc_co_u32_e32 v21, vcc, v23, v21, vcc
	global_store_short v[20:21], v22, off
	s_or_b64 exec, exec, s[8:9]
	s_and_saveexec_b64 s[8:9], s[2:3]
	s_cbranch_execz .LBB170_41
.LBB170_76:
	v_bfe_u32 v20, v32, 16, 1
	s_movk_i32 s11, 0x7fff
	v_add3_u32 v20, v32, v20, s11
	v_cmp_o_f32_e32 vcc, v32, v32
	v_mov_b32_e32 v21, 0x7fc0
	v_cndmask_b32_sdwa v22, v21, v20, vcc dst_sel:DWORD dst_unused:UNUSED_PAD src0_sel:DWORD src1_sel:WORD_1
	v_add_u32_e32 v20, v18, v19
	v_mov_b32_e32 v21, 0
	v_lshlrev_b64 v[20:21], 1, v[20:21]
	s_waitcnt lgkmcnt(0)
	v_mov_b32_e32 v23, s13
	v_add_co_u32_e32 v20, vcc, s12, v20
	v_addc_co_u32_e32 v21, vcc, v23, v21, vcc
	global_store_short v[20:21], v22, off
	s_or_b64 exec, exec, s[8:9]
	s_and_saveexec_b64 s[8:9], s[4:5]
	s_cbranch_execz .LBB170_42
.LBB170_77:
	v_bfe_u32 v20, v28, 16, 1
	s_movk_i32 s11, 0x7fff
	v_add3_u32 v20, v28, v20, s11
	v_cmp_o_f32_e32 vcc, v28, v28
	v_mov_b32_e32 v21, 0x7fc0
	v_cndmask_b32_sdwa v22, v21, v20, vcc dst_sel:DWORD dst_unused:UNUSED_PAD src0_sel:DWORD src1_sel:WORD_1
	v_add_u32_e32 v20, v18, v31
	v_mov_b32_e32 v21, 0
	v_lshlrev_b64 v[20:21], 1, v[20:21]
	s_waitcnt lgkmcnt(0)
	v_mov_b32_e32 v23, s13
	v_add_co_u32_e32 v20, vcc, s12, v20
	v_addc_co_u32_e32 v21, vcc, v23, v21, vcc
	global_store_short v[20:21], v22, off
	s_or_b64 exec, exec, s[8:9]
	s_and_saveexec_b64 s[8:9], s[6:7]
	s_cbranch_execnz .LBB170_43
	s_branch .LBB170_44
.LBB170_78:
	v_bfe_u32 v20, v15, 16, 1
	s_movk_i32 s11, 0x7fff
	v_add3_u32 v20, v15, v20, s11
	v_cmp_o_f32_e32 vcc, v15, v15
	v_mov_b32_e32 v15, 0x7fc0
	v_cndmask_b32_sdwa v15, v15, v20, vcc dst_sel:DWORD dst_unused:UNUSED_PAD src0_sel:DWORD src1_sel:WORD_1
	v_add_u32_e32 v20, v18, v0
	v_mov_b32_e32 v21, 0
	v_lshlrev_b64 v[20:21], 1, v[20:21]
	s_waitcnt lgkmcnt(0)
	v_mov_b32_e32 v22, s13
	v_add_co_u32_e32 v20, vcc, s12, v20
	v_addc_co_u32_e32 v21, vcc, v22, v21, vcc
	global_store_short v[20:21], v15, off
	s_or_b64 exec, exec, s[8:9]
	s_and_saveexec_b64 s[8:9], s[2:3]
	s_cbranch_execz .LBB170_47
.LBB170_79:
	v_add_u32_e32 v20, v18, v19
	v_mov_b32_e32 v21, 0
	v_bfe_u32 v15, v11, 16, 1
	s_movk_i32 s11, 0x7fff
	v_lshlrev_b64 v[20:21], 1, v[20:21]
	v_add3_u32 v15, v11, v15, s11
	v_cmp_o_f32_e32 vcc, v11, v11
	v_mov_b32_e32 v11, 0x7fc0
	v_cndmask_b32_sdwa v11, v11, v15, vcc dst_sel:DWORD dst_unused:UNUSED_PAD src0_sel:DWORD src1_sel:WORD_1
	s_waitcnt lgkmcnt(0)
	v_mov_b32_e32 v15, s13
	v_add_co_u32_e32 v20, vcc, s12, v20
	v_addc_co_u32_e32 v21, vcc, v15, v21, vcc
	global_store_short v[20:21], v11, off
	s_or_b64 exec, exec, s[8:9]
	s_and_saveexec_b64 s[8:9], s[4:5]
	s_cbranch_execz .LBB170_48
.LBB170_80:
	v_add_u32_e32 v20, v18, v31
	v_mov_b32_e32 v21, 0
	v_bfe_u32 v11, v7, 16, 1
	s_movk_i32 s11, 0x7fff
	v_lshlrev_b64 v[20:21], 1, v[20:21]
	v_add3_u32 v11, v7, v11, s11
	v_cmp_o_f32_e32 vcc, v7, v7
	v_mov_b32_e32 v7, 0x7fc0
	v_cndmask_b32_sdwa v7, v7, v11, vcc dst_sel:DWORD dst_unused:UNUSED_PAD src0_sel:DWORD src1_sel:WORD_1
	s_waitcnt lgkmcnt(0)
	v_mov_b32_e32 v11, s13
	v_add_co_u32_e32 v20, vcc, s12, v20
	v_addc_co_u32_e32 v21, vcc, v11, v21, vcc
	global_store_short v[20:21], v7, off
	s_or_b64 exec, exec, s[8:9]
	s_and_saveexec_b64 s[8:9], s[6:7]
	s_cbranch_execnz .LBB170_49
	s_branch .LBB170_50
.LBB170_81:
	v_bfe_u32 v7, v14, 16, 1
	s_movk_i32 s11, 0x7fff
	v_add3_u32 v7, v14, v7, s11
	v_cmp_o_f32_e32 vcc, v14, v14
	v_add_u32_e32 v14, v3, v0
	v_mov_b32_e32 v15, 0
	v_lshlrev_b64 v[14:15], 1, v[14:15]
	v_mov_b32_e32 v11, 0x7fc0
	v_cndmask_b32_sdwa v7, v11, v7, vcc dst_sel:DWORD dst_unused:UNUSED_PAD src0_sel:DWORD src1_sel:WORD_1
	s_waitcnt lgkmcnt(0)
	v_mov_b32_e32 v11, s13
	v_add_co_u32_e32 v14, vcc, s12, v14
	v_addc_co_u32_e32 v15, vcc, v11, v15, vcc
	global_store_short v[14:15], v7, off
	s_or_b64 exec, exec, s[8:9]
	s_and_saveexec_b64 s[8:9], s[2:3]
	s_cbranch_execz .LBB170_53
.LBB170_82:
	v_bfe_u32 v7, v10, 16, 1
	s_movk_i32 s11, 0x7fff
	v_add3_u32 v7, v10, v7, s11
	v_cmp_o_f32_e32 vcc, v10, v10
	v_mov_b32_e32 v10, 0x7fc0
	v_cndmask_b32_sdwa v7, v10, v7, vcc dst_sel:DWORD dst_unused:UNUSED_PAD src0_sel:DWORD src1_sel:WORD_1
	v_add_u32_e32 v10, v3, v19
	v_mov_b32_e32 v11, 0
	v_lshlrev_b64 v[10:11], 1, v[10:11]
	s_waitcnt lgkmcnt(0)
	v_mov_b32_e32 v14, s13
	v_add_co_u32_e32 v10, vcc, s12, v10
	v_addc_co_u32_e32 v11, vcc, v14, v11, vcc
	global_store_short v[10:11], v7, off
	s_or_b64 exec, exec, s[8:9]
	s_and_saveexec_b64 s[8:9], s[4:5]
	s_cbranch_execz .LBB170_54
.LBB170_83:
	v_bfe_u32 v7, v6, 16, 1
	s_movk_i32 s11, 0x7fff
	v_add3_u32 v7, v6, v7, s11
	v_cmp_o_f32_e32 vcc, v6, v6
	v_mov_b32_e32 v6, 0x7fc0
	v_cndmask_b32_sdwa v10, v6, v7, vcc dst_sel:DWORD dst_unused:UNUSED_PAD src0_sel:DWORD src1_sel:WORD_1
	v_add_u32_e32 v6, v3, v31
	v_mov_b32_e32 v7, 0
	v_lshlrev_b64 v[6:7], 1, v[6:7]
	s_waitcnt lgkmcnt(0)
	v_mov_b32_e32 v11, s13
	v_add_co_u32_e32 v6, vcc, s12, v6
	v_addc_co_u32_e32 v7, vcc, v11, v7, vcc
	global_store_short v[6:7], v10, off
	s_or_b64 exec, exec, s[8:9]
	s_and_saveexec_b64 s[8:9], s[6:7]
	s_cbranch_execnz .LBB170_55
	s_branch .LBB170_56
.LBB170_84:
	v_bfe_u32 v3, v17, 16, 1
	s_movk_i32 s11, 0x7fff
	v_add3_u32 v3, v17, v3, s11
	v_cmp_o_f32_e32 vcc, v17, v17
	v_mov_b32_e32 v6, 0x7fc0
	v_cndmask_b32_sdwa v3, v6, v3, vcc dst_sel:DWORD dst_unused:UNUSED_PAD src0_sel:DWORD src1_sel:WORD_1
	v_add_u32_e32 v6, v2, v0
	v_mov_b32_e32 v7, 0
	v_lshlrev_b64 v[6:7], 1, v[6:7]
	s_waitcnt lgkmcnt(0)
	v_mov_b32_e32 v10, s13
	v_add_co_u32_e32 v6, vcc, s12, v6
	v_addc_co_u32_e32 v7, vcc, v10, v7, vcc
	global_store_short v[6:7], v3, off
	s_or_b64 exec, exec, s[8:9]
	s_and_saveexec_b64 s[8:9], s[2:3]
	s_cbranch_execz .LBB170_59
.LBB170_85:
	v_bfe_u32 v3, v13, 16, 1
	s_movk_i32 s11, 0x7fff
	v_add3_u32 v3, v13, v3, s11
	v_cmp_o_f32_e32 vcc, v13, v13
	v_mov_b32_e32 v6, 0x7fc0
	v_cndmask_b32_sdwa v3, v6, v3, vcc dst_sel:DWORD dst_unused:UNUSED_PAD src0_sel:DWORD src1_sel:WORD_1
	v_add_u32_e32 v6, v2, v19
	v_mov_b32_e32 v7, 0
	v_lshlrev_b64 v[6:7], 1, v[6:7]
	s_waitcnt lgkmcnt(0)
	v_mov_b32_e32 v10, s13
	v_add_co_u32_e32 v6, vcc, s12, v6
	v_addc_co_u32_e32 v7, vcc, v10, v7, vcc
	global_store_short v[6:7], v3, off
	s_or_b64 exec, exec, s[8:9]
	s_and_saveexec_b64 s[8:9], s[4:5]
	s_cbranch_execz .LBB170_60
.LBB170_86:
	v_bfe_u32 v3, v9, 16, 1
	s_movk_i32 s11, 0x7fff
	v_add3_u32 v3, v9, v3, s11
	v_cmp_o_f32_e32 vcc, v9, v9
	v_mov_b32_e32 v6, 0x7fc0
	v_cndmask_b32_sdwa v3, v6, v3, vcc dst_sel:DWORD dst_unused:UNUSED_PAD src0_sel:DWORD src1_sel:WORD_1
	v_add_u32_e32 v6, v2, v31
	v_mov_b32_e32 v7, 0
	v_lshlrev_b64 v[6:7], 1, v[6:7]
	s_waitcnt lgkmcnt(0)
	v_mov_b32_e32 v9, s13
	v_add_co_u32_e32 v6, vcc, s12, v6
	v_addc_co_u32_e32 v7, vcc, v9, v7, vcc
	global_store_short v[6:7], v3, off
	s_or_b64 exec, exec, s[8:9]
	s_and_saveexec_b64 s[8:9], s[6:7]
	s_cbranch_execnz .LBB170_61
	s_branch .LBB170_62
.LBB170_87:
	v_bfe_u32 v2, v16, 16, 1
	s_movk_i32 s0, 0x7fff
	v_add3_u32 v2, v16, v2, s0
	v_cmp_o_f32_e32 vcc, v16, v16
	v_mov_b32_e32 v3, 0x7fc0
	v_cndmask_b32_sdwa v5, v3, v2, vcc dst_sel:DWORD dst_unused:UNUSED_PAD src0_sel:DWORD src1_sel:WORD_1
	v_add_u32_e32 v2, v1, v0
	v_mov_b32_e32 v3, 0
	v_lshlrev_b64 v[2:3], 1, v[2:3]
	s_waitcnt lgkmcnt(0)
	v_mov_b32_e32 v0, s13
	v_add_co_u32_e32 v2, vcc, s12, v2
	v_addc_co_u32_e32 v3, vcc, v0, v3, vcc
	global_store_short v[2:3], v5, off
	s_or_b64 exec, exec, s[8:9]
	s_and_saveexec_b64 s[0:1], s[2:3]
	s_cbranch_execz .LBB170_65
.LBB170_88:
	v_bfe_u32 v0, v12, 16, 1
	s_movk_i32 s2, 0x7fff
	v_add3_u32 v0, v12, v0, s2
	v_cmp_o_f32_e32 vcc, v12, v12
	v_mov_b32_e32 v2, 0x7fc0
	v_cndmask_b32_sdwa v0, v2, v0, vcc dst_sel:DWORD dst_unused:UNUSED_PAD src0_sel:DWORD src1_sel:WORD_1
	v_add_u32_e32 v2, v1, v19
	v_mov_b32_e32 v3, 0
	v_lshlrev_b64 v[2:3], 1, v[2:3]
	s_waitcnt lgkmcnt(0)
	v_mov_b32_e32 v5, s13
	v_add_co_u32_e32 v2, vcc, s12, v2
	v_addc_co_u32_e32 v3, vcc, v5, v3, vcc
	global_store_short v[2:3], v0, off
	s_or_b64 exec, exec, s[0:1]
	s_and_saveexec_b64 s[0:1], s[4:5]
	s_cbranch_execz .LBB170_66
.LBB170_89:
	v_bfe_u32 v0, v8, 16, 1
	s_movk_i32 s2, 0x7fff
	v_add3_u32 v0, v8, v0, s2
	v_cmp_o_f32_e32 vcc, v8, v8
	v_mov_b32_e32 v2, 0x7fc0
	v_cndmask_b32_sdwa v0, v2, v0, vcc dst_sel:DWORD dst_unused:UNUSED_PAD src0_sel:DWORD src1_sel:WORD_1
	v_add_u32_e32 v2, v1, v31
	v_mov_b32_e32 v3, 0
	v_lshlrev_b64 v[2:3], 1, v[2:3]
	s_waitcnt lgkmcnt(0)
	v_mov_b32_e32 v5, s13
	v_add_co_u32_e32 v2, vcc, s12, v2
	v_addc_co_u32_e32 v3, vcc, v5, v3, vcc
	global_store_short v[2:3], v0, off
	s_or_b64 exec, exec, s[0:1]
	s_and_b64 exec, exec, s[6:7]
	s_cbranch_execnz .LBB170_67
	s_branch .LBB170_68
	.section	.rodata,"a",@progbits
	.p2align	6, 0x0
	.amdhsa_kernel _ZL12mul_mat_q3_KIN3c108BFloat16ELb1EEvPKvS3_PT_iiiii
		.amdhsa_group_segment_fixed_size 39840
		.amdhsa_private_segment_fixed_size 0
		.amdhsa_kernarg_size 44
		.amdhsa_user_sgpr_count 6
		.amdhsa_user_sgpr_private_segment_buffer 1
		.amdhsa_user_sgpr_dispatch_ptr 0
		.amdhsa_user_sgpr_queue_ptr 0
		.amdhsa_user_sgpr_kernarg_segment_ptr 1
		.amdhsa_user_sgpr_dispatch_id 0
		.amdhsa_user_sgpr_flat_scratch_init 0
		.amdhsa_user_sgpr_private_segment_size 0
		.amdhsa_uses_dynamic_stack 0
		.amdhsa_system_sgpr_private_segment_wavefront_offset 0
		.amdhsa_system_sgpr_workgroup_id_x 1
		.amdhsa_system_sgpr_workgroup_id_y 1
		.amdhsa_system_sgpr_workgroup_id_z 0
		.amdhsa_system_sgpr_workgroup_info 0
		.amdhsa_system_vgpr_workitem_id 1
		.amdhsa_next_free_vgpr 244
		.amdhsa_next_free_sgpr 98
		.amdhsa_reserve_vcc 1
		.amdhsa_reserve_flat_scratch 0
		.amdhsa_float_round_mode_32 0
		.amdhsa_float_round_mode_16_64 0
		.amdhsa_float_denorm_mode_32 3
		.amdhsa_float_denorm_mode_16_64 3
		.amdhsa_dx10_clamp 1
		.amdhsa_ieee_mode 1
		.amdhsa_fp16_overflow 0
		.amdhsa_exception_fp_ieee_invalid_op 0
		.amdhsa_exception_fp_denorm_src 0
		.amdhsa_exception_fp_ieee_div_zero 0
		.amdhsa_exception_fp_ieee_overflow 0
		.amdhsa_exception_fp_ieee_underflow 0
		.amdhsa_exception_fp_ieee_inexact 0
		.amdhsa_exception_int_div_zero 0
	.end_amdhsa_kernel
	.section	.text._ZL12mul_mat_q3_KIN3c108BFloat16ELb1EEvPKvS3_PT_iiiii,"axG",@progbits,_ZL12mul_mat_q3_KIN3c108BFloat16ELb1EEvPKvS3_PT_iiiii,comdat
.Lfunc_end170:
	.size	_ZL12mul_mat_q3_KIN3c108BFloat16ELb1EEvPKvS3_PT_iiiii, .Lfunc_end170-_ZL12mul_mat_q3_KIN3c108BFloat16ELb1EEvPKvS3_PT_iiiii
                                        ; -- End function
	.set _ZL12mul_mat_q3_KIN3c108BFloat16ELb1EEvPKvS3_PT_iiiii.num_vgpr, 244
	.set _ZL12mul_mat_q3_KIN3c108BFloat16ELb1EEvPKvS3_PT_iiiii.num_agpr, 0
	.set _ZL12mul_mat_q3_KIN3c108BFloat16ELb1EEvPKvS3_PT_iiiii.numbered_sgpr, 25
	.set _ZL12mul_mat_q3_KIN3c108BFloat16ELb1EEvPKvS3_PT_iiiii.num_named_barrier, 0
	.set _ZL12mul_mat_q3_KIN3c108BFloat16ELb1EEvPKvS3_PT_iiiii.private_seg_size, 0
	.set _ZL12mul_mat_q3_KIN3c108BFloat16ELb1EEvPKvS3_PT_iiiii.uses_vcc, 1
	.set _ZL12mul_mat_q3_KIN3c108BFloat16ELb1EEvPKvS3_PT_iiiii.uses_flat_scratch, 0
	.set _ZL12mul_mat_q3_KIN3c108BFloat16ELb1EEvPKvS3_PT_iiiii.has_dyn_sized_stack, 0
	.set _ZL12mul_mat_q3_KIN3c108BFloat16ELb1EEvPKvS3_PT_iiiii.has_recursion, 0
	.set _ZL12mul_mat_q3_KIN3c108BFloat16ELb1EEvPKvS3_PT_iiiii.has_indirect_call, 0
	.section	.AMDGPU.csdata,"",@progbits
; Kernel info:
; codeLenInByte = 36152
; TotalNumSgprs: 29
; NumVgprs: 244
; ScratchSize: 0
; MemoryBound: 0
; FloatMode: 240
; IeeeMode: 1
; LDSByteSize: 39840 bytes/workgroup (compile time only)
; SGPRBlocks: 12
; VGPRBlocks: 60
; NumSGPRsForWavesPerEU: 102
; NumVGPRsForWavesPerEU: 244
; Occupancy: 1
; WaveLimiterHint : 0
; COMPUTE_PGM_RSRC2:SCRATCH_EN: 0
; COMPUTE_PGM_RSRC2:USER_SGPR: 6
; COMPUTE_PGM_RSRC2:TRAP_HANDLER: 0
; COMPUTE_PGM_RSRC2:TGID_X_EN: 1
; COMPUTE_PGM_RSRC2:TGID_Y_EN: 1
; COMPUTE_PGM_RSRC2:TGID_Z_EN: 0
; COMPUTE_PGM_RSRC2:TIDIG_COMP_CNT: 1
	.section	.text._ZL12mul_mat_q4_KIN3c108BFloat16ELb0EEvPKvS3_PT_iiiii,"axG",@progbits,_ZL12mul_mat_q4_KIN3c108BFloat16ELb0EEvPKvS3_PT_iiiii,comdat
	.globl	_ZL12mul_mat_q4_KIN3c108BFloat16ELb0EEvPKvS3_PT_iiiii ; -- Begin function _ZL12mul_mat_q4_KIN3c108BFloat16ELb0EEvPKvS3_PT_iiiii
	.p2align	8
	.type	_ZL12mul_mat_q4_KIN3c108BFloat16ELb0EEvPKvS3_PT_iiiii,@function
_ZL12mul_mat_q4_KIN3c108BFloat16ELb0EEvPKvS3_PT_iiiii: ; @_ZL12mul_mat_q4_KIN3c108BFloat16ELb0EEvPKvS3_PT_iiiii
; %bb.0:
	s_mov_b64 s[22:23], s[2:3]
	s_mov_b64 s[20:21], s[0:1]
	s_add_u32 s20, s20, s8
	s_load_dword s14, s[4:5], 0x18
	s_load_dwordx4 s[8:11], s[4:5], 0x20
	s_addc_u32 s21, s21, 0
	s_waitcnt lgkmcnt(0)
	s_lshl_b32 s11, s7, 6
	v_mov_b32_e32 v79, v0
	s_cmpk_gt_i32 s14, 0xff
	v_add_u32_e32 v25, s11, v1
	s_cbranch_scc1 .LBB171_2
; %bb.1:
	v_add_u32_e32 v0, s11, v1
	s_mov_b64 s[0:1], 0
	s_branch .LBB171_3
.LBB171_2:
	s_mov_b64 s[0:1], -1
                                        ; implicit-def: $vgpr0
.LBB171_3:
	s_load_dwordx2 s[12:13], s[4:5], 0x10
	s_lshl_b32 s6, s6, 7
	v_mov_b32_e32 v36, 0
	s_andn2_b64 vcc, exec, s[0:1]
	v_mov_b32_e32 v41, 0
	v_mov_b32_e32 v57, 0
	;; [unrolled: 1-line block ×31, first 2 shown]
	s_cbranch_vccnz .LBB171_12
; %bb.4:
	s_load_dwordx4 s[0:3], s[4:5], 0x0
	s_ashr_i32 s4, s14, 31
	s_lshr_b32 s4, s4, 24
	s_add_i32 s14, s14, s4
	s_ashr_i32 s5, s9, 31
	s_ashr_i32 s4, s14, 8
	s_lshr_b32 s5, s5, 27
	s_add_i32 s5, s9, s5
	s_mul_i32 s7, s4, s6
	s_ashr_i32 s15, s5, 5
	s_mul_hi_i32 s9, s7, 0x90
	s_mulk_i32 s7, 0x90
	s_waitcnt lgkmcnt(0)
	s_add_u32 s7, s0, s7
	s_addc_u32 s9, s1, s9
	s_lshl_b32 s1, s4, 3
	v_mov_b32_e32 v2, s1
	v_mad_i32_i24 v2, s4, v1, v2
	v_add_u32_e32 v3, s1, v2
	v_add_u32_e32 v4, s1, v3
	;; [unrolled: 1-line block ×5, first 2 shown]
	buffer_store_dword v7, off, s[20:23], 0 offset:316 ; 4-byte Folded Spill
	v_add_u32_e32 v7, s1, v7
	buffer_store_dword v7, off, s[20:23], 0 offset:320 ; 4-byte Folded Spill
	v_add_u32_e32 v7, s1, v7
	;; [unrolled: 2-line block ×9, first 2 shown]
	buffer_store_dword v7, off, s[20:23], 0 offset:352 ; 4-byte Folded Spill
	v_lshlrev_b32_e32 v7, 5, v1
	buffer_store_dword v7, off, s[20:23], 0 offset:132 ; 4-byte Folded Spill
	v_add_u32_e32 v7, v7, v79
	v_and_b32_e32 v8, 0x7f, v7
	v_lshrrev_b32_e32 v7, 3, v7
	v_mul_i32_i24_e32 v9, s4, v8
	v_and_b32_e32 v7, 12, v7
	v_lshlrev_b32_e32 v8, 2, v8
	s_movk_i32 s1, 0x6e40
	v_add3_u32 v7, v8, v7, s1
	v_and_b32_e32 v10, 3, v79
	buffer_store_dword v7, off, s[20:23], 0 offset:360 ; 4-byte Folded Spill
	v_add_u32_e32 v7, 0xfe, v10
	v_and_b32_e32 v7, 0xff, v7
	v_cmp_gt_u32_e32 vcc, 2, v10
	buffer_store_dword v9, off, s[20:23], 0 offset:356 ; 4-byte Folded Spill
	v_lshlrev_b32_e32 v9, 3, v1
	v_lshrrev_b32_e32 v11, 2, v79
	v_cndmask_b32_e32 v12, v7, v10, vcc
	v_cmp_ne_u32_e32 vcc, 0, v10
	v_add_u32_e32 v15, v11, v9
	v_addc_co_u32_e32 v7, vcc, 0, v12, vcc
	v_lshlrev_b32_e32 v12, 1, v12
	buffer_store_dword v12, off, s[20:23], 0 offset:368 ; 4-byte Folded Spill
	v_and_b32_e32 v12, 0x7f, v15
	v_add_u16_e32 v9, v11, v9
	v_mul_i32_i24_e32 v13, s4, v12
	v_lshlrev_b32_e32 v19, 2, v10
	v_lshrrev_b16_e32 v9, 1, v9
	buffer_store_dword v13, off, s[20:23], 0 offset:372 ; 4-byte Folded Spill
	v_lshl_or_b32 v13, v12, 4, v19
	v_and_b32_e32 v9, 60, v9
	s_movk_i32 s16, 0x6200
	v_add3_u32 v9, v13, v9, s16
	buffer_store_dword v9, off, s[20:23], 0 offset:376 ; 4-byte Folded Spill
	v_xor_b32_e32 v9, 64, v12
	v_mul_i32_i24_e32 v11, s4, v9
	buffer_store_dword v11, off, s[20:23], 0 offset:380 ; 4-byte Folded Spill
	v_lshl_or_b32 v11, v9, 4, v19
	v_lshrrev_b32_e32 v9, 1, v9
	v_and_b32_e32 v9, 60, v9
	v_add3_u32 v9, v11, v9, s16
	s_add_i32 s16, s8, -1
	v_cvt_f64_i32_e32 v[11:12], s16
	v_cvt_f64_u32_e32 v[13:14], v25
	v_and_b32_e32 v16, 31, v79
	v_mov_b32_e32 v17, 0x4200
	v_and_b32_e32 v20, 63, v15
	v_add_u32_e32 v15, 8, v25
	v_lshl_or_b32 v29, v16, 2, v17
	v_min_f64 v[13:14], v[13:14], v[11:12]
	v_cvt_f64_u32_e32 v[15:16], v15
	v_add_u32_e32 v17, 16, v25
	v_cvt_f64_u32_e32 v[17:18], v17
	v_or_b32_e32 v21, s11, v20
	v_min_f64 v[15:16], v[15:16], v[11:12]
	v_min_i32_e32 v21, s16, v21
	v_min_f64 v[17:18], v[17:18], v[11:12]
	v_mad_u64_u32 v[21:22], s[16:17], v21, s15, v[10:11]
	v_cvt_i32_f64_e32 v13, v[13:14]
	v_lshlrev_b32_e32 v28, 2, v79
	v_and_b32_e32 v0, 0x7c, v28
	s_movk_i32 s0, 0x84
	v_and_b32_e32 v8, 4, v28
	v_cmp_lt_u32_e32 vcc, 1, v10
	v_lshl_or_b32 v10, v20, 4, v19
	buffer_store_dword v0, off, s[20:23], 0 offset:288 ; 4-byte Folded Spill
	v_mad_u32_u24 v0, v1, s0, v28
	v_cndmask_b32_e32 v8, 0, v8, vcc
	v_add_u32_e32 v10, 0x6a40, v10
	buffer_store_dword v0, off, s[20:23], 0 offset:292 ; 4-byte Folded Spill
	buffer_store_dword v2, off, s[20:23], 0 offset:296 ; 4-byte Folded Spill
	;; [unrolled: 1-line block ×9, first 2 shown]
	s_nop 0
	buffer_store_dword v22, off, s[20:23], 0 offset:396 ; 4-byte Folded Spill
	buffer_store_dword v10, off, s[20:23], 0 offset:188 ; 4-byte Folded Spill
	v_cvt_i32_f64_e32 v10, v[15:16]
	v_mul_lo_u32 v13, s15, v13
	v_lshlrev_b32_e32 v14, 7, v1
	buffer_store_dword v14, off, s[20:23], 0 offset:196 ; 4-byte Folded Spill
	v_mul_lo_u32 v10, s15, v10
	buffer_store_dword v13, off, s[20:23], 0 offset:192 ; 4-byte Folded Spill
	v_cvt_i32_f64_e32 v13, v[17:18]
	buffer_store_dword v25, off, s[20:23], 0 offset:424 ; 4-byte Folded Spill
	buffer_store_dword v10, off, s[20:23], 0 offset:200 ; 4-byte Folded Spill
	v_add_u32_e32 v0, 8, v1
	v_mul_lo_u32 v10, s15, v13
	v_lshrrev_b32_e32 v27, 5, v79
	v_add_u32_e32 v26, 16, v1
	v_lshlrev_b32_e32 v23, 7, v0
	buffer_store_dword v10, off, s[20:23], 0 offset:204 ; 4-byte Folded Spill
	v_add_u32_e32 v10, 24, v25
	v_cvt_f64_u32_e32 v[13:14], v10
	v_add_u32_e32 v10, 32, v25
	v_cvt_f64_u32_e32 v[15:16], v10
	v_add_u32_e32 v10, 40, v25
	v_cvt_f64_u32_e32 v[17:18], v10
	v_min_f64 v[13:14], v[13:14], v[11:12]
	v_add_u32_e32 v10, 48, v25
	v_min_f64 v[15:16], v[15:16], v[11:12]
	v_min_f64 v[17:18], v[17:18], v[11:12]
	v_cvt_f64_u32_e32 v[19:20], v10
	v_add_u32_e32 v10, 56, v25
	v_cvt_f64_u32_e32 v[21:22], v10
	v_lshlrev_b32_e32 v0, 5, v0
	v_cvt_i32_f64_e32 v25, v[13:14]
	v_min_f64 v[13:14], v[19:20], v[11:12]
	v_cvt_i32_f64_e32 v15, v[15:16]
	v_cvt_i32_f64_e32 v16, v[17:18]
	v_min_f64 v[10:11], v[21:22], v[11:12]
	v_add_u32_e32 v2, 24, v1
	buffer_store_dword v0, off, s[20:23], 0 offset:136 ; 4-byte Folded Spill
	v_lshlrev_b32_e32 v0, 5, v26
	v_add_u32_e32 v3, 32, v1
	v_cvt_i32_f64_e32 v13, v[13:14]
	v_mul_lo_u32 v14, s15, v16
	buffer_store_dword v0, off, s[20:23], 0 offset:140 ; 4-byte Folded Spill
	v_lshlrev_b32_e32 v0, 5, v2
	v_add_u32_e32 v4, 40, v1
	buffer_store_dword v14, off, s[20:23], 0 offset:216 ; 4-byte Folded Spill
	v_lshlrev_b32_e32 v14, 2, v27
	v_add3_u32 v14, v28, v14, s1
	buffer_store_dword v14, off, s[20:23], 0 offset:228 ; 4-byte Folded Spill
	v_add_u32_e32 v14, 32, v79
	buffer_store_dword v0, off, s[20:23], 0 offset:144 ; 4-byte Folded Spill
	v_lshlrev_b32_e32 v0, 5, v3
	v_add_u32_e32 v5, 48, v1
	v_lshrrev_b32_e32 v22, 3, v14
	buffer_store_dword v0, off, s[20:23], 0 offset:148 ; 4-byte Folded Spill
	v_lshlrev_b32_e32 v0, 5, v4
	v_add_u32_e32 v6, 56, v1
	v_lshlrev_b32_e32 v16, 2, v14
	v_and_b32_e32 v14, 60, v22
	buffer_store_dword v0, off, s[20:23], 0 offset:152 ; 4-byte Folded Spill
	v_lshlrev_b32_e32 v0, 5, v5
	v_add3_u32 v14, v28, v14, s1
	buffer_store_dword v0, off, s[20:23], 0 offset:156 ; 4-byte Folded Spill
	v_lshlrev_b32_e32 v0, 5, v6
	v_cvt_i32_f64_e32 v10, v[10:11]
	buffer_store_dword v14, off, s[20:23], 0 offset:232 ; 4-byte Folded Spill
	v_add_u32_e32 v14, 64, v79
	buffer_store_dword v0, off, s[20:23], 0 offset:160 ; 4-byte Folded Spill
	v_mov_b32_e32 v0, 0x1080
	v_lshlrev_b32_e32 v17, 2, v14
	v_lshrrev_b32_e32 v14, 3, v14
	v_mad_u32_u24 v0, v79, s0, v0
	v_mul_lo_u32 v12, s15, v25
	v_and_b32_e32 v18, 60, v14
	buffer_store_dword v0, off, s[20:23], 0 offset:164 ; 4-byte Folded Spill
	v_mov_b32_e32 v0, 0x2100
	v_mul_lo_u32 v15, s15, v15
	v_add3_u32 v18, v28, v18, s1
	v_mad_u32_u24 v0, v79, s0, v0
	v_mul_lo_u32 v13, s15, v13
	v_mul_lo_u32 v10, s15, v10
	buffer_store_dword v18, off, s[20:23], 0 offset:236 ; 4-byte Folded Spill
	v_add_u32_e32 v18, 0x60, v79
	buffer_store_dword v0, off, s[20:23], 0 offset:168 ; 4-byte Folded Spill
	v_mov_b32_e32 v0, 0x3180
	v_and_b32_e32 v9, 28, v28
	v_lshlrev_b32_e32 v19, 2, v18
	v_lshrrev_b32_e32 v18, 3, v18
	v_mad_u32_u24 v0, v79, s0, v0
	v_cndmask_b32_e64 v8, 0, 1, vcc
	buffer_store_dword v12, off, s[20:23], 0 offset:208 ; 4-byte Folded Spill
	v_lshlrev_b32_e32 v12, 7, v2
	v_and_b32_e32 v20, 60, v18
	buffer_store_dword v0, off, s[20:23], 0 offset:172 ; 4-byte Folded Spill
	v_mov_b32_e32 v0, s3
	v_add_co_u32_e32 v2, vcc, s2, v9
	buffer_store_dword v15, off, s[20:23], 0 offset:212 ; 4-byte Folded Spill
	v_lshlrev_b32_e32 v15, 7, v3
	v_add3_u32 v20, v28, v20, s1
	v_addc_co_u32_e32 v3, vcc, 0, v0, vcc
	v_mad_u32_u24 v0, v79, s0, 64
	buffer_store_dword v13, off, s[20:23], 0 offset:220 ; 4-byte Folded Spill
	buffer_store_dword v10, off, s[20:23], 0 offset:224 ; 4-byte Folded Spill
	;; [unrolled: 1-line block ×5, first 2 shown]
	s_nop 0
	buffer_store_dword v3, off, s[20:23], 0 offset:248 ; 4-byte Folded Spill
	buffer_store_dword v0, off, s[20:23], 0 offset:408 ; 4-byte Folded Spill
	v_mov_b32_e32 v0, 0x6a40
	v_lshl_add_u32 v0, v1, 4, v0
	buffer_store_dword v0, off, s[20:23], 0 offset:412 ; 4-byte Folded Spill
	v_lshlrev_b32_e32 v0, 2, v18
	buffer_store_dword v0, off, s[20:23], 0 offset:56 ; 4-byte Folded Spill
	v_lshlrev_b32_e32 v0, 2, v7
	;; [unrolled: 2-line block ×6, first 2 shown]
	v_lshlrev_b32_e32 v24, 7, v26
	buffer_store_dword v0, off, s[20:23], 0 offset:184 ; 4-byte Folded Spill
	v_add_u32_e32 v0, v29, v23
	buffer_store_dword v0, off, s[20:23], 0 offset:252 ; 4-byte Folded Spill
	v_add_u32_e32 v0, v29, v24
	;; [unrolled: 2-line block ×3, first 2 shown]
	v_lshlrev_b32_e32 v11, 7, v4
	buffer_store_dword v0, off, s[20:23], 0 offset:260 ; 4-byte Folded Spill
	v_add_u32_e32 v0, v29, v15
	v_lshlrev_b32_e32 v13, 7, v5
	buffer_store_dword v0, off, s[20:23], 0 offset:264 ; 4-byte Folded Spill
	v_add_u32_e32 v0, v29, v11
	v_lshrrev_b32_e32 v30, 3, v79
	v_lshlrev_b32_e32 v10, 7, v6
	buffer_store_dword v0, off, s[20:23], 0 offset:268 ; 4-byte Folded Spill
	v_add_u32_e32 v0, v29, v13
	s_movk_i32 s5, 0x90
	s_mov_b32 s14, 0
	v_mov_b32_e32 v89, 0
	v_lshlrev_b32_e32 v116, 2, v14
	buffer_store_dword v22, off, s[20:23], 0 offset:404 ; 4-byte Folded Spill
	v_lshlrev_b32_e32 v117, 2, v22
	buffer_store_dword v30, off, s[20:23], 0 offset:400 ; 4-byte Folded Spill
	v_lshlrev_b32_e32 v118, 2, v30
	s_mov_b32 s15, 0x30303030
	buffer_store_dword v0, off, s[20:23], 0 offset:272 ; 4-byte Folded Spill
	buffer_store_dword v29, off, s[20:23], 0 offset:388 ; 4-byte Folded Spill
	v_add_u32_e32 v0, v29, v10
	v_mov_b32_e32 v26, 0
	v_mov_b32_e32 v22, 0
	v_mov_b32_e32 v17, 0
	v_mov_b32_e32 v88, 0
	v_mov_b32_e32 v76, 0
	v_mov_b32_e32 v47, 0
	v_mov_b32_e32 v40, 0
	v_mov_b32_e32 v49, 0
	v_mov_b32_e32 v2, 0
	v_mov_b32_e32 v20, 0
	v_mov_b32_e32 v16, 0
	v_mov_b32_e32 v84, 0
	v_mov_b32_e32 v69, 0
	v_mov_b32_e32 v43, 0
	v_mov_b32_e32 v39, 0
	v_mov_b32_e32 v33, 0
	v_mov_b32_e32 v24, 0
	v_mov_b32_e32 v19, 0
	v_mov_b32_e32 v15, 0
	v_mov_b32_e32 v80, 0
	v_mov_b32_e32 v67, 0
	v_mov_b32_e32 v42, 0
	v_mov_b32_e32 v37, 0
	v_mov_b32_e32 v27, 0
	v_mov_b32_e32 v23, 0
	v_mov_b32_e32 v18, 0
	v_mov_b32_e32 v90, 0
	v_mov_b32_e32 v77, 0
	v_mov_b32_e32 v57, 0
	v_mov_b32_e32 v41, 0
	v_mov_b32_e32 v36, 0
	buffer_store_dword v0, off, s[20:23], 0 offset:276 ; 4-byte Folded Spill
	buffer_store_dword v1, off, s[20:23], 0 offset:280 ; 4-byte Folded Spill
	;; [unrolled: 1-line block ×7, first 2 shown]
.LBB171_5:                              ; =>This Loop Header: Depth=1
                                        ;     Child Loop BB171_6 Depth 2
                                        ;     Child Loop BB171_8 Depth 2
	buffer_store_dword v27, off, s[20:23], 0 offset:44 ; 4-byte Folded Spill
	buffer_store_dword v26, off, s[20:23], 0 offset:40 ; 4-byte Folded Spill
	;; [unrolled: 1-line block ×11, first 2 shown]
	buffer_store_dword v15, off, s[20:23], 0 ; 4-byte Folded Spill
	buffer_load_dword v0, off, s[20:23], 0 offset:284 ; 4-byte Folded Reload
	buffer_load_dword v8, off, s[20:23], 0 offset:288 ; 4-byte Folded Reload
	buffer_load_dword v10, off, s[20:23], 0 offset:292 ; 4-byte Folded Reload
	buffer_load_dword v11, off, s[20:23], 0 offset:420 ; 4-byte Folded Reload
	s_mul_i32 s0, s14, 0x90
	s_mul_hi_u32 s1, s14, 0x90
	s_add_u32 s0, s7, s0
	s_addc_u32 s1, s9, s1
	v_mov_b32_e32 v3, s1
	v_mov_b32_e32 v2, s0
	s_lshl_b32 s16, s14, 3
	s_mov_b32 s18, 0
	s_waitcnt vmcnt(3)
	v_mad_u64_u32 v[4:5], s[0:1], v0, s5, v[2:3]
	v_mul_i32_i24_e32 v0, s4, v1
	v_mad_u64_u32 v[0:1], s[0:1], v0, s5, v[4:5]
	s_waitcnt vmcnt(2)
	v_add_co_u32_e32 v0, vcc, v0, v8
	v_addc_co_u32_e32 v1, vcc, 0, v1, vcc
	global_load_dword v0, v[0:1], off offset:16
	s_waitcnt vmcnt(0)
	ds_write_b32 v10, v0
	buffer_load_dword v0, off, s[20:23], 0 offset:296 ; 4-byte Folded Reload
	s_waitcnt vmcnt(0)
	v_mad_u64_u32 v[0:1], s[0:1], v0, s5, v[4:5]
	v_add_co_u32_e32 v0, vcc, v0, v8
	v_addc_co_u32_e32 v1, vcc, 0, v1, vcc
	global_load_dword v0, v[0:1], off offset:16
	v_add_u32_e32 v1, 0x420, v10
	s_waitcnt vmcnt(0)
	ds_write_b32 v1, v0
	buffer_load_dword v0, off, s[20:23], 0 offset:300 ; 4-byte Folded Reload
	s_waitcnt vmcnt(0)
	v_mad_u64_u32 v[0:1], s[0:1], v0, s5, v[4:5]
	v_add_co_u32_e32 v0, vcc, v0, v8
	v_addc_co_u32_e32 v1, vcc, 0, v1, vcc
	global_load_dword v0, v[0:1], off offset:16
	v_add_u32_e32 v1, 0x840, v10
	;; [unrolled: 9-line block ×15, first 2 shown]
	buffer_load_dword v8, off, s[20:23], 0 offset:368 ; 4-byte Folded Reload
	buffer_load_dword v10, off, s[20:23], 0 offset:416 ; 4-byte Folded Reload
	s_waitcnt vmcnt(2)
	ds_write_b32 v1, v0
	buffer_load_dword v0, off, s[20:23], 0 offset:356 ; 4-byte Folded Reload
	s_waitcnt vmcnt(0)
	v_mad_u64_u32 v[0:1], s[0:1], v0, s5, v[2:3]
	global_load_dword v0, v[0:1], off
	s_nop 0
	buffer_load_dword v1, off, s[20:23], 0 offset:360 ; 4-byte Folded Reload
	s_waitcnt vmcnt(0)
	ds_write_b32 v1, v0
	buffer_load_dword v0, off, s[20:23], 0 offset:372 ; 4-byte Folded Reload
	s_waitcnt vmcnt(0)
	v_mad_u64_u32 v[0:1], s[0:1], v0, s5, v[2:3]
	v_add_co_u32_e32 v4, vcc, v0, v10
	v_addc_co_u32_e32 v5, vcc, 0, v1, vcc
	v_add_co_u32_e32 v0, vcc, v0, v11
	v_addc_co_u32_e32 v1, vcc, 0, v1, vcc
	global_load_dword v4, v[4:5], off offset:4
	s_nop 0
	global_load_dword v0, v[0:1], off offset:4
	s_waitcnt vmcnt(0)
	v_ashrrev_i32_e32 v0, v8, v0
	buffer_load_dword v5, off, s[20:23], 0 offset:364 ; 4-byte Folded Reload
	buffer_load_dword v1, off, s[20:23], 0 offset:376 ; 4-byte Folded Reload
	s_waitcnt vmcnt(1)
	v_ashrrev_i32_e32 v4, v5, v4
	v_and_b32_e32 v4, 0xf0f0f0f, v4
	v_and_or_b32 v0, v0, s15, v4
	s_waitcnt vmcnt(0)
	ds_write_b32 v1, v0
	buffer_load_dword v0, off, s[20:23], 0 offset:380 ; 4-byte Folded Reload
	s_waitcnt vmcnt(0)
	v_mad_u64_u32 v[0:1], s[0:1], v0, s5, v[2:3]
	v_add_co_u32_e32 v2, vcc, v0, v10
	v_addc_co_u32_e32 v3, vcc, 0, v1, vcc
	v_add_co_u32_e32 v0, vcc, v0, v11
	global_load_dword v2, v[2:3], off offset:4
	v_addc_co_u32_e32 v1, vcc, 0, v1, vcc
	global_load_dword v0, v[0:1], off offset:4
	s_waitcnt vmcnt(1)
	v_ashrrev_i32_e32 v2, v5, v2
	buffer_load_dword v1, off, s[20:23], 0 offset:384 ; 4-byte Folded Reload
	v_and_b32_e32 v2, 0xf0f0f0f, v2
	s_waitcnt vmcnt(1)
	v_ashrrev_i32_e32 v0, v8, v0
	v_and_or_b32 v0, v0, s15, v2
	s_waitcnt vmcnt(0)
	ds_write_b32 v1, v0
	buffer_load_dword v0, off, s[20:23], 0 offset:392 ; 4-byte Folded Reload
	buffer_load_dword v1, off, s[20:23], 0 offset:396 ; 4-byte Folded Reload
	s_waitcnt vmcnt(1)
	v_add_u32_e32 v6, s16, v0
	buffer_load_dword v0, off, s[20:23], 0 offset:400 ; 4-byte Folded Reload
	s_waitcnt vmcnt(0)
	v_add_u32_e32 v2, s16, v0
	buffer_load_dword v0, off, s[20:23], 0 offset:192 ; 4-byte Folded Reload
	buffer_load_dword v4, off, s[20:23], 0 offset:244 ; 4-byte Folded Reload
	;; [unrolled: 1-line block ×3, first 2 shown]
	s_waitcnt vmcnt(2)
	v_add_u32_e32 v0, v2, v0
	s_waitcnt vmcnt(0)
	v_mad_i64_i32 v[0:1], s[0:1], v0, 36, v[4:5]
	global_load_dword v0, v[0:1], off offset:4
	s_nop 0
	buffer_load_dword v1, off, s[20:23], 0 offset:388 ; 4-byte Folded Reload
	buffer_load_dword v3, off, s[20:23], 0 offset:196 ; 4-byte Folded Reload
	s_waitcnt vmcnt(0)
	v_add_u32_e32 v1, v1, v3
	ds_write_b32 v1, v0
	buffer_load_dword v0, off, s[20:23], 0 offset:200 ; 4-byte Folded Reload
	s_waitcnt vmcnt(0)
	v_add_u32_e32 v0, v2, v0
	buffer_store_dword v1, off, s[20:23], 0 offset:76 ; 4-byte Folded Spill
	v_mad_i64_i32 v[0:1], s[0:1], v0, 36, v[4:5]
	buffer_store_dword v6, off, s[20:23], 0 offset:72 ; 4-byte Folded Spill
	global_load_dword v0, v[0:1], off offset:4
	s_nop 0
	buffer_load_dword v1, off, s[20:23], 0 offset:252 ; 4-byte Folded Reload
	s_waitcnt vmcnt(0)
	ds_write_b32 v1, v0
	buffer_load_dword v0, off, s[20:23], 0 offset:204 ; 4-byte Folded Reload
	s_waitcnt vmcnt(0)
	v_add_u32_e32 v0, v2, v0
	v_mad_i64_i32 v[0:1], s[0:1], v0, 36, v[4:5]
	global_load_dword v0, v[0:1], off offset:4
	s_nop 0
	buffer_load_dword v1, off, s[20:23], 0 offset:256 ; 4-byte Folded Reload
	s_waitcnt vmcnt(0)
	ds_write_b32 v1, v0
	buffer_load_dword v0, off, s[20:23], 0 offset:208 ; 4-byte Folded Reload
	s_waitcnt vmcnt(0)
	v_add_u32_e32 v0, v2, v0
	v_mad_i64_i32 v[0:1], s[0:1], v0, 36, v[4:5]
	global_load_dword v0, v[0:1], off offset:4
	s_nop 0
	buffer_load_dword v1, off, s[20:23], 0 offset:260 ; 4-byte Folded Reload
	s_waitcnt vmcnt(0)
	ds_write_b32 v1, v0
	buffer_load_dword v0, off, s[20:23], 0 offset:212 ; 4-byte Folded Reload
	s_waitcnt vmcnt(0)
	v_add_u32_e32 v0, v2, v0
	v_mad_i64_i32 v[0:1], s[0:1], v0, 36, v[4:5]
	global_load_dword v0, v[0:1], off offset:4
	s_nop 0
	buffer_load_dword v1, off, s[20:23], 0 offset:264 ; 4-byte Folded Reload
	s_waitcnt vmcnt(0)
	ds_write_b32 v1, v0
	buffer_load_dword v0, off, s[20:23], 0 offset:216 ; 4-byte Folded Reload
	s_waitcnt vmcnt(0)
	v_add_u32_e32 v0, v2, v0
	v_mad_i64_i32 v[0:1], s[0:1], v0, 36, v[4:5]
	global_load_dword v0, v[0:1], off offset:4
	s_nop 0
	buffer_load_dword v1, off, s[20:23], 0 offset:268 ; 4-byte Folded Reload
	s_waitcnt vmcnt(0)
	ds_write_b32 v1, v0
	buffer_load_dword v0, off, s[20:23], 0 offset:220 ; 4-byte Folded Reload
	s_waitcnt vmcnt(0)
	v_add_u32_e32 v0, v2, v0
	v_mad_i64_i32 v[0:1], s[0:1], v0, 36, v[4:5]
	global_load_dword v0, v[0:1], off offset:4
	s_nop 0
	buffer_load_dword v1, off, s[20:23], 0 offset:272 ; 4-byte Folded Reload
	s_waitcnt vmcnt(0)
	ds_write_b32 v1, v0
	buffer_load_dword v0, off, s[20:23], 0 offset:224 ; 4-byte Folded Reload
	s_waitcnt vmcnt(0)
	v_add_u32_e32 v0, v2, v0
	v_mad_i64_i32 v[0:1], s[0:1], v0, 36, v[4:5]
	global_load_dword v0, v[0:1], off offset:4
	s_nop 0
	buffer_load_dword v1, off, s[20:23], 0 offset:276 ; 4-byte Folded Reload
	s_waitcnt vmcnt(0)
	ds_write_b32 v1, v0
	v_mad_u64_u32 v[0:1], s[0:1], v6, 36, s[2:3]
	s_mov_b64 s[0:1], -1
	global_load_dword v0, v[0:1], off
	s_nop 0
	buffer_load_dword v1, off, s[20:23], 0 offset:188 ; 4-byte Folded Reload
	s_waitcnt vmcnt(0)
	ds_write_b32 v1, v0
	s_waitcnt lgkmcnt(0)
	s_barrier
	buffer_load_dword v0, off, s[20:23], 0 offset:228 ; 4-byte Folded Reload
	s_waitcnt vmcnt(0)
	ds_read_b32 v0, v0
	s_waitcnt lgkmcnt(0)
	v_cvt_f32_f16_e32 v85, v0
	v_cvt_f32_f16_sdwa v64, v0 dst_sel:DWORD dst_unused:UNUSED_PAD src0_sel:WORD_1
	buffer_load_dword v0, off, s[20:23], 0 offset:232 ; 4-byte Folded Reload
	s_waitcnt vmcnt(0)
	ds_read_b32 v0, v0 offset:128
	s_waitcnt lgkmcnt(0)
	v_cvt_f32_f16_sdwa v66, v0 dst_sel:DWORD dst_unused:UNUSED_PAD src0_sel:WORD_1
	v_cvt_f32_f16_e32 v68, v0
	buffer_load_dword v0, off, s[20:23], 0 offset:236 ; 4-byte Folded Reload
	s_waitcnt vmcnt(0)
	ds_read_b32 v0, v0 offset:256
	s_waitcnt lgkmcnt(0)
	v_cvt_f32_f16_sdwa v72, v0 dst_sel:DWORD dst_unused:UNUSED_PAD src0_sel:WORD_1
	v_cvt_f32_f16_e32 v73, v0
	;; [unrolled: 6-line block ×3, first 2 shown]
.LBB171_6:                              ;   Parent Loop BB171_5 Depth=1
                                        ; =>  This Inner Loop Header: Depth=2
	buffer_load_dword v0, off, s[20:23], 0 offset:132 ; 4-byte Folded Reload
	s_lshl_b32 s17, s18, 1
	s_lshr_b32 s19, s18, 2
	s_addk_i32 s19, 0x6200
	s_lshl_b32 s18, s18, 2
	s_and_b64 vcc, exec, s[0:1]
	s_mov_b64 s[0:1], 0
	s_waitcnt vmcnt(0)
	v_or_b32_e32 v0, s17, v0
	v_lshlrev_b32_e32 v1, 2, v0
	v_lshrrev_b32_e32 v24, 1, v0
	ds_read_b128 v[14:17], v1 offset:16896
	ds_read_b128 v[10:13], v1 offset:16912
	;; [unrolled: 1-line block ×4, first 2 shown]
	buffer_load_dword v0, off, s[20:23], 0 offset:128 ; 4-byte Folded Reload
	s_waitcnt vmcnt(0)
	v_lshlrev_b32_e32 v0, 2, v0
	v_add3_u32 v25, s19, v118, v0
	v_mul_u32_u24_e32 v0, 0x84, v79
	v_add_u32_e32 v22, s18, v0
	ds_read2_b32 v[0:1], v22 offset1:1
	s_waitcnt lgkmcnt(0)
	v_and_b32_e32 v59, 0xf0f0f0f, v0
	v_dot4_i32_i8 v18, v59, v14, 0
	v_and_b32_e32 v60, 0xf0f0f0f, v1
	v_dot4_i32_i8 v20, v60, v15, v18
	ds_read2_b32 v[18:19], v22 offset0:2 offset1:3
	v_lshrrev_b32_e32 v0, 4, v0
	v_and_b32_e32 v70, 0xf0f0f0f, v0
	v_lshrrev_b32_e32 v1, 4, v1
	v_dot4_i32_i8 v0, v70, v6, 0
	s_waitcnt lgkmcnt(0)
	v_and_b32_e32 v61, 0xf0f0f0f, v18
	v_dot4_i32_i8 v20, v61, v16, v20
	v_and_b32_e32 v62, 0xf0f0f0f, v19
	v_dot4_i32_i8 v23, v62, v17, v20
	ds_read2_b32 v[20:21], v22 offset0:4 offset1:5
	v_and_b32_e32 v1, 0xf0f0f0f, v1
	v_lshrrev_b32_e32 v18, 4, v18
	v_dot4_i32_i8 v0, v1, v7, v0
	v_and_b32_e32 v71, 0xf0f0f0f, v18
	s_waitcnt lgkmcnt(0)
	v_and_b32_e32 v63, 0xf0f0f0f, v20
	v_dot4_i32_i8 v23, v63, v10, v23
	v_and_b32_e32 v111, 0xf0f0f0f, v21
	v_dot4_i32_i8 v26, v111, v11, v23
	ds_read2_b32 v[22:23], v22 offset0:6 offset1:7
	v_lshrrev_b32_e32 v18, 4, v19
	v_dot4_i32_i8 v0, v71, v8, v0
	v_and_b32_e32 v81, 0xf0f0f0f, v18
	v_lshrrev_b32_e32 v18, 4, v20
	ds_read_u16 v27, v25
	ds_read_u8 v28, v25 offset:8
	ds_read_u8 v25, v25 offset:9
	v_dot4_i32_i8 v0, v81, v9, v0
	v_and_b32_e32 v83, 0xf0f0f0f, v18
	v_lshrrev_b32_e32 v18, 4, v21
	s_waitcnt lgkmcnt(3)
	v_and_b32_e32 v112, 0xf0f0f0f, v22
	v_dot4_i32_i8 v0, v83, v2, v0
	v_and_b32_e32 v86, 0xf0f0f0f, v18
	v_lshrrev_b32_e32 v18, 4, v22
	v_dot4_i32_i8 v26, v112, v12, v26
	v_and_b32_e32 v97, 0xf0f0f0f, v23
	v_dot4_i32_i8 v0, v86, v3, v0
	v_and_b32_e32 v87, 0xf0f0f0f, v18
	v_lshrrev_b32_e32 v18, 4, v23
	v_dot4_i32_i8 v26, v97, v13, v26
	v_dot4_i32_i8 v0, v87, v4, v0
	v_and_b32_e32 v91, 0xf0f0f0f, v18
	s_waitcnt lgkmcnt(2)
	v_and_b32_e32 v94, 0xff, v27
	v_dot4_i32_i8 v0, v91, v5, v0
	v_lshrrev_b16_e32 v92, 8, v27
	v_mul_lo_u32 v18, v26, v94
	v_mul_lo_u32 v0, v0, v92
	ds_read_b64 v[21:22], v24 offset:27200
	s_waitcnt lgkmcnt(2)
	v_cvt_f32_ubyte0_e32 v78, v28
	v_cvt_f32_i32_e32 v18, v18
	v_cvt_f32_i32_e32 v0, v0
	s_waitcnt lgkmcnt(1)
	v_cvt_f32_ubyte0_e32 v93, v25
	s_waitcnt lgkmcnt(0)
	v_fma_mix_f32 v19, v21, v78, 0 op_sel:[1,0,0] op_sel_hi:[1,0,0]
	v_fma_mix_f32 v18, v21, v18, 0 op_sel_hi:[1,0,0]
	v_fma_mix_f32 v0, v22, v0, v18 op_sel_hi:[1,0,0]
	v_fma_mix_f32 v18, v22, v93, v19 op_sel:[1,0,0] op_sel_hi:[1,0,0]
	v_mul_f32_e32 v18, v18, v64
	v_fma_f32 v0, v0, v85, -v18
	v_add_f32_e32 v89, v89, v0
	buffer_load_dword v0, off, s[20:23], 0 offset:176 ; 4-byte Folded Reload
	buffer_load_dword v18, off, s[20:23], 0 offset:164 ; 4-byte Folded Reload
	s_waitcnt vmcnt(1)
	v_add3_u32 v0, s19, v117, v0
	s_waitcnt vmcnt(0)
	v_add_u32_e32 v20, s18, v18
	ds_read2_b32 v[18:19], v20 offset1:1
	s_waitcnt lgkmcnt(0)
	v_and_b32_e32 v95, 0xf0f0f0f, v18
	v_dot4_i32_i8 v23, v95, v14, 0
	v_and_b32_e32 v96, 0xf0f0f0f, v19
	v_dot4_i32_i8 v25, v96, v15, v23
	ds_read2_b32 v[23:24], v20 offset0:2 offset1:3
	v_lshrrev_b32_e32 v18, 4, v18
	v_and_b32_e32 v125, 0xf0f0f0f, v18
	v_lshrrev_b32_e32 v19, 4, v19
	v_dot4_i32_i8 v18, v125, v6, 0
	s_waitcnt lgkmcnt(0)
	v_and_b32_e32 v98, 0xf0f0f0f, v23
	v_dot4_i32_i8 v25, v98, v16, v25
	v_and_b32_e32 v99, 0xf0f0f0f, v24
	v_dot4_i32_i8 v27, v99, v17, v25
	ds_read2_b32 v[25:26], v20 offset0:4 offset1:5
	v_and_b32_e32 v126, 0xf0f0f0f, v19
	v_lshrrev_b32_e32 v19, 4, v23
	v_dot4_i32_i8 v18, v126, v7, v18
	v_and_b32_e32 v127, 0xf0f0f0f, v19
	s_waitcnt lgkmcnt(0)
	v_and_b32_e32 v100, 0xf0f0f0f, v25
	v_dot4_i32_i8 v27, v100, v10, v27
	v_and_b32_e32 v117, 0xf0f0f0f, v26
	v_dot4_i32_i8 v29, v117, v11, v27
	ds_read2_b32 v[27:28], v20 offset0:6 offset1:7
	v_lshrrev_b32_e32 v19, 4, v24
	v_dot4_i32_i8 v18, v127, v8, v18
	v_and_b32_e32 v38, 0xf0f0f0f, v19
	v_lshrrev_b32_e32 v19, 4, v25
	s_waitcnt lgkmcnt(0)
	v_and_b32_e32 v118, 0xf0f0f0f, v27
	v_dot4_i32_i8 v20, v118, v12, v29
	ds_read_u16 v29, v0
	ds_read_u16 v0, v0 offset:8
	v_dot4_i32_i8 v18, v38, v9, v18
	v_and_b32_e32 v82, 0xf0f0f0f, v19
	v_lshrrev_b32_e32 v19, 4, v26
	v_dot4_i32_i8 v18, v82, v2, v18
	v_and_b32_e32 v44, 0xf0f0f0f, v19
	v_lshrrev_b32_e32 v19, 4, v27
	v_and_b32_e32 v122, 0xf0f0f0f, v28
	v_dot4_i32_i8 v18, v44, v3, v18
	v_and_b32_e32 v46, 0xf0f0f0f, v19
	v_lshrrev_b32_e32 v19, 4, v28
	v_dot4_i32_i8 v20, v122, v13, v20
	s_waitcnt lgkmcnt(1)
	v_and_b32_e32 v123, 0xff, v29
	v_dot4_i32_i8 v18, v46, v4, v18
	v_and_b32_e32 v48, 0xf0f0f0f, v19
	v_mul_lo_u32 v20, v20, v123
	v_dot4_i32_i8 v18, v48, v5, v18
	v_lshrrev_b16_e32 v65, 8, v29
	v_mul_lo_u32 v18, v18, v65
	v_cvt_f32_i32_e32 v20, v20
	s_waitcnt lgkmcnt(0)
	v_cvt_f32_ubyte0_e32 v124, v0
	v_cvt_f32_ubyte1_e32 v45, v0
	v_cvt_f32_i32_e32 v18, v18
	v_fma_mix_f32 v0, v21, v124, 0 op_sel:[1,0,0] op_sel_hi:[1,0,0]
	v_fma_mix_f32 v19, v21, v20, 0 op_sel_hi:[1,0,0]
	v_fma_mix_f32 v0, v22, v45, v0 op_sel:[1,0,0] op_sel_hi:[1,0,0]
	v_fma_mix_f32 v18, v22, v18, v19 op_sel_hi:[1,0,0]
	v_mul_f32_e32 v0, v0, v66
	v_fma_f32 v0, v18, v68, -v0
	v_add_f32_e32 v49, v49, v0
	buffer_load_dword v0, off, s[20:23], 0 offset:180 ; 4-byte Folded Reload
	buffer_load_dword v18, off, s[20:23], 0 offset:168 ; 4-byte Folded Reload
	s_waitcnt vmcnt(1)
	v_add3_u32 v0, s19, v116, v0
	s_waitcnt vmcnt(0)
	v_add_u32_e32 v18, s18, v18
	ds_read2_b32 v[23:24], v18 offset1:1
	buffer_store_dword v49, off, s[20:23], 0 offset:48 ; 4-byte Folded Spill
	s_waitcnt lgkmcnt(0)
	v_and_b32_e32 v19, 0xf0f0f0f, v23
	v_dot4_i32_i8 v25, v19, v14, 0
	v_and_b32_e32 v20, 0xf0f0f0f, v24
	v_dot4_i32_i8 v27, v20, v15, v25
	ds_read2_b32 v[25:26], v18 offset0:2 offset1:3
	s_waitcnt lgkmcnt(0)
	v_and_b32_e32 v101, 0xf0f0f0f, v25
	v_dot4_i32_i8 v27, v101, v16, v27
	v_and_b32_e32 v102, 0xf0f0f0f, v26
	v_dot4_i32_i8 v29, v102, v17, v27
	ds_read2_b32 v[27:28], v18 offset0:4 offset1:5
	;; [unrolled: 6-line block ×3, first 2 shown]
	s_waitcnt lgkmcnt(0)
	v_and_b32_e32 v105, 0xf0f0f0f, v29
	v_dot4_i32_i8 v18, v105, v12, v31
	ds_read_u16 v31, v0
	ds_read_u16 v32, v0 offset:8
	v_and_b32_e32 v106, 0xf0f0f0f, v30
	v_dot4_i32_i8 v18, v106, v13, v18
	s_waitcnt lgkmcnt(1)
	v_and_b32_e32 v107, 0xff, v31
	v_mul_lo_u32 v0, v18, v107
	s_waitcnt lgkmcnt(0)
	v_cvt_f32_ubyte0_e32 v108, v32
	v_cvt_f32_ubyte1_e32 v114, v32
	v_cvt_f32_i32_e32 v18, v0
	v_lshrrev_b32_e32 v0, 4, v23
	v_and_b32_e32 v109, 0xf0f0f0f, v0
	v_lshrrev_b32_e32 v23, 4, v24
	v_dot4_i32_i8 v0, v109, v6, 0
	v_and_b32_e32 v110, 0xf0f0f0f, v23
	v_lshrrev_b32_e32 v23, 4, v25
	v_dot4_i32_i8 v0, v110, v7, v0
	;; [unrolled: 3-line block ×7, first 2 shown]
	v_and_b32_e32 v113, 0xf0f0f0f, v23
	v_dot4_i32_i8 v23, v113, v5, v0
	v_lshrrev_b16_e32 v0, 8, v31
	v_mul_lo_u32 v23, v23, v0
	v_fma_mix_f32 v24, v21, v108, 0 op_sel:[1,0,0] op_sel_hi:[1,0,0]
	v_fma_mix_f32 v18, v21, v18, 0 op_sel_hi:[1,0,0]
	v_cvt_f32_i32_e32 v23, v23
	v_fma_mix_f32 v18, v22, v23, v18 op_sel_hi:[1,0,0]
	v_fma_mix_f32 v23, v22, v114, v24 op_sel:[1,0,0] op_sel_hi:[1,0,0]
	v_mul_f32_e32 v23, v23, v72
	v_fma_f32 v18, v18, v73, -v23
	v_add_f32_e32 v79, v33, v18
	buffer_load_dword v18, off, s[20:23], 0 offset:56 ; 4-byte Folded Reload
	buffer_load_dword v23, off, s[20:23], 0 offset:184 ; 4-byte Folded Reload
	s_waitcnt vmcnt(0)
	v_add3_u32 v18, s19, v18, v23
	buffer_load_dword v23, off, s[20:23], 0 offset:172 ; 4-byte Folded Reload
	s_waitcnt vmcnt(0)
	v_add_u32_e32 v26, s18, v23
	ds_read2_b32 v[49:50], v26 offset1:1
	s_mov_b32 s18, 8
	s_waitcnt lgkmcnt(0)
	v_and_b32_e32 v31, 0xf0f0f0f, v49
	v_dot4_i32_i8 v14, v31, v14, 0
	v_and_b32_e32 v32, 0xf0f0f0f, v50
	v_dot4_i32_i8 v23, v32, v15, v14
	ds_read2_b32 v[14:15], v26 offset0:2 offset1:3
	v_lshrrev_b32_e32 v33, 4, v49
	v_and_b32_e32 v56, 0xf0f0f0f, v33
	v_lshrrev_b32_e32 v33, 4, v50
	v_dot4_i32_i8 v6, v56, v6, 0
	s_waitcnt lgkmcnt(0)
	v_and_b32_e32 v30, 0xf0f0f0f, v14
	v_dot4_i32_i8 v16, v30, v16, v23
	v_and_b32_e32 v23, 0xf0f0f0f, v15
	v_dot4_i32_i8 v25, v23, v17, v16
	ds_read2_b32 v[16:17], v26 offset0:4 offset1:5
	v_and_b32_e32 v58, 0xf0f0f0f, v33
	v_dot4_i32_i8 v6, v58, v7, v6
	v_lshrrev_b32_e32 v7, 4, v14
	v_and_b32_e32 v55, 0xf0f0f0f, v7
	s_waitcnt lgkmcnt(0)
	v_and_b32_e32 v24, 0xf0f0f0f, v16
	v_dot4_i32_i8 v10, v24, v10, v25
	v_and_b32_e32 v25, 0xf0f0f0f, v17
	v_dot4_i32_i8 v27, v25, v11, v10
	ds_read2_b32 v[10:11], v26 offset0:6 offset1:7
	v_lshrrev_b32_e32 v7, 4, v15
	v_dot4_i32_i8 v6, v55, v8, v6
	v_and_b32_e32 v54, 0xf0f0f0f, v7
	v_lshrrev_b32_e32 v7, 4, v16
	s_waitcnt lgkmcnt(0)
	v_and_b32_e32 v26, 0xf0f0f0f, v10
	v_dot4_i32_i8 v12, v26, v12, v27
	v_and_b32_e32 v27, 0xf0f0f0f, v11
	v_dot4_i32_i8 v6, v54, v9, v6
	;; [unrolled: 2-line block ×3, first 2 shown]
	ds_read_u16 v13, v18
	ds_read_u16 v18, v18 offset:8
	v_dot4_i32_i8 v2, v53, v2, v6
	v_lshrrev_b32_e32 v6, 4, v17
	v_and_b32_e32 v52, 0xf0f0f0f, v6
	v_dot4_i32_i8 v2, v52, v3, v2
	v_lshrrev_b32_e32 v3, 4, v10
	v_and_b32_e32 v51, 0xf0f0f0f, v3
	v_lshrrev_b32_e32 v3, 4, v11
	s_waitcnt lgkmcnt(1)
	v_and_b32_e32 v28, 0xff, v13
	v_dot4_i32_i8 v2, v51, v4, v2
	v_and_b32_e32 v49, 0xf0f0f0f, v3
	v_mul_lo_u32 v12, v12, v28
	v_dot4_i32_i8 v2, v49, v5, v2
	v_lshrrev_b16_e32 v50, 8, v13
	v_mul_lo_u32 v2, v2, v50
	v_cvt_f32_i32_e32 v12, v12
	s_waitcnt lgkmcnt(0)
	v_cvt_f32_ubyte0_e32 v29, v18
	v_cvt_f32_ubyte1_e32 v18, v18
	v_cvt_f32_i32_e32 v2, v2
	v_fma_mix_f32 v3, v21, v29, 0 op_sel:[1,0,0] op_sel_hi:[1,0,0]
	v_fma_mix_f32 v4, v21, v12, 0 op_sel_hi:[1,0,0]
	v_fma_mix_f32 v3, v22, v18, v3 op_sel:[1,0,0] op_sel_hi:[1,0,0]
	v_fma_mix_f32 v2, v22, v2, v4 op_sel_hi:[1,0,0]
	v_mul_f32_e32 v3, v3, v74
	v_fma_f32 v2, v2, v75, -v3
	buffer_load_dword v3, off, s[20:23], 0 offset:44 ; 4-byte Folded Reload
	s_waitcnt vmcnt(0)
	v_add_f32_e32 v3, v3, v2
	buffer_load_dword v2, off, s[20:23], 0 offset:136 ; 4-byte Folded Reload
	s_waitcnt vmcnt(0)
	v_or_b32_e32 v2, s17, v2
	buffer_store_dword v3, off, s[20:23], 0 offset:44 ; 4-byte Folded Spill
	v_lshlrev_b32_e32 v3, 2, v2
	v_lshrrev_b32_e32 v21, 1, v2
	ds_read_b128 v[14:17], v3 offset:16896
	ds_read_b128 v[10:13], v3 offset:16912
	;; [unrolled: 1-line block ×4, first 2 shown]
	ds_read_b64 v[21:22], v21 offset:27200
	s_waitcnt lgkmcnt(4)
	v_dot4_i32_i8 v33, v59, v14, 0
	v_dot4_i32_i8 v33, v60, v15, v33
	s_waitcnt lgkmcnt(2)
	v_dot4_i32_i8 v35, v70, v6, 0
	v_dot4_i32_i8 v33, v61, v16, v33
	;; [unrolled: 1-line block ×8, first 2 shown]
	s_waitcnt lgkmcnt(1)
	v_dot4_i32_i8 v35, v83, v2, v35
	v_dot4_i32_i8 v33, v112, v12, v33
	;; [unrolled: 1-line block ×5, first 2 shown]
	v_mul_lo_u32 v33, v33, v94
	v_dot4_i32_i8 v35, v91, v5, v35
	v_mul_lo_u32 v35, v35, v92
	s_waitcnt lgkmcnt(0)
	v_fma_mix_f32 v34, v78, v21, 0 op_sel:[0,1,0] op_sel_hi:[0,1,0]
	v_cvt_f32_i32_e32 v33, v33
	v_fma_mix_f32 v34, v93, v22, v34 op_sel:[0,1,0] op_sel_hi:[0,1,0]
	v_cvt_f32_i32_e32 v35, v35
	v_mul_f32_e32 v34, v34, v64
	v_fma_mix_f32 v33, v33, v21, 0 op_sel_hi:[0,1,0]
	v_fma_mix_f32 v33, v35, v22, v33 op_sel_hi:[0,1,0]
	v_fma_f32 v33, v33, v85, -v34
	buffer_load_dword v34, off, s[20:23], 0 offset:40 ; 4-byte Folded Reload
	v_dot4_i32_i8 v35, v125, v6, 0
	v_dot4_i32_i8 v35, v126, v7, v35
	v_dot4_i32_i8 v35, v127, v8, v35
	v_dot4_i32_i8 v35, v38, v9, v35
	v_dot4_i32_i8 v35, v82, v2, v35
	v_dot4_i32_i8 v35, v44, v3, v35
	v_dot4_i32_i8 v35, v46, v4, v35
	v_dot4_i32_i8 v35, v48, v5, v35
	v_mul_lo_u32 v35, v35, v65
	v_cvt_f32_i32_e32 v35, v35
	s_waitcnt vmcnt(0)
	v_add_f32_e32 v34, v34, v33
	v_dot4_i32_i8 v33, v95, v14, 0
	v_dot4_i32_i8 v33, v96, v15, v33
	;; [unrolled: 1-line block ×8, first 2 shown]
	v_mul_lo_u32 v33, v33, v123
	buffer_store_dword v34, off, s[20:23], 0 offset:40 ; 4-byte Folded Spill
	v_fma_mix_f32 v34, v124, v21, 0 op_sel:[0,1,0] op_sel_hi:[0,1,0]
	v_fma_mix_f32 v34, v45, v22, v34 op_sel:[0,1,0] op_sel_hi:[0,1,0]
	v_cvt_f32_i32_e32 v33, v33
	v_mul_f32_e32 v34, v34, v66
	v_fma_mix_f32 v33, v33, v21, 0 op_sel_hi:[0,1,0]
	v_fma_mix_f32 v33, v35, v22, v33 op_sel_hi:[0,1,0]
	v_fma_f32 v33, v33, v68, -v34
	buffer_load_dword v34, off, s[20:23], 0 offset:36 ; 4-byte Folded Reload
	v_dot4_i32_i8 v35, v109, v6, 0
	v_dot4_i32_i8 v6, v56, v6, 0
	;; [unrolled: 1-line block ×16, first 2 shown]
	v_mul_lo_u32 v35, v35, v0
	v_mul_lo_u32 v2, v2, v50
	v_cvt_f32_i32_e32 v35, v35
	v_cvt_f32_i32_e32 v2, v2
	s_waitcnt vmcnt(0)
	v_add_f32_e32 v34, v34, v33
	v_dot4_i32_i8 v33, v19, v14, 0
	v_dot4_i32_i8 v14, v31, v14, 0
	;; [unrolled: 1-line block ×16, first 2 shown]
	v_mul_lo_u32 v33, v33, v107
	v_mul_lo_u32 v10, v10, v28
	buffer_store_dword v34, off, s[20:23], 0 offset:36 ; 4-byte Folded Spill
	v_fma_mix_f32 v34, v108, v21, 0 op_sel:[0,1,0] op_sel_hi:[0,1,0]
	v_cvt_f32_i32_e32 v33, v33
	v_cvt_f32_i32_e32 v10, v10
	v_fma_mix_f32 v11, v29, v21, 0 op_sel:[0,1,0] op_sel_hi:[0,1,0]
	v_fma_mix_f32 v34, v114, v22, v34 op_sel:[0,1,0] op_sel_hi:[0,1,0]
	v_fma_mix_f32 v33, v33, v21, 0 op_sel_hi:[0,1,0]
	v_fma_mix_f32 v10, v10, v21, 0 op_sel_hi:[0,1,0]
	v_fma_mix_f32 v3, v18, v22, v11 op_sel:[0,1,0] op_sel_hi:[0,1,0]
	v_fma_mix_f32 v33, v35, v22, v33 op_sel_hi:[0,1,0]
	v_mul_f32_e32 v34, v34, v72
	v_fma_mix_f32 v2, v2, v22, v10 op_sel_hi:[0,1,0]
	v_mul_f32_e32 v3, v3, v74
	v_fma_f32 v33, v33, v73, -v34
	buffer_load_dword v34, off, s[20:23], 0 offset:32 ; 4-byte Folded Reload
	v_fma_f32 v2, v2, v75, -v3
	buffer_load_dword v3, off, s[20:23], 0 offset:28 ; 4-byte Folded Reload
	s_waitcnt vmcnt(1)
	v_add_f32_e32 v34, v34, v33
	buffer_store_dword v34, off, s[20:23], 0 offset:32 ; 4-byte Folded Spill
	s_waitcnt vmcnt(1)
	v_add_f32_e32 v3, v3, v2
	buffer_load_dword v2, off, s[20:23], 0 offset:140 ; 4-byte Folded Reload
	s_waitcnt vmcnt(0)
	v_or_b32_e32 v2, s17, v2
	buffer_store_dword v3, off, s[20:23], 0 offset:28 ; 4-byte Folded Spill
	v_lshlrev_b32_e32 v3, 2, v2
	v_lshrrev_b32_e32 v21, 1, v2
	ds_read_b128 v[14:17], v3 offset:16896
	ds_read_b128 v[10:13], v3 offset:16912
	;; [unrolled: 1-line block ×4, first 2 shown]
	ds_read_b64 v[21:22], v21 offset:27200
	s_waitcnt lgkmcnt(4)
	v_dot4_i32_i8 v33, v59, v14, 0
	v_dot4_i32_i8 v33, v60, v15, v33
	s_waitcnt lgkmcnt(2)
	v_dot4_i32_i8 v35, v70, v6, 0
	v_dot4_i32_i8 v33, v61, v16, v33
	;; [unrolled: 1-line block ×8, first 2 shown]
	s_waitcnt lgkmcnt(1)
	v_dot4_i32_i8 v35, v83, v2, v35
	v_dot4_i32_i8 v33, v112, v12, v33
	;; [unrolled: 1-line block ×5, first 2 shown]
	v_mul_lo_u32 v33, v33, v94
	v_dot4_i32_i8 v35, v91, v5, v35
	v_mul_lo_u32 v35, v35, v92
	s_waitcnt lgkmcnt(0)
	v_fma_mix_f32 v34, v78, v21, 0 op_sel:[0,1,0] op_sel_hi:[0,1,0]
	v_cvt_f32_i32_e32 v33, v33
	v_fma_mix_f32 v34, v93, v22, v34 op_sel:[0,1,0] op_sel_hi:[0,1,0]
	v_cvt_f32_i32_e32 v35, v35
	v_mul_f32_e32 v34, v34, v64
	v_fma_mix_f32 v33, v33, v21, 0 op_sel_hi:[0,1,0]
	v_fma_mix_f32 v33, v35, v22, v33 op_sel_hi:[0,1,0]
	v_fma_f32 v33, v33, v85, -v34
	buffer_load_dword v34, off, s[20:23], 0 offset:24 ; 4-byte Folded Reload
	v_dot4_i32_i8 v35, v125, v6, 0
	v_dot4_i32_i8 v35, v126, v7, v35
	;; [unrolled: 1-line block ×8, first 2 shown]
	v_mul_lo_u32 v35, v35, v65
	v_cvt_f32_i32_e32 v35, v35
	s_waitcnt vmcnt(0)
	v_add_f32_e32 v34, v34, v33
	v_dot4_i32_i8 v33, v95, v14, 0
	v_dot4_i32_i8 v33, v96, v15, v33
	;; [unrolled: 1-line block ×8, first 2 shown]
	v_mul_lo_u32 v33, v33, v123
	buffer_store_dword v34, off, s[20:23], 0 offset:24 ; 4-byte Folded Spill
	v_fma_mix_f32 v34, v124, v21, 0 op_sel:[0,1,0] op_sel_hi:[0,1,0]
	v_fma_mix_f32 v34, v45, v22, v34 op_sel:[0,1,0] op_sel_hi:[0,1,0]
	v_cvt_f32_i32_e32 v33, v33
	v_mul_f32_e32 v34, v34, v66
	v_fma_mix_f32 v33, v33, v21, 0 op_sel_hi:[0,1,0]
	v_fma_mix_f32 v33, v35, v22, v33 op_sel_hi:[0,1,0]
	v_fma_f32 v33, v33, v68, -v34
	buffer_load_dword v34, off, s[20:23], 0 offset:20 ; 4-byte Folded Reload
	v_dot4_i32_i8 v35, v109, v6, 0
	v_dot4_i32_i8 v6, v56, v6, 0
	;; [unrolled: 1-line block ×16, first 2 shown]
	v_mul_lo_u32 v35, v35, v0
	v_mul_lo_u32 v2, v2, v50
	v_cvt_f32_i32_e32 v35, v35
	v_cvt_f32_i32_e32 v2, v2
	s_waitcnt vmcnt(0)
	v_add_f32_e32 v34, v34, v33
	v_dot4_i32_i8 v33, v19, v14, 0
	v_dot4_i32_i8 v14, v31, v14, 0
	;; [unrolled: 1-line block ×16, first 2 shown]
	v_mul_lo_u32 v33, v33, v107
	v_mul_lo_u32 v10, v10, v28
	buffer_store_dword v34, off, s[20:23], 0 offset:20 ; 4-byte Folded Spill
	v_fma_mix_f32 v34, v108, v21, 0 op_sel:[0,1,0] op_sel_hi:[0,1,0]
	v_cvt_f32_i32_e32 v33, v33
	v_cvt_f32_i32_e32 v10, v10
	v_fma_mix_f32 v11, v29, v21, 0 op_sel:[0,1,0] op_sel_hi:[0,1,0]
	v_fma_mix_f32 v34, v114, v22, v34 op_sel:[0,1,0] op_sel_hi:[0,1,0]
	v_fma_mix_f32 v33, v33, v21, 0 op_sel_hi:[0,1,0]
	v_fma_mix_f32 v10, v10, v21, 0 op_sel_hi:[0,1,0]
	v_fma_mix_f32 v3, v18, v22, v11 op_sel:[0,1,0] op_sel_hi:[0,1,0]
	v_fma_mix_f32 v33, v35, v22, v33 op_sel_hi:[0,1,0]
	v_mul_f32_e32 v34, v34, v72
	v_fma_mix_f32 v2, v2, v22, v10 op_sel_hi:[0,1,0]
	v_mul_f32_e32 v3, v3, v74
	v_fma_f32 v33, v33, v73, -v34
	buffer_load_dword v34, off, s[20:23], 0 offset:16 ; 4-byte Folded Reload
	v_fma_f32 v2, v2, v75, -v3
	buffer_load_dword v3, off, s[20:23], 0 offset:12 ; 4-byte Folded Reload
	s_waitcnt vmcnt(1)
	v_add_f32_e32 v34, v34, v33
	buffer_store_dword v34, off, s[20:23], 0 offset:16 ; 4-byte Folded Spill
	s_waitcnt vmcnt(1)
	v_add_f32_e32 v3, v3, v2
	buffer_load_dword v2, off, s[20:23], 0 offset:144 ; 4-byte Folded Reload
	s_waitcnt vmcnt(0)
	v_or_b32_e32 v2, s17, v2
	buffer_store_dword v3, off, s[20:23], 0 offset:12 ; 4-byte Folded Spill
	v_lshlrev_b32_e32 v3, 2, v2
	v_lshrrev_b32_e32 v21, 1, v2
	ds_read_b128 v[14:17], v3 offset:16896
	ds_read_b128 v[10:13], v3 offset:16912
	;; [unrolled: 1-line block ×4, first 2 shown]
	ds_read_b64 v[21:22], v21 offset:27200
	s_waitcnt lgkmcnt(4)
	v_dot4_i32_i8 v33, v59, v14, 0
	v_dot4_i32_i8 v33, v60, v15, v33
	s_waitcnt lgkmcnt(2)
	v_dot4_i32_i8 v35, v70, v6, 0
	v_dot4_i32_i8 v33, v61, v16, v33
	;; [unrolled: 1-line block ×8, first 2 shown]
	s_waitcnt lgkmcnt(1)
	v_dot4_i32_i8 v35, v83, v2, v35
	v_dot4_i32_i8 v33, v112, v12, v33
	;; [unrolled: 1-line block ×5, first 2 shown]
	v_mul_lo_u32 v33, v33, v94
	v_dot4_i32_i8 v35, v91, v5, v35
	v_mul_lo_u32 v35, v35, v92
	s_waitcnt lgkmcnt(0)
	v_fma_mix_f32 v34, v78, v21, 0 op_sel:[0,1,0] op_sel_hi:[0,1,0]
	v_cvt_f32_i32_e32 v33, v33
	v_fma_mix_f32 v34, v93, v22, v34 op_sel:[0,1,0] op_sel_hi:[0,1,0]
	v_cvt_f32_i32_e32 v35, v35
	v_mul_f32_e32 v34, v34, v64
	v_fma_mix_f32 v33, v33, v21, 0 op_sel_hi:[0,1,0]
	v_fma_mix_f32 v33, v35, v22, v33 op_sel_hi:[0,1,0]
	v_fma_f32 v33, v33, v85, -v34
	buffer_load_dword v34, off, s[20:23], 0 offset:8 ; 4-byte Folded Reload
	v_dot4_i32_i8 v35, v125, v6, 0
	v_dot4_i32_i8 v35, v126, v7, v35
	;; [unrolled: 1-line block ×8, first 2 shown]
	v_mul_lo_u32 v35, v35, v65
	v_cvt_f32_i32_e32 v35, v35
	s_waitcnt vmcnt(0)
	v_add_f32_e32 v34, v34, v33
	v_dot4_i32_i8 v33, v95, v14, 0
	v_dot4_i32_i8 v33, v96, v15, v33
	;; [unrolled: 1-line block ×8, first 2 shown]
	v_mul_lo_u32 v33, v33, v123
	buffer_store_dword v34, off, s[20:23], 0 offset:8 ; 4-byte Folded Spill
	v_fma_mix_f32 v34, v124, v21, 0 op_sel:[0,1,0] op_sel_hi:[0,1,0]
	v_fma_mix_f32 v34, v45, v22, v34 op_sel:[0,1,0] op_sel_hi:[0,1,0]
	v_cvt_f32_i32_e32 v33, v33
	v_mul_f32_e32 v34, v34, v66
	v_fma_mix_f32 v33, v33, v21, 0 op_sel_hi:[0,1,0]
	v_fma_mix_f32 v33, v35, v22, v33 op_sel_hi:[0,1,0]
	v_fma_f32 v33, v33, v68, -v34
	buffer_load_dword v34, off, s[20:23], 0 offset:4 ; 4-byte Folded Reload
	v_dot4_i32_i8 v35, v109, v6, 0
	v_dot4_i32_i8 v6, v56, v6, 0
	;; [unrolled: 1-line block ×16, first 2 shown]
	v_mul_lo_u32 v2, v2, v50
	v_mul_lo_u32 v35, v35, v0
	v_cvt_f32_i32_e32 v2, v2
	v_cvt_f32_i32_e32 v35, v35
	s_waitcnt vmcnt(0)
	v_add_f32_e32 v34, v34, v33
	v_dot4_i32_i8 v33, v19, v14, 0
	v_dot4_i32_i8 v14, v31, v14, 0
	;; [unrolled: 1-line block ×16, first 2 shown]
	v_mul_lo_u32 v10, v10, v28
	v_mul_lo_u32 v33, v33, v107
	v_fma_mix_f32 v11, v29, v21, 0 op_sel:[0,1,0] op_sel_hi:[0,1,0]
	buffer_store_dword v34, off, s[20:23], 0 offset:4 ; 4-byte Folded Spill
	v_cvt_f32_i32_e32 v10, v10
	v_cvt_f32_i32_e32 v33, v33
	v_fma_mix_f32 v34, v108, v21, 0 op_sel:[0,1,0] op_sel_hi:[0,1,0]
	v_fma_mix_f32 v3, v18, v22, v11 op_sel:[0,1,0] op_sel_hi:[0,1,0]
	v_fma_mix_f32 v10, v10, v21, 0 op_sel_hi:[0,1,0]
	v_fma_mix_f32 v33, v33, v21, 0 op_sel_hi:[0,1,0]
	v_fma_mix_f32 v34, v114, v22, v34 op_sel:[0,1,0] op_sel_hi:[0,1,0]
	v_fma_mix_f32 v2, v2, v22, v10 op_sel_hi:[0,1,0]
	v_mul_f32_e32 v3, v3, v74
	v_fma_mix_f32 v33, v35, v22, v33 op_sel_hi:[0,1,0]
	v_mul_f32_e32 v34, v34, v72
	v_fma_f32 v2, v2, v75, -v3
	v_fma_f32 v33, v33, v73, -v34
	buffer_load_dword v34, off, s[20:23], 0 ; 4-byte Folded Reload
	v_add_f32_e32 v90, v90, v2
	buffer_load_dword v2, off, s[20:23], 0 offset:148 ; 4-byte Folded Reload
	s_waitcnt vmcnt(1)
	v_add_f32_e32 v34, v34, v33
	buffer_store_dword v34, off, s[20:23], 0 ; 4-byte Folded Spill
	s_waitcnt vmcnt(1)
	v_or_b32_e32 v2, s17, v2
	v_lshlrev_b32_e32 v3, 2, v2
	v_lshrrev_b32_e32 v21, 1, v2
	ds_read_b128 v[14:17], v3 offset:16896
	ds_read_b128 v[10:13], v3 offset:16912
	;; [unrolled: 1-line block ×4, first 2 shown]
	ds_read_b64 v[21:22], v21 offset:27200
	s_waitcnt lgkmcnt(4)
	v_dot4_i32_i8 v33, v59, v14, 0
	v_dot4_i32_i8 v33, v60, v15, v33
	s_waitcnt lgkmcnt(2)
	v_dot4_i32_i8 v35, v70, v6, 0
	v_dot4_i32_i8 v33, v61, v16, v33
	;; [unrolled: 1-line block ×8, first 2 shown]
	s_waitcnt lgkmcnt(1)
	v_dot4_i32_i8 v35, v83, v2, v35
	v_dot4_i32_i8 v33, v112, v12, v33
	;; [unrolled: 1-line block ×5, first 2 shown]
	v_mul_lo_u32 v33, v33, v94
	v_dot4_i32_i8 v35, v91, v5, v35
	v_mul_lo_u32 v35, v35, v92
	s_waitcnt lgkmcnt(0)
	v_fma_mix_f32 v34, v78, v21, 0 op_sel:[0,1,0] op_sel_hi:[0,1,0]
	v_cvt_f32_i32_e32 v33, v33
	v_fma_mix_f32 v34, v93, v22, v34 op_sel:[0,1,0] op_sel_hi:[0,1,0]
	v_cvt_f32_i32_e32 v35, v35
	v_mul_f32_e32 v34, v34, v64
	v_fma_mix_f32 v33, v33, v21, 0 op_sel_hi:[0,1,0]
	v_fma_mix_f32 v33, v35, v22, v33 op_sel_hi:[0,1,0]
	v_fma_f32 v33, v33, v85, -v34
	v_add_f32_e32 v88, v88, v33
	v_dot4_i32_i8 v33, v95, v14, 0
	v_dot4_i32_i8 v33, v96, v15, v33
	;; [unrolled: 1-line block ×15, first 2 shown]
	v_mul_lo_u32 v33, v33, v123
	v_dot4_i32_i8 v35, v48, v5, v35
	v_mul_lo_u32 v35, v35, v65
	v_fma_mix_f32 v34, v124, v21, 0 op_sel:[0,1,0] op_sel_hi:[0,1,0]
	v_cvt_f32_i32_e32 v33, v33
	v_fma_mix_f32 v34, v45, v22, v34 op_sel:[0,1,0] op_sel_hi:[0,1,0]
	v_cvt_f32_i32_e32 v35, v35
	v_mul_f32_e32 v34, v34, v66
	v_fma_mix_f32 v33, v33, v21, 0 op_sel_hi:[0,1,0]
	v_fma_mix_f32 v33, v35, v22, v33 op_sel_hi:[0,1,0]
	v_fma_f32 v33, v33, v68, -v34
	v_add_f32_e32 v84, v84, v33
	v_dot4_i32_i8 v33, v19, v14, 0
	v_dot4_i32_i8 v14, v31, v14, 0
	;; [unrolled: 1-line block ×25, first 2 shown]
	v_mul_lo_u32 v10, v10, v28
	v_dot4_i32_i8 v2, v49, v5, v2
	v_mul_lo_u32 v2, v2, v50
	v_dot4_i32_i8 v33, v104, v11, v33
	v_cvt_f32_i32_e32 v10, v10
	v_fma_mix_f32 v11, v29, v21, 0 op_sel:[0,1,0] op_sel_hi:[0,1,0]
	v_cvt_f32_i32_e32 v2, v2
	v_dot4_i32_i8 v35, v120, v3, v35
	v_fma_mix_f32 v10, v10, v21, 0 op_sel_hi:[0,1,0]
	v_fma_mix_f32 v3, v18, v22, v11 op_sel:[0,1,0] op_sel_hi:[0,1,0]
	v_fma_mix_f32 v2, v2, v22, v10 op_sel_hi:[0,1,0]
	v_mul_f32_e32 v3, v3, v74
	v_fma_f32 v2, v2, v75, -v3
	v_add_f32_e32 v77, v77, v2
	buffer_load_dword v2, off, s[20:23], 0 offset:152 ; 4-byte Folded Reload
	v_dot4_i32_i8 v33, v105, v12, v33
	v_dot4_i32_i8 v33, v106, v13, v33
	;; [unrolled: 1-line block ×3, first 2 shown]
	v_mul_lo_u32 v33, v33, v107
	v_dot4_i32_i8 v35, v113, v5, v35
	v_mul_lo_u32 v35, v35, v0
	v_fma_mix_f32 v34, v108, v21, 0 op_sel:[0,1,0] op_sel_hi:[0,1,0]
	v_cvt_f32_i32_e32 v33, v33
	v_fma_mix_f32 v34, v114, v22, v34 op_sel:[0,1,0] op_sel_hi:[0,1,0]
	v_cvt_f32_i32_e32 v35, v35
	v_mul_f32_e32 v34, v34, v72
	v_fma_mix_f32 v33, v33, v21, 0 op_sel_hi:[0,1,0]
	v_fma_mix_f32 v33, v35, v22, v33 op_sel_hi:[0,1,0]
	v_fma_f32 v33, v33, v73, -v34
	v_add_f32_e32 v80, v80, v33
	s_waitcnt vmcnt(0)
	v_or_b32_e32 v2, s17, v2
	v_lshlrev_b32_e32 v3, 2, v2
	v_lshrrev_b32_e32 v21, 1, v2
	ds_read_b128 v[14:17], v3 offset:16896
	ds_read_b128 v[10:13], v3 offset:16912
	ds_read_b128 v[6:9], v3 offset:16928
	ds_read_b128 v[2:5], v3 offset:16944
	ds_read_b64 v[21:22], v21 offset:27200
	s_waitcnt lgkmcnt(4)
	v_dot4_i32_i8 v33, v59, v14, 0
	v_dot4_i32_i8 v33, v60, v15, v33
	s_waitcnt lgkmcnt(2)
	v_dot4_i32_i8 v35, v70, v6, 0
	v_dot4_i32_i8 v33, v61, v16, v33
	;; [unrolled: 1-line block ×8, first 2 shown]
	s_waitcnt lgkmcnt(1)
	v_dot4_i32_i8 v35, v83, v2, v35
	v_dot4_i32_i8 v33, v112, v12, v33
	;; [unrolled: 1-line block ×5, first 2 shown]
	v_mul_lo_u32 v33, v33, v94
	v_dot4_i32_i8 v35, v91, v5, v35
	v_mul_lo_u32 v35, v35, v92
	s_waitcnt lgkmcnt(0)
	v_fma_mix_f32 v34, v78, v21, 0 op_sel:[0,1,0] op_sel_hi:[0,1,0]
	v_cvt_f32_i32_e32 v33, v33
	v_fma_mix_f32 v34, v93, v22, v34 op_sel:[0,1,0] op_sel_hi:[0,1,0]
	v_cvt_f32_i32_e32 v35, v35
	v_mul_f32_e32 v34, v34, v64
	v_fma_mix_f32 v33, v33, v21, 0 op_sel_hi:[0,1,0]
	v_fma_mix_f32 v33, v35, v22, v33 op_sel_hi:[0,1,0]
	v_fma_f32 v33, v33, v85, -v34
	v_add_f32_e32 v76, v76, v33
	v_dot4_i32_i8 v33, v95, v14, 0
	v_dot4_i32_i8 v33, v96, v15, v33
	;; [unrolled: 1-line block ×15, first 2 shown]
	v_mul_lo_u32 v33, v33, v123
	v_dot4_i32_i8 v35, v48, v5, v35
	v_mul_lo_u32 v35, v35, v65
	v_fma_mix_f32 v34, v124, v21, 0 op_sel:[0,1,0] op_sel_hi:[0,1,0]
	v_cvt_f32_i32_e32 v33, v33
	v_fma_mix_f32 v34, v45, v22, v34 op_sel:[0,1,0] op_sel_hi:[0,1,0]
	v_cvt_f32_i32_e32 v35, v35
	v_mul_f32_e32 v34, v34, v66
	v_fma_mix_f32 v33, v33, v21, 0 op_sel_hi:[0,1,0]
	v_fma_mix_f32 v33, v35, v22, v33 op_sel_hi:[0,1,0]
	v_fma_f32 v33, v33, v68, -v34
	v_add_f32_e32 v69, v69, v33
	v_dot4_i32_i8 v33, v19, v14, 0
	v_dot4_i32_i8 v14, v31, v14, 0
	;; [unrolled: 1-line block ×25, first 2 shown]
	v_mul_lo_u32 v10, v10, v28
	v_dot4_i32_i8 v2, v49, v5, v2
	v_mul_lo_u32 v2, v2, v50
	v_dot4_i32_i8 v33, v104, v11, v33
	v_cvt_f32_i32_e32 v10, v10
	v_fma_mix_f32 v11, v29, v21, 0 op_sel:[0,1,0] op_sel_hi:[0,1,0]
	v_cvt_f32_i32_e32 v2, v2
	v_dot4_i32_i8 v35, v120, v3, v35
	v_fma_mix_f32 v10, v10, v21, 0 op_sel_hi:[0,1,0]
	v_fma_mix_f32 v3, v18, v22, v11 op_sel:[0,1,0] op_sel_hi:[0,1,0]
	v_fma_mix_f32 v2, v2, v22, v10 op_sel_hi:[0,1,0]
	v_mul_f32_e32 v3, v3, v74
	v_fma_f32 v2, v2, v75, -v3
	v_add_f32_e32 v57, v57, v2
	buffer_load_dword v2, off, s[20:23], 0 offset:156 ; 4-byte Folded Reload
	v_dot4_i32_i8 v33, v105, v12, v33
	v_dot4_i32_i8 v33, v106, v13, v33
	;; [unrolled: 1-line block ×3, first 2 shown]
	v_mul_lo_u32 v33, v33, v107
	v_dot4_i32_i8 v35, v113, v5, v35
	v_mul_lo_u32 v35, v35, v0
	v_fma_mix_f32 v34, v108, v21, 0 op_sel:[0,1,0] op_sel_hi:[0,1,0]
	v_cvt_f32_i32_e32 v33, v33
	v_fma_mix_f32 v34, v114, v22, v34 op_sel:[0,1,0] op_sel_hi:[0,1,0]
	v_cvt_f32_i32_e32 v35, v35
	v_mul_f32_e32 v34, v34, v72
	v_fma_mix_f32 v33, v33, v21, 0 op_sel_hi:[0,1,0]
	v_fma_mix_f32 v33, v35, v22, v33 op_sel_hi:[0,1,0]
	v_fma_f32 v33, v33, v73, -v34
	v_add_f32_e32 v67, v67, v33
	s_waitcnt vmcnt(0)
	v_or_b32_e32 v2, s17, v2
	v_lshlrev_b32_e32 v3, 2, v2
	v_lshrrev_b32_e32 v21, 1, v2
	ds_read_b128 v[14:17], v3 offset:16896
	ds_read_b128 v[10:13], v3 offset:16912
	ds_read_b128 v[6:9], v3 offset:16928
	ds_read_b128 v[2:5], v3 offset:16944
	ds_read_b64 v[21:22], v21 offset:27200
	s_waitcnt lgkmcnt(4)
	v_dot4_i32_i8 v33, v59, v14, 0
	v_dot4_i32_i8 v33, v60, v15, v33
	s_waitcnt lgkmcnt(2)
	v_dot4_i32_i8 v35, v70, v6, 0
	v_dot4_i32_i8 v33, v61, v16, v33
	;; [unrolled: 1-line block ×8, first 2 shown]
	s_waitcnt lgkmcnt(1)
	v_dot4_i32_i8 v35, v83, v2, v35
	v_dot4_i32_i8 v33, v112, v12, v33
	;; [unrolled: 1-line block ×5, first 2 shown]
	v_mul_lo_u32 v33, v33, v94
	v_dot4_i32_i8 v35, v91, v5, v35
	v_mul_lo_u32 v35, v35, v92
	s_waitcnt lgkmcnt(0)
	v_fma_mix_f32 v34, v78, v21, 0 op_sel:[0,1,0] op_sel_hi:[0,1,0]
	v_cvt_f32_i32_e32 v33, v33
	v_fma_mix_f32 v34, v93, v22, v34 op_sel:[0,1,0] op_sel_hi:[0,1,0]
	v_cvt_f32_i32_e32 v35, v35
	v_mul_f32_e32 v34, v34, v64
	v_fma_mix_f32 v33, v33, v21, 0 op_sel_hi:[0,1,0]
	v_fma_mix_f32 v33, v35, v22, v33 op_sel_hi:[0,1,0]
	v_fma_f32 v33, v33, v85, -v34
	v_add_f32_e32 v47, v47, v33
	v_dot4_i32_i8 v33, v95, v14, 0
	v_dot4_i32_i8 v33, v96, v15, v33
	;; [unrolled: 1-line block ×15, first 2 shown]
	v_mul_lo_u32 v33, v33, v123
	v_dot4_i32_i8 v35, v48, v5, v35
	v_mul_lo_u32 v35, v35, v65
	v_fma_mix_f32 v34, v124, v21, 0 op_sel:[0,1,0] op_sel_hi:[0,1,0]
	v_cvt_f32_i32_e32 v33, v33
	v_fma_mix_f32 v34, v45, v22, v34 op_sel:[0,1,0] op_sel_hi:[0,1,0]
	v_cvt_f32_i32_e32 v35, v35
	v_mul_f32_e32 v34, v34, v66
	v_fma_mix_f32 v33, v33, v21, 0 op_sel_hi:[0,1,0]
	v_fma_mix_f32 v33, v35, v22, v33 op_sel_hi:[0,1,0]
	v_fma_f32 v33, v33, v68, -v34
	v_add_f32_e32 v43, v43, v33
	v_dot4_i32_i8 v33, v19, v14, 0
	v_dot4_i32_i8 v14, v31, v14, 0
	;; [unrolled: 1-line block ×25, first 2 shown]
	v_mul_lo_u32 v10, v10, v28
	v_dot4_i32_i8 v2, v49, v5, v2
	v_mul_lo_u32 v2, v2, v50
	v_dot4_i32_i8 v33, v104, v11, v33
	v_cvt_f32_i32_e32 v10, v10
	v_fma_mix_f32 v11, v29, v21, 0 op_sel:[0,1,0] op_sel_hi:[0,1,0]
	v_cvt_f32_i32_e32 v2, v2
	v_dot4_i32_i8 v35, v120, v3, v35
	v_fma_mix_f32 v10, v10, v21, 0 op_sel_hi:[0,1,0]
	v_fma_mix_f32 v3, v18, v22, v11 op_sel:[0,1,0] op_sel_hi:[0,1,0]
	v_fma_mix_f32 v2, v2, v22, v10 op_sel_hi:[0,1,0]
	v_mul_f32_e32 v3, v3, v74
	v_fma_f32 v2, v2, v75, -v3
	v_add_f32_e32 v41, v41, v2
	buffer_load_dword v2, off, s[20:23], 0 offset:160 ; 4-byte Folded Reload
	v_dot4_i32_i8 v33, v105, v12, v33
	v_dot4_i32_i8 v33, v106, v13, v33
	;; [unrolled: 1-line block ×3, first 2 shown]
	v_mul_lo_u32 v33, v33, v107
	v_dot4_i32_i8 v35, v113, v5, v35
	v_mul_lo_u32 v35, v35, v0
	v_fma_mix_f32 v34, v108, v21, 0 op_sel:[0,1,0] op_sel_hi:[0,1,0]
	v_cvt_f32_i32_e32 v33, v33
	v_fma_mix_f32 v34, v114, v22, v34 op_sel:[0,1,0] op_sel_hi:[0,1,0]
	v_cvt_f32_i32_e32 v35, v35
	v_mul_f32_e32 v34, v34, v72
	v_fma_mix_f32 v33, v33, v21, 0 op_sel_hi:[0,1,0]
	v_fma_mix_f32 v33, v35, v22, v33 op_sel_hi:[0,1,0]
	v_fma_f32 v33, v33, v73, -v34
	v_add_f32_e32 v42, v42, v33
	s_waitcnt vmcnt(0)
	v_or_b32_e32 v2, s17, v2
	v_lshlrev_b32_e32 v3, 2, v2
	v_lshrrev_b32_e32 v21, 1, v2
	ds_read_b128 v[14:17], v3 offset:16896
	ds_read_b128 v[10:13], v3 offset:16912
	;; [unrolled: 1-line block ×4, first 2 shown]
	ds_read_b64 v[21:22], v21 offset:27200
	s_waitcnt lgkmcnt(4)
	v_dot4_i32_i8 v33, v59, v14, 0
	v_dot4_i32_i8 v33, v60, v15, v33
	s_waitcnt lgkmcnt(2)
	v_dot4_i32_i8 v35, v70, v6, 0
	v_dot4_i32_i8 v33, v61, v16, v33
	;; [unrolled: 1-line block ×8, first 2 shown]
	s_waitcnt lgkmcnt(1)
	v_dot4_i32_i8 v1, v83, v2, v1
	v_dot4_i32_i8 v33, v112, v12, v33
	;; [unrolled: 1-line block ×5, first 2 shown]
	v_mul_lo_u32 v33, v33, v94
	v_dot4_i32_i8 v1, v91, v5, v1
	v_mul_lo_u32 v1, v1, v92
	s_waitcnt lgkmcnt(0)
	v_fma_mix_f32 v34, v78, v21, 0 op_sel:[0,1,0] op_sel_hi:[0,1,0]
	v_cvt_f32_i32_e32 v33, v33
	v_cvt_f32_i32_e32 v1, v1
	v_fma_mix_f32 v33, v33, v21, 0 op_sel_hi:[0,1,0]
	v_fma_mix_f32 v1, v1, v22, v33 op_sel_hi:[0,1,0]
	v_fma_mix_f32 v33, v93, v22, v34 op_sel:[0,1,0] op_sel_hi:[0,1,0]
	v_mul_f32_e32 v33, v33, v64
	v_fma_f32 v1, v1, v85, -v33
	v_add_f32_e32 v40, v40, v1
	v_dot4_i32_i8 v1, v95, v14, 0
	v_dot4_i32_i8 v1, v96, v15, v1
	;; [unrolled: 1-line block ×15, first 2 shown]
	v_mul_lo_u32 v1, v1, v123
	v_dot4_i32_i8 v34, v48, v5, v34
	v_mul_lo_u32 v34, v34, v65
	v_fma_mix_f32 v33, v124, v21, 0 op_sel:[0,1,0] op_sel_hi:[0,1,0]
	v_cvt_f32_i32_e32 v1, v1
	v_fma_mix_f32 v33, v45, v22, v33 op_sel:[0,1,0] op_sel_hi:[0,1,0]
	v_cvt_f32_i32_e32 v34, v34
	v_mul_f32_e32 v33, v33, v66
	v_fma_mix_f32 v1, v1, v21, 0 op_sel_hi:[0,1,0]
	buffer_load_dword v117, off, s[20:23], 0 offset:64 ; 4-byte Folded Reload
	buffer_load_dword v118, off, s[20:23], 0 offset:68 ; 4-byte Folded Reload
	v_fma_mix_f32 v1, v34, v22, v1 op_sel_hi:[0,1,0]
	v_fma_f32 v1, v1, v68, -v33
	v_add_f32_e32 v39, v39, v1
	v_dot4_i32_i8 v1, v19, v14, 0
	v_dot4_i32_i8 v1, v20, v15, v1
	;; [unrolled: 1-line block ×14, first 2 shown]
	v_mov_b32_e32 v33, v79
	buffer_load_dword v79, off, s[20:23], 0 offset:52 ; 4-byte Folded Reload
	buffer_load_dword v116, off, s[20:23], 0 offset:60 ; 4-byte Folded Reload
	v_dot4_i32_i8 v2, v49, v5, v2
	buffer_load_dword v49, off, s[20:23], 0 offset:48 ; 4-byte Folded Reload
	v_dot4_i32_i8 v1, v101, v16, v1
	v_dot4_i32_i8 v1, v102, v17, v1
	;; [unrolled: 1-line block ×8, first 2 shown]
	v_mul_lo_u32 v1, v1, v107
	v_dot4_i32_i8 v20, v113, v5, v20
	v_mul_lo_u32 v0, v20, v0
	v_fma_mix_f32 v19, v108, v21, 0 op_sel:[0,1,0] op_sel_hi:[0,1,0]
	v_cvt_f32_i32_e32 v1, v1
	v_mul_lo_u32 v2, v2, v50
	v_cvt_f32_i32_e32 v0, v0
	v_fma_mix_f32 v1, v1, v21, 0 op_sel_hi:[0,1,0]
	v_cvt_f32_i32_e32 v2, v2
	v_fma_mix_f32 v0, v0, v22, v1 op_sel_hi:[0,1,0]
	v_fma_mix_f32 v1, v114, v22, v19 op_sel:[0,1,0] op_sel_hi:[0,1,0]
	v_mul_f32_e32 v1, v1, v72
	v_fma_f32 v0, v0, v73, -v1
	v_add_f32_e32 v37, v37, v0
	v_dot4_i32_i8 v0, v31, v14, 0
	v_dot4_i32_i8 v0, v32, v15, v0
	;; [unrolled: 1-line block ×8, first 2 shown]
	v_mul_lo_u32 v0, v0, v28
	v_cvt_f32_i32_e32 v0, v0
	v_fma_mix_f32 v1, v0, v21, 0 op_sel_hi:[0,1,0]
	v_fma_mix_f32 v0, v29, v21, 0 op_sel:[0,1,0] op_sel_hi:[0,1,0]
	v_fma_mix_f32 v0, v18, v22, v0 op_sel:[0,1,0] op_sel_hi:[0,1,0]
	v_fma_mix_f32 v1, v2, v22, v1 op_sel_hi:[0,1,0]
	v_mul_f32_e32 v0, v0, v74
	v_fma_f32 v0, v1, v75, -v0
	v_add_f32_e32 v36, v36, v0
	s_cbranch_vccnz .LBB171_6
; %bb.7:                                ;   in Loop: Header=BB171_5 Depth=1
	s_waitcnt vmcnt(0)
	s_barrier
	buffer_load_dword v0, off, s[20:23], 0 offset:404 ; 4-byte Folded Reload
	v_mov_b32_e32 v5, v80
	v_mov_b32_e32 v80, v76
	s_waitcnt vmcnt(0)
	v_add_u32_e32 v2, s16, v0
	buffer_load_dword v0, off, s[20:23], 0 offset:192 ; 4-byte Folded Reload
	buffer_load_dword v3, off, s[20:23], 0 offset:244 ; 4-byte Folded Reload
	buffer_load_dword v4, off, s[20:23], 0 offset:248 ; 4-byte Folded Reload
	s_mov_b32 s16, 0
	s_waitcnt vmcnt(2)
	v_add_u32_e32 v0, v2, v0
	s_waitcnt vmcnt(0)
	v_mad_i64_i32 v[0:1], s[0:1], v0, 36, v[3:4]
	global_load_dword v0, v[0:1], off offset:4
	s_nop 0
	buffer_load_dword v1, off, s[20:23], 0 offset:76 ; 4-byte Folded Reload
	s_waitcnt vmcnt(0)
	ds_write_b32 v1, v0
	buffer_load_dword v0, off, s[20:23], 0 offset:200 ; 4-byte Folded Reload
	s_waitcnt vmcnt(0)
	v_add_u32_e32 v0, v2, v0
	v_mad_i64_i32 v[0:1], s[0:1], v0, 36, v[3:4]
	global_load_dword v0, v[0:1], off offset:4
	s_nop 0
	buffer_load_dword v1, off, s[20:23], 0 offset:252 ; 4-byte Folded Reload
	s_waitcnt vmcnt(0)
	ds_write_b32 v1, v0
	buffer_load_dword v0, off, s[20:23], 0 offset:204 ; 4-byte Folded Reload
	s_waitcnt vmcnt(0)
	v_add_u32_e32 v0, v2, v0
	v_mad_i64_i32 v[0:1], s[0:1], v0, 36, v[3:4]
	global_load_dword v0, v[0:1], off offset:4
	s_nop 0
	buffer_load_dword v1, off, s[20:23], 0 offset:256 ; 4-byte Folded Reload
	s_waitcnt vmcnt(0)
	ds_write_b32 v1, v0
	buffer_load_dword v0, off, s[20:23], 0 offset:208 ; 4-byte Folded Reload
	s_waitcnt vmcnt(0)
	v_add_u32_e32 v0, v2, v0
	v_mad_i64_i32 v[0:1], s[0:1], v0, 36, v[3:4]
	global_load_dword v0, v[0:1], off offset:4
	s_nop 0
	buffer_load_dword v1, off, s[20:23], 0 offset:260 ; 4-byte Folded Reload
	s_waitcnt vmcnt(0)
	ds_write_b32 v1, v0
	buffer_load_dword v0, off, s[20:23], 0 offset:212 ; 4-byte Folded Reload
	s_waitcnt vmcnt(0)
	v_add_u32_e32 v0, v2, v0
	v_mad_i64_i32 v[0:1], s[0:1], v0, 36, v[3:4]
	global_load_dword v0, v[0:1], off offset:4
	s_nop 0
	buffer_load_dword v1, off, s[20:23], 0 offset:264 ; 4-byte Folded Reload
	s_waitcnt vmcnt(0)
	ds_write_b32 v1, v0
	buffer_load_dword v0, off, s[20:23], 0 offset:216 ; 4-byte Folded Reload
	s_waitcnt vmcnt(0)
	v_add_u32_e32 v0, v2, v0
	v_mad_i64_i32 v[0:1], s[0:1], v0, 36, v[3:4]
	global_load_dword v0, v[0:1], off offset:4
	s_nop 0
	buffer_load_dword v1, off, s[20:23], 0 offset:268 ; 4-byte Folded Reload
	s_waitcnt vmcnt(0)
	ds_write_b32 v1, v0
	buffer_load_dword v0, off, s[20:23], 0 offset:220 ; 4-byte Folded Reload
	s_waitcnt vmcnt(0)
	v_add_u32_e32 v0, v2, v0
	v_mad_i64_i32 v[0:1], s[0:1], v0, 36, v[3:4]
	global_load_dword v0, v[0:1], off offset:4
	s_nop 0
	buffer_load_dword v1, off, s[20:23], 0 offset:272 ; 4-byte Folded Reload
	s_waitcnt vmcnt(0)
	ds_write_b32 v1, v0
	buffer_load_dword v0, off, s[20:23], 0 offset:224 ; 4-byte Folded Reload
	s_waitcnt vmcnt(0)
	v_add_u32_e32 v0, v2, v0
	v_mad_i64_i32 v[0:1], s[0:1], v0, 36, v[3:4]
	global_load_dword v0, v[0:1], off offset:4
	s_nop 0
	buffer_load_dword v1, off, s[20:23], 0 offset:276 ; 4-byte Folded Reload
	s_waitcnt vmcnt(0)
	ds_write_b32 v1, v0
	buffer_load_dword v0, off, s[20:23], 0 offset:72 ; 4-byte Folded Reload
	s_waitcnt vmcnt(0)
	v_add_u32_e32 v0, 4, v0
	v_mad_u64_u32 v[0:1], s[0:1], v0, 36, s[2:3]
	s_mov_b32 s0, 16
	s_mov_b32 s1, 0
	global_load_dword v0, v[0:1], off
	s_nop 0
	buffer_load_dword v1, off, s[20:23], 0 offset:188 ; 4-byte Folded Reload
	s_waitcnt vmcnt(0)
	ds_write_b32 v1, v0
	s_waitcnt lgkmcnt(0)
	s_barrier
	buffer_load_dword v0, off, s[20:23], 0 offset:228 ; 4-byte Folded Reload
	s_waitcnt vmcnt(0)
	ds_read_b32 v0, v0
	s_waitcnt lgkmcnt(0)
	v_cvt_f32_f16_e32 v10, v0
	v_cvt_f32_f16_sdwa v11, v0 dst_sel:DWORD dst_unused:UNUSED_PAD src0_sel:WORD_1
	buffer_load_dword v0, off, s[20:23], 0 offset:232 ; 4-byte Folded Reload
	s_waitcnt vmcnt(0)
	ds_read_b32 v0, v0 offset:128
	s_waitcnt lgkmcnt(0)
	v_cvt_f32_f16_sdwa v12, v0 dst_sel:DWORD dst_unused:UNUSED_PAD src0_sel:WORD_1
	v_cvt_f32_f16_e32 v13, v0
	buffer_load_dword v0, off, s[20:23], 0 offset:236 ; 4-byte Folded Reload
	s_waitcnt vmcnt(0)
	ds_read_b32 v0, v0 offset:256
	s_waitcnt lgkmcnt(0)
	v_cvt_f32_f16_sdwa v14, v0 dst_sel:DWORD dst_unused:UNUSED_PAD src0_sel:WORD_1
	v_cvt_f32_f16_e32 v15, v0
	;; [unrolled: 6-line block ×3, first 2 shown]
	buffer_load_dword v0, off, s[20:23], 0 offset:196 ; 4-byte Folded Reload
	buffer_load_dword v21, off, s[20:23], 0 offset:412 ; 4-byte Folded Reload
	;; [unrolled: 1-line block ×3, first 2 shown]
	s_waitcnt vmcnt(2)
	v_add_u32_e32 v18, 0x4200, v0
.LBB171_8:                              ;   Parent Loop BB171_5 Depth=1
                                        ; =>  This Inner Loop Header: Depth=2
	buffer_store_dword v5, off, s[20:23], 0 offset:124 ; 4-byte Folded Spill
	buffer_store_dword v49, off, s[20:23], 0 offset:48 ; 4-byte Folded Spill
	;; [unrolled: 1-line block ×15, first 2 shown]
	ds_read_b128 v[2:5], v18
	s_waitcnt vmcnt(15)
	ds_read2_b32 v[8:9], v22 offset1:1
	ds_read2_b32 v[6:7], v22 offset0:2 offset1:3
	v_add_u32_e32 v0, 0x1080, v22
	v_add_u32_e32 v1, 0x1088, v22
	;; [unrolled: 1-line block ×6, first 2 shown]
	ds_read_b128 v[23:26], v18 offset:1024
	ds_read_b128 v[27:30], v18 offset:2048
	;; [unrolled: 1-line block ×7, first 2 shown]
	ds_read2_b32 v[19:20], v0 offset1:1
	ds_read2_b32 v[0:1], v1 offset1:1
	;; [unrolled: 1-line block ×6, first 2 shown]
	s_waitcnt lgkmcnt(14)
	v_and_b32_e32 v33, 0xf0f0f0f, v8
	v_and_b32_e32 v34, 0xf0f0f0f, v9
	s_waitcnt lgkmcnt(13)
	v_and_b32_e32 v35, 0xf0f0f0f, v6
	v_lshrrev_b32_e32 v46, 4, v8
	v_lshrrev_b32_e32 v75, 4, v6
	v_dot4_i32_i8 v6, v33, v2, 0
	s_waitcnt lgkmcnt(5)
	v_and_b32_e32 v8, 0xf0f0f0f, v19
	s_waitcnt lgkmcnt(4)
	v_and_b32_e32 v81, 0xf0f0f0f, v0
	v_lshrrev_b32_e32 v110, 4, v0
	s_waitcnt lgkmcnt(3)
	v_and_b32_e32 v0, 0xf0f0f0f, v31
	s_waitcnt lgkmcnt(1)
	v_and_b32_e32 v82, 0xf0f0f0f, v70
	v_and_b32_e32 v38, 0xf0f0f0f, v7
	v_lshrrev_b32_e32 v56, 4, v9
	v_lshrrev_b32_e32 v107, 4, v7
	v_and_b32_e32 v9, 0xf0f0f0f, v20
	v_lshrrev_b32_e32 v108, 4, v19
	v_and_b32_e32 v78, 0xf0f0f0f, v32
	v_and_b32_e32 v83, 0xf0f0f0f, v71
	v_dot4_i32_i8 v6, v34, v3, v6
	v_dot4_i32_i8 v7, v8, v2, 0
	;; [unrolled: 1-line block ×4, first 2 shown]
	v_and_b32_e32 v104, 0xf0f0f0f, v44
	s_waitcnt lgkmcnt(0)
	v_and_b32_e32 v106, 0xf0f0f0f, v72
	v_dot4_i32_i8 v6, v35, v4, v6
	v_dot4_i32_i8 v7, v9, v3, v7
	;; [unrolled: 1-line block ×4, first 2 shown]
	v_and_b32_e32 v103, 0xf0f0f0f, v1
	v_lshrrev_b32_e32 v111, 4, v1
	v_and_b32_e32 v105, 0xf0f0f0f, v45
	v_and_b32_e32 v112, 0xf0f0f0f, v73
	v_dot4_i32_i8 v1, v33, v23, 0
	v_dot4_i32_i8 v98, v38, v5, v6
	;; [unrolled: 1-line block ×21, first 2 shown]
	v_lshrrev_b32_e32 v116, 4, v73
	v_dot4_i32_i8 v73, v105, v26, v3
	v_dot4_i32_i8 v74, v112, v26, v4
	v_dot4_i32_i8 v2, v34, v28, v2
	v_dot4_i32_i8 v3, v8, v27, 0
	v_dot4_i32_i8 v4, v0, v27, 0
	v_dot4_i32_i8 v5, v82, v27, 0
	v_dot4_i32_i8 v2, v35, v29, v2
	v_dot4_i32_i8 v3, v9, v28, v3
	v_dot4_i32_i8 v4, v78, v28, v4
	v_dot4_i32_i8 v5, v83, v28, v5
	v_dot4_i32_i8 v6, v38, v30, v2
	v_dot4_i32_i8 v2, v81, v29, v3
	v_dot4_i32_i8 v3, v104, v29, v4
	v_dot4_i32_i8 v4, v106, v29, v5
	v_lshrrev_b32_e32 v113, 4, v70
	v_lshrrev_b32_e32 v114, 4, v71
	v_dot4_i32_i8 v70, v105, v30, v3
	v_dot4_i32_i8 v71, v112, v30, v4
	v_dot4_i32_i8 v3, v8, v48, 0
	v_dot4_i32_i8 v4, v0, v48, 0
	v_dot4_i32_i8 v5, v82, v48, 0
	v_dot4_i32_i8 v3, v9, v49, v3
	v_dot4_i32_i8 v4, v78, v49, v4
	v_dot4_i32_i8 v5, v83, v49, v5
	v_lshrrev_b32_e32 v115, 4, v72
	v_dot4_i32_i8 v72, v103, v26, v1
	v_dot4_i32_i8 v3, v81, v50, v3
	v_dot4_i32_i8 v4, v104, v50, v4
	v_dot4_i32_i8 v5, v106, v50, v5
	v_dot4_i32_i8 v23, v8, v52, 0
	v_dot4_i32_i8 v25, v8, v58, 0
	v_dot4_i32_i8 v26, v8, v62, 0
	v_dot4_i32_i8 v8, v8, v99, 0
	;; [unrolled: 9-line block ×3, first 2 shown]
	v_dot4_i32_i8 v5, v33, v99, 0
	v_dot4_i32_i8 v24, v0, v52, 0
	;; [unrolled: 1-line block ×36, first 2 shown]
	ds_read_b128 v[23:26], v18 offset:32
	v_dot4_i32_i8 v28, v82, v62, 0
	v_dot4_i32_i8 v29, v82, v99, 0
	v_dot4_i32_i8 v27, v83, v59, v27
	v_dot4_i32_i8 v92, v103, v55, v2
	v_dot4_i32_i8 v2, v104, v60, v9
	v_dot4_i32_i8 v1, v35, v50, v1
	v_dot4_i32_i8 v35, v83, v63, v28
	v_dot4_i32_i8 v52, v83, v100, v29
	v_dot4_i32_i8 v9, v106, v60, v27
	v_dot4_i32_i8 v86, v105, v61, v2
	ds_read_b128 v[27:30], v18 offset:1056
	v_dot4_i32_i8 v2, v104, v64, v33
	v_lshrrev_b32_e32 v31, 4, v31
	v_dot4_i32_i8 v85, v103, v61, v3
	v_dot4_i32_i8 v3, v106, v64, v35
	;; [unrolled: 1-line block ×4, first 2 shown]
	v_lshrrev_b32_e32 v32, 4, v32
	v_dot4_i32_i8 v87, v112, v61, v9
	v_dot4_i32_i8 v83, v112, v65, v3
	;; [unrolled: 1-line block ×4, first 2 shown]
	v_and_b32_e32 v2, 0xf0f0f0f, v46
	v_and_b32_e32 v52, 0xf0f0f0f, v108
	;; [unrolled: 1-line block ×5, first 2 shown]
	v_lshrrev_b32_e32 v44, 4, v44
	v_dot4_i32_i8 v1, v38, v51, v1
	ds_read_b128 v[48:51], v18 offset:2080
	v_and_b32_e32 v33, 0xf0f0f0f, v56
	v_and_b32_e32 v34, 0xf0f0f0f, v75
	;; [unrolled: 1-line block ×3, first 2 shown]
	v_dot4_i32_i8 v75, v112, v102, v3
	s_waitcnt lgkmcnt(2)
	v_dot4_i32_i8 v3, v2, v23, 0
	v_and_b32_e32 v107, 0xf0f0f0f, v109
	v_and_b32_e32 v109, 0xf0f0f0f, v111
	;; [unrolled: 1-line block ×4, first 2 shown]
	v_dot4_i32_i8 v31, v52, v23, 0
	v_dot4_i32_i8 v32, v110, v23, 0
	;; [unrolled: 1-line block ×3, first 2 shown]
	v_lshrrev_b32_e32 v45, 4, v45
	v_and_b32_e32 v112, 0xf0f0f0f, v44
	v_and_b32_e32 v115, 0xf0f0f0f, v115
	v_dot4_i32_i8 v3, v33, v24, v3
	v_dot4_i32_i8 v32, v111, v24, v32
	;; [unrolled: 1-line block ×5, first 2 shown]
	v_and_b32_e32 v117, 0xf0f0f0f, v45
	v_and_b32_e32 v116, 0xf0f0f0f, v116
	s_waitcnt lgkmcnt(1)
	v_dot4_i32_i8 v5, v2, v27, 0
	v_dot4_i32_i8 v3, v34, v25, v3
	;; [unrolled: 1-line block ×18, first 2 shown]
	ds_read_b128 v[103:106], v18 offset:3104
	v_dot4_i32_i8 v63, v109, v26, v3
	s_waitcnt lgkmcnt(1)
	v_dot4_i32_i8 v3, v2, v48, 0
	v_dot4_i32_i8 v53, v35, v30, v5
	;; [unrolled: 1-line block ×22, first 2 shown]
	ds_read_b128 v[48:51], v18 offset:4128
	ds_read_b128 v[99:102], v18 offset:7200
	s_waitcnt lgkmcnt(2)
	v_dot4_i32_i8 v23, v110, v103, 0
	v_dot4_i32_i8 v3, v52, v103, 0
	;; [unrolled: 1-line block ×10, first 2 shown]
	s_waitcnt lgkmcnt(1)
	v_dot4_i32_i8 v23, v52, v48, 0
	v_dot4_i32_i8 v26, v109, v106, v3
	;; [unrolled: 1-line block ×19, first 2 shown]
	ds_read_b128 v[48:51], v18 offset:5152
	ds_read2_b32 v[122:123], v22 offset0:6 offset1:7
	v_dot4_i32_i8 v5, v2, v103, 0
	v_dot4_i32_i8 v5, v33, v104, v5
	;; [unrolled: 1-line block ×3, first 2 shown]
	s_waitcnt lgkmcnt(1)
	v_dot4_i32_i8 v24, v52, v48, 0
	v_dot4_i32_i8 v3, v2, v48, 0
	;; [unrolled: 1-line block ×16, first 2 shown]
	ds_read_b128 v[48:51], v18 offset:6176
	v_dot4_i32_i8 v5, v35, v106, v5
	s_waitcnt lgkmcnt(1)
	v_and_b32_e32 v40, 0xf0f0f0f, v122
	v_and_b32_e32 v47, 0xf0f0f0f, v123
	s_lshr_b32 s17, s0, 2
	s_waitcnt lgkmcnt(0)
	v_dot4_i32_i8 v3, v2, v48, 0
	v_dot4_i32_i8 v25, v52, v48, 0
	;; [unrolled: 1-line block ×31, first 2 shown]
	ds_read2_b32 v[2:3], v22 offset0:4 offset1:5
	v_dot4_i32_i8 v52, v116, v102, v33
	ds_read_b128 v[99:102], v18 offset:16
	ds_read_b128 v[112:115], v18 offset:4112
	v_add_u32_e32 v34, 0x1090, v22
	ds_read2_b32 v[116:117], v34 offset1:1
	s_waitcnt lgkmcnt(3)
	v_and_b32_e32 v103, 0xf0f0f0f, v2
	s_waitcnt lgkmcnt(2)
	v_dot4_i32_i8 v33, v103, v99, v98
	v_and_b32_e32 v35, 0xf0f0f0f, v3
	v_dot4_i32_i8 v33, v35, v100, v33
	s_waitcnt lgkmcnt(0)
	v_and_b32_e32 v36, 0xf0f0f0f, v116
	v_dot4_i32_i8 v33, v40, v101, v33
	v_dot4_i32_i8 v34, v36, v99, v97
	v_add_u32_e32 v97, 0x2110, v22
	v_dot4_i32_i8 v110, v47, v102, v33
	v_add_u32_e32 v33, 0x1098, v22
	ds_read2_b32 v[118:119], v97 offset1:1
	ds_read2_b32 v[124:125], v33 offset1:1
	v_add_u32_e32 v97, 0x3190, v22
	ds_read2_b32 v[120:121], v97 offset1:1
	v_and_b32_e32 v41, 0xf0f0f0f, v117
	v_add_u32_e32 v33, 0x2118, v22
	v_dot4_i32_i8 v34, v41, v100, v34
	s_waitcnt lgkmcnt(1)
	v_and_b32_e32 v57, 0xf0f0f0f, v124
	ds_read2_b32 v[126:127], v33 offset1:1
	v_add_u32_e32 v33, 0x3198, v22
	v_dot4_i32_i8 v97, v57, v101, v34
	ds_read2_b32 v[33:34], v33 offset1:1
	v_and_b32_e32 v37, 0xf0f0f0f, v118
	s_waitcnt lgkmcnt(2)
	v_and_b32_e32 v39, 0xf0f0f0f, v120
	v_dot4_i32_i8 v96, v37, v99, v96
	v_dot4_i32_i8 v95, v39, v99, v95
	v_and_b32_e32 v42, 0xf0f0f0f, v119
	v_and_b32_e32 v43, 0xf0f0f0f, v121
	v_dot4_i32_i8 v96, v42, v100, v96
	v_dot4_i32_i8 v95, v43, v100, v95
	s_waitcnt lgkmcnt(1)
	v_and_b32_e32 v67, 0xf0f0f0f, v126
	s_waitcnt lgkmcnt(0)
	v_and_b32_e32 v69, 0xf0f0f0f, v33
	v_dot4_i32_i8 v96, v67, v101, v96
	v_dot4_i32_i8 v95, v69, v101, v95
	v_and_b32_e32 v76, 0xf0f0f0f, v125
	v_and_b32_e32 v77, 0xf0f0f0f, v127
	;; [unrolled: 1-line block ×3, first 2 shown]
	v_dot4_i32_i8 v109, v76, v102, v97
	v_dot4_i32_i8 v107, v77, v102, v96
	;; [unrolled: 1-line block ×3, first 2 shown]
	ds_read_b128 v[95:98], v18 offset:1040
	v_lshrrev_b32_e32 v2, 4, v2
	v_lshrrev_b32_e32 v3, 4, v3
	;; [unrolled: 1-line block ×4, first 2 shown]
	s_waitcnt lgkmcnt(0)
	v_dot4_i32_i8 v7, v103, v95, v7
	v_dot4_i32_i8 v7, v35, v96, v7
	;; [unrolled: 1-line block ×16, first 2 shown]
	ds_read_b128 v[96:99], v18 offset:2064
	v_and_b32_e32 v33, 0xf0f0f0f, v33
	s_and_b32 s17, s17, 0x3ffffffc
	s_add_i32 s0, s0, 8
	s_add_i32 s18, s16, 16
	s_waitcnt lgkmcnt(0)
	v_dot4_i32_i8 v6, v103, v96, v6
	v_dot4_i32_i8 v6, v35, v97, v6
	;; [unrolled: 1-line block ×13, first 2 shown]
	ds_read_b128 v[70:73], v18 offset:3088
	v_dot4_i32_i8 v100, v76, v99, v6
	v_dot4_i32_i8 v98, v77, v99, v7
	;; [unrolled: 1-line block ×3, first 2 shown]
	v_add_u32_e32 v22, 32, v22
	s_waitcnt lgkmcnt(0)
	v_dot4_i32_i8 v1, v103, v70, v1
	v_dot4_i32_i8 v1, v35, v71, v1
	;; [unrolled: 1-line block ×20, first 2 shown]
	ds_read_b128 v[91:94], v18 offset:5136
	v_dot4_i32_i8 v1, v35, v113, v1
	v_dot4_i32_i8 v1, v40, v114, v1
	;; [unrolled: 1-line block ×10, first 2 shown]
	s_waitcnt lgkmcnt(0)
	v_dot4_i32_i8 v1, v103, v91, v78
	v_dot4_i32_i8 v71, v77, v115, v6
	;; [unrolled: 1-line block ×18, first 2 shown]
	ds_read_b128 v[91:94], v18 offset:6160
	ds_read_b128 v[112:115], v18 offset:1072
	s_waitcnt lgkmcnt(1)
	v_dot4_i32_i8 v0, v103, v91, v0
	v_dot4_i32_i8 v0, v35, v92, v0
	;; [unrolled: 1-line block ×16, first 2 shown]
	ds_read_b128 v[91:94], v18 offset:7184
	v_and_b32_e32 v81, 0xf0f0f0f, v34
	s_waitcnt lgkmcnt(0)
	v_dot4_i32_i8 v4, v103, v91, v4
	v_dot4_i32_i8 v4, v35, v92, v4
	;; [unrolled: 1-line block ×16, first 2 shown]
	ds_read_b128 v[91:94], v18 offset:48
	v_lshrrev_b32_e32 v36, 4, v116
	v_and_b32_e32 v69, 0xf0f0f0f, v2
	v_lshrrev_b32_e32 v4, 4, v122
	v_lshrrev_b32_e32 v37, 4, v117
	v_lshrrev_b32_e32 v41, 4, v118
	v_lshrrev_b32_e32 v57, 4, v120
	v_and_b32_e32 v76, 0xf0f0f0f, v3
	v_and_b32_e32 v36, 0xf0f0f0f, v36
	s_waitcnt lgkmcnt(0)
	v_dot4_i32_i8 v2, v69, v91, v55
	v_lshrrev_b32_e32 v35, 4, v123
	v_lshrrev_b32_e32 v39, 4, v124
	;; [unrolled: 1-line block ×4, first 2 shown]
	v_and_b32_e32 v77, 0xf0f0f0f, v4
	v_and_b32_e32 v37, 0xf0f0f0f, v37
	;; [unrolled: 1-line block ×4, first 2 shown]
	v_dot4_i32_i8 v2, v76, v92, v2
	v_dot4_i32_i8 v3, v36, v91, v63
	v_lshrrev_b32_e32 v40, 4, v125
	v_lshrrev_b32_e32 v43, 4, v126
	v_and_b32_e32 v35, 0xf0f0f0f, v35
	v_and_b32_e32 v39, 0xf0f0f0f, v39
	v_and_b32_e32 v42, 0xf0f0f0f, v42
	v_and_b32_e32 v67, 0xf0f0f0f, v67
	v_dot4_i32_i8 v4, v41, v91, v64
	v_dot4_i32_i8 v34, v57, v91, v65
	;; [unrolled: 1-line block ×4, first 2 shown]
	v_lshrrev_b32_e32 v47, 4, v127
	v_and_b32_e32 v40, 0xf0f0f0f, v40
	v_and_b32_e32 v43, 0xf0f0f0f, v43
	v_dot4_i32_i8 v4, v42, v92, v4
	v_dot4_i32_i8 v34, v67, v92, v34
	;; [unrolled: 1-line block ×4, first 2 shown]
	v_and_b32_e32 v47, 0xf0f0f0f, v47
	v_dot4_i32_i8 v3, v43, v93, v4
	v_dot4_i32_i8 v4, v33, v93, v34
	;; [unrolled: 1-line block ×21, first 2 shown]
	ds_read_b128 v[113:116], v18 offset:2096
	buffer_load_dword v117, off, s[20:23], 0 offset:64 ; 4-byte Folded Reload
	buffer_load_dword v118, off, s[20:23], 0 offset:68 ; 4-byte Folded Reload
	s_waitcnt lgkmcnt(0)
	v_dot4_i32_i8 v2, v69, v113, v54
	ds_read_b128 v[53:56], v18 offset:3120
	v_dot4_i32_i8 v2, v76, v114, v2
	v_dot4_i32_i8 v3, v36, v113, v60
	v_dot4_i32_i8 v4, v41, v113, v61
	v_dot4_i32_i8 v34, v57, v113, v62
	v_dot4_i32_i8 v2, v77, v115, v2
	v_dot4_i32_i8 v3, v37, v114, v3
	v_dot4_i32_i8 v4, v42, v114, v4
	v_dot4_i32_i8 v34, v67, v114, v34
	v_dot4_i32_i8 v63, v35, v116, v2
	v_dot4_i32_i8 v2, v39, v115, v3
	v_dot4_i32_i8 v3, v43, v115, v4
	v_dot4_i32_i8 v4, v33, v115, v34
	v_dot4_i32_i8 v62, v40, v116, v2
	s_waitcnt lgkmcnt(0)
	v_dot4_i32_i8 v2, v69, v53, v5
	v_dot4_i32_i8 v60, v47, v116, v3
	;; [unrolled: 1-line block ×18, first 2 shown]
	ds_read_b128 v[2:5], v18 offset:4144
	buffer_load_dword v116, off, s[20:23], 0 offset:60 ; 4-byte Folded Reload
	s_waitcnt lgkmcnt(0)
	v_dot4_i32_i8 v23, v69, v2, v23
	v_dot4_i32_i8 v23, v76, v3, v23
	v_dot4_i32_i8 v26, v36, v2, v30
	v_dot4_i32_i8 v28, v41, v2, v31
	v_dot4_i32_i8 v2, v57, v2, v32
	v_dot4_i32_i8 v23, v77, v4, v23
	v_dot4_i32_i8 v26, v37, v3, v26
	v_dot4_i32_i8 v28, v42, v3, v28
	v_dot4_i32_i8 v2, v67, v3, v2
	v_dot4_i32_i8 v55, v35, v5, v23
	v_dot4_i32_i8 v3, v39, v4, v26
	v_dot4_i32_i8 v23, v43, v4, v28
	v_dot4_i32_i8 v2, v33, v4, v2
	v_dot4_i32_i8 v54, v40, v5, v3
	v_dot4_i32_i8 v53, v47, v5, v23
	v_dot4_i32_i8 v31, v81, v5, v2
	ds_read_b128 v[2:5], v18 offset:5168
	s_waitcnt lgkmcnt(0)
	v_dot4_i32_i8 v23, v69, v2, v24
	v_dot4_i32_i8 v23, v76, v3, v23
	v_dot4_i32_i8 v24, v36, v2, v38
	v_dot4_i32_i8 v26, v41, v2, v44
	v_dot4_i32_i8 v2, v57, v2, v45
	v_dot4_i32_i8 v23, v77, v4, v23
	v_dot4_i32_i8 v24, v37, v3, v24
	v_dot4_i32_i8 v26, v42, v3, v26
	v_dot4_i32_i8 v2, v67, v3, v2
	v_dot4_i32_i8 v44, v35, v5, v23
	v_dot4_i32_i8 v3, v39, v4, v24
	v_dot4_i32_i8 v23, v43, v4, v26
	v_dot4_i32_i8 v2, v33, v4, v2
	v_dot4_i32_i8 v38, v40, v5, v3
	v_dot4_i32_i8 v32, v47, v5, v23
	v_dot4_i32_i8 v30, v81, v5, v2
	ds_read_b128 v[2:5], v18 offset:6192
	;; [unrolled: 18-line block ×3, first 2 shown]
	v_add_u32_e32 v18, 64, v18
	s_waitcnt lgkmcnt(0)
	v_dot4_i32_i8 v27, v69, v2, v27
	v_dot4_i32_i8 v28, v36, v2, v50
	;; [unrolled: 1-line block ×7, first 2 shown]
	buffer_load_dword v2, off, s[20:23], 0 offset:52 ; 4-byte Folded Reload
	v_dot4_i32_i8 v27, v76, v3, v27
	v_dot4_i32_i8 v27, v77, v4, v27
	;; [unrolled: 1-line block ×9, first 2 shown]
	s_waitcnt vmcnt(0)
	v_lshlrev_b32_e32 v2, 4, v2
	v_add_u32_e32 v33, s1, v2
	v_add3_u32 v34, v118, s17, v33
	ds_read_u16 v2, v34 offset:25088
	s_add_i32 s1, s1, 2
	s_waitcnt lgkmcnt(0)
	v_lshrrev_b16_e32 v81, 8, v2
	v_and_b32_e32 v82, 0xff, v2
	v_mul_lo_u32 v2, v110, v82
	v_mul_lo_u32 v3, v65, v81
	;; [unrolled: 1-line block ×4, first 2 shown]
	v_cvt_f32_i32_e32 v35, v2
	v_cvt_f32_i32_e32 v36, v3
	ds_read2_b64 v[2:5], v21 offset1:16
	v_mul_lo_u32 v19, v19, v82
	v_cvt_f32_i32_e32 v6, v6
	v_mul_lo_u32 v29, v29, v81
	v_cvt_f32_i32_e32 v26, v26
	s_waitcnt lgkmcnt(0)
	v_fma_mix_f32 v35, v2, v35, 0 op_sel_hi:[1,0,0]
	v_fma_mix_f32 v65, v3, v36, v35 op_sel_hi:[1,0,0]
	v_mul_lo_u32 v35, v111, v82
	v_mul_lo_u32 v36, v75, v81
	v_cvt_f32_i32_e32 v19, v19
	v_cvt_f32_i32_e32 v35, v35
	;; [unrolled: 1-line block ×3, first 2 shown]
	v_fma_mix_f32 v35, v35, v4, 0 op_sel_hi:[0,1,0]
	v_fma_mix_f32 v75, v36, v5, v35 op_sel_hi:[0,1,0]
	v_add3_u32 v35, v117, s17, v33
	ds_read_u16 v36, v35 offset:25600
	s_waitcnt lgkmcnt(0)
	v_and_b32_e32 v85, 0xff, v36
	v_lshrrev_b16_e32 v83, 8, v36
	v_mul_lo_u32 v36, v109, v85
	v_mul_lo_u32 v37, v86, v83
	;; [unrolled: 1-line block ×4, first 2 shown]
	v_cvt_f32_i32_e32 v36, v36
	v_cvt_f32_i32_e32 v37, v37
	;; [unrolled: 1-line block ×3, first 2 shown]
	v_mul_lo_u32 v20, v20, v85
	v_fma_mix_f32 v36, v2, v36, 0 op_sel_hi:[1,0,0]
	v_fma_mix_f32 v45, v3, v37, v36 op_sel_hi:[1,0,0]
	v_add3_u32 v36, v116, s17, v33
	ds_read_u16 v37, v36 offset:26112
	v_mul_lo_u32 v25, v25, v83
	v_mul_lo_u32 v28, v28, v83
	v_cvt_f32_i32_e32 v7, v7
	v_cvt_f32_i32_e32 v20, v20
	s_waitcnt lgkmcnt(0)
	v_and_b32_e32 v87, 0xff, v37
	v_lshrrev_b16_e32 v86, 8, v37
	v_mul_lo_u32 v37, v107, v87
	v_mul_lo_u32 v39, v91, v86
	;; [unrolled: 1-line block ×4, first 2 shown]
	v_cvt_f32_i32_e32 v37, v37
	v_cvt_f32_i32_e32 v39, v39
	;; [unrolled: 1-line block ×3, first 2 shown]
	v_mul_lo_u32 v9, v9, v87
	v_fma_mix_f32 v37, v2, v37, 0 op_sel_hi:[1,0,0]
	v_fma_mix_f32 v46, v3, v39, v37 op_sel_hi:[1,0,0]
	buffer_load_dword v37, off, s[20:23], 0 offset:56 ; 4-byte Folded Reload
	v_mul_lo_u32 v24, v24, v86
	v_mul_lo_u32 v27, v27, v86
	v_cvt_f32_i32_e32 v1, v1
	v_cvt_f32_i32_e32 v9, v9
	;; [unrolled: 1-line block ×6, first 2 shown]
	s_waitcnt vmcnt(0)
	v_add3_u32 v33, v37, s17, v33
	ds_read_u16 v37, v33 offset:26624
	s_add_i32 s17, s16, 8
	s_mov_b32 s16, s17
	s_cmp_lt_u32 s18, 24
	s_waitcnt lgkmcnt(0)
	v_and_b32_e32 v92, 0xff, v37
	v_lshrrev_b16_e32 v91, 8, v37
	v_mul_lo_u32 v37, v104, v92
	v_mul_lo_u32 v39, v94, v91
	v_mul_lo_u32 v31, v31, v91
	v_mul_lo_u32 v30, v30, v91
	v_cvt_f32_i32_e32 v37, v37
	v_cvt_f32_i32_e32 v39, v39
	;; [unrolled: 1-line block ×4, first 2 shown]
	v_fma_mix_f32 v37, v2, v37, 0 op_sel_hi:[1,0,0]
	v_fma_mix_f32 v48, v3, v39, v37 op_sel_hi:[1,0,0]
	v_mul_lo_u32 v37, v108, v85
	v_mul_lo_u32 v39, v112, v83
	;; [unrolled: 1-line block ×4, first 2 shown]
	v_cvt_f32_i32_e32 v37, v37
	v_cvt_f32_i32_e32 v39, v39
	v_mul_lo_u32 v23, v23, v91
	v_cvt_f32_i32_e32 v0, v0
	v_fma_mix_f32 v37, v37, v4, 0 op_sel_hi:[0,1,0]
	v_fma_mix_f32 v49, v39, v5, v37 op_sel_hi:[0,1,0]
	v_mul_lo_u32 v37, v106, v87
	v_mul_lo_u32 v39, v103, v86
	v_cvt_f32_i32_e32 v8, v8
	v_cvt_f32_i32_e32 v23, v23
	;; [unrolled: 1-line block ×4, first 2 shown]
	v_fma_mix_f32 v37, v37, v4, 0 op_sel_hi:[0,1,0]
	v_fma_mix_f32 v50, v39, v5, v37 op_sel_hi:[0,1,0]
	v_mul_lo_u32 v37, v105, v92
	v_mul_lo_u32 v39, v93, v91
	ds_read_u16 v93, v34 offset:25096
	ds_read_u16 v104, v35 offset:25608
	;; [unrolled: 1-line block ×4, first 2 shown]
	v_cvt_f32_i32_e32 v37, v37
	v_cvt_f32_i32_e32 v39, v39
	s_waitcnt lgkmcnt(3)
	v_cvt_f32_ubyte0_e32 v33, v93
	v_cvt_f32_ubyte1_e32 v34, v93
	v_fma_mix_f32 v37, v37, v4, 0 op_sel_hi:[0,1,0]
	s_waitcnt lgkmcnt(2)
	v_cvt_f32_ubyte0_e32 v35, v104
	v_fma_mix_f32 v41, v2, v33, 0 op_sel:[1,0,0] op_sel_hi:[1,0,0]
	v_fma_mix_f32 v51, v39, v5, v37 op_sel_hi:[0,1,0]
	v_cvt_f32_ubyte1_e32 v36, v104
	s_waitcnt lgkmcnt(1)
	v_cvt_f32_ubyte0_e32 v37, v103
	s_waitcnt lgkmcnt(0)
	v_cvt_f32_ubyte0_e32 v40, v94
	v_fma_mix_f32 v108, v3, v34, v41 op_sel:[1,0,0] op_sel_hi:[1,0,0]
	v_fma_mix_f32 v41, v2, v35, 0 op_sel:[1,0,0] op_sel_hi:[1,0,0]
	v_cvt_f32_ubyte1_e32 v112, v94
	v_fma_mix_f32 v93, v3, v36, v41 op_sel:[1,0,0] op_sel_hi:[1,0,0]
	v_fma_mix_f32 v41, v2, v37, 0 op_sel:[1,0,0] op_sel_hi:[1,0,0]
	;; [unrolled: 1-line block ×3, first 2 shown]
	v_cvt_f32_ubyte1_e32 v39, v103
	v_fma_mix_f32 v103, v3, v112, v2 op_sel:[1,0,0] op_sel_hi:[1,0,0]
	v_fma_mix_f32 v2, v33, v4, 0 op_sel:[0,1,0] op_sel_hi:[0,1,0]
	;; [unrolled: 1-line block ×10, first 2 shown]
	v_mul_lo_u32 v2, v101, v82
	v_mul_lo_u32 v3, v63, v81
	v_mul_f32_e32 v43, v105, v14
	v_mul_f32_e32 v47, v106, v16
	v_cvt_f32_i32_e32 v41, v2
	v_cvt_f32_i32_e32 v42, v3
	ds_read2_b64 v[2:5], v21 offset0:32 offset1:48
	s_waitcnt lgkmcnt(0)
	v_fma_mix_f32 v41, v41, v2, 0 op_sel_hi:[0,1,0]
	v_fma_mix_f32 v110, v42, v3, v41 op_sel_hi:[0,1,0]
	v_mul_lo_u32 v41, v102, v82
	v_mul_lo_u32 v42, v64, v81
	v_cvt_f32_i32_e32 v41, v41
	v_cvt_f32_i32_e32 v42, v42
	v_fma_mix_f32 v41, v41, v4, 0 op_sel_hi:[0,1,0]
	v_fma_mix_f32 v111, v42, v5, v41 op_sel_hi:[0,1,0]
	v_mul_lo_u32 v41, v100, v85
	v_mul_lo_u32 v42, v62, v83
	v_cvt_f32_i32_e32 v41, v41
	v_cvt_f32_i32_e32 v42, v42
	;; [unrolled: 6-line block ×7, first 2 shown]
	v_fma_mix_f32 v41, v41, v4, 0 op_sel_hi:[0,1,0]
	v_fma_mix_f32 v56, v42, v5, v41 op_sel_hi:[0,1,0]
	v_fma_mix_f32 v41, v33, v2, 0 op_sel:[0,1,0] op_sel_hi:[0,1,0]
	v_fma_mix_f32 v113, v34, v3, v41 op_sel:[0,1,0] op_sel_hi:[0,1,0]
	;; [unrolled: 1-line block ×16, first 2 shown]
	v_mul_lo_u32 v2, v74, v82
	v_mul_lo_u32 v3, v55, v81
	v_mul_f32_e32 v67, v98, v16
	v_mul_f32_e32 v57, v64, v14
	v_cvt_f32_i32_e32 v41, v2
	v_cvt_f32_i32_e32 v42, v3
	ds_read2_b64 v[2:5], v21 offset0:64 offset1:80
	v_mul_f32_e32 v64, v96, v12
	s_waitcnt lgkmcnt(0)
	v_fma_mix_f32 v41, v41, v2, 0 op_sel_hi:[0,1,0]
	v_fma_mix_f32 v115, v42, v3, v41 op_sel_hi:[0,1,0]
	v_mul_lo_u32 v41, v78, v82
	v_mul_lo_u32 v42, v44, v81
	v_cvt_f32_i32_e32 v41, v41
	v_cvt_f32_i32_e32 v42, v42
	v_fma_mix_f32 v41, v41, v4, 0 op_sel_hi:[0,1,0]
	v_fma_mix_f32 v55, v42, v5, v41 op_sel_hi:[0,1,0]
	v_mul_lo_u32 v41, v73, v85
	v_mul_lo_u32 v42, v54, v83
	v_cvt_f32_i32_e32 v41, v41
	v_cvt_f32_i32_e32 v42, v42
	;; [unrolled: 6-line block ×3, first 2 shown]
	v_fma_mix_f32 v41, v41, v2, 0 op_sel_hi:[0,1,0]
	v_fma_mix_f32 v53, v42, v3, v41 op_sel_hi:[0,1,0]
	v_mul_lo_u32 v41, v68, v92
	v_fma_mix_f32 v42, v35, v2, 0 op_sel:[0,1,0] op_sel_hi:[0,1,0]
	v_fma_mix_f32 v54, v36, v3, v42 op_sel:[0,1,0] op_sel_hi:[0,1,0]
	v_fma_mix_f32 v42, v37, v2, 0 op_sel:[0,1,0] op_sel_hi:[0,1,0]
	v_cvt_f32_i32_e32 v41, v41
	v_mul_f32_e32 v54, v54, v12
	v_fma_mix_f32 v41, v41, v2, 0 op_sel_hi:[0,1,0]
	v_fma_mix_f32 v31, v31, v3, v41 op_sel_hi:[0,1,0]
	v_mul_lo_u32 v41, v72, v85
	v_cvt_f32_i32_e32 v41, v41
	v_fma_mix_f32 v41, v41, v4, 0 op_sel_hi:[0,1,0]
	v_fma_mix_f32 v38, v38, v5, v41 op_sel_hi:[0,1,0]
	v_mul_lo_u32 v41, v70, v87
	v_cvt_f32_i32_e32 v41, v41
	v_fma_mix_f32 v41, v41, v4, 0 op_sel_hi:[0,1,0]
	v_fma_mix_f32 v32, v32, v5, v41 op_sel_hi:[0,1,0]
	v_mul_lo_u32 v41, v66, v92
	v_fma_mix_f32 v66, v39, v3, v42 op_sel:[0,1,0] op_sel_hi:[0,1,0]
	v_mul_f32_e32 v66, v66, v14
	v_cvt_f32_i32_e32 v41, v41
	v_fma_mix_f32 v41, v41, v4, 0 op_sel_hi:[0,1,0]
	v_fma_mix_f32 v30, v30, v5, v41 op_sel_hi:[0,1,0]
	v_fma_mix_f32 v41, v33, v2, 0 op_sel:[0,1,0] op_sel_hi:[0,1,0]
	v_fma_mix_f32 v2, v40, v2, 0 op_sel:[0,1,0] op_sel_hi:[0,1,0]
	;; [unrolled: 1-line block ×12, first 2 shown]
	ds_read2_b64 v[2:5], v21 offset0:96 offset1:112
	v_mul_f32_e32 v69, v70, v11
	v_mul_f32_e32 v70, v71, v12
	;; [unrolled: 1-line block ×4, first 2 shown]
	s_waitcnt lgkmcnt(0)
	v_fma_mix_f32 v42, v33, v2, 0 op_sel:[0,1,0] op_sel_hi:[0,1,0]
	v_fma_mix_f32 v33, v33, v4, 0 op_sel:[0,1,0] op_sel_hi:[0,1,0]
	;; [unrolled: 1-line block ×16, first 2 shown]
	v_mul_lo_u32 v34, v52, v91
	v_fma_mix_f32 v6, v6, v2, 0 op_sel_hi:[0,1,0]
	v_fma_mix_f32 v6, v26, v3, v6 op_sel_hi:[0,1,0]
	v_cvt_f32_i32_e32 v26, v29
	v_cvt_f32_i32_e32 v34, v34
	v_fma_mix_f32 v19, v19, v4, 0 op_sel_hi:[0,1,0]
	v_mul_f32_e32 v37, v41, v11
	v_fma_mix_f32 v19, v26, v5, v19 op_sel_hi:[0,1,0]
	v_mul_f32_e32 v39, v93, v12
	v_mul_f32_e32 v40, v94, v14
	;; [unrolled: 1-line block ×4, first 2 shown]
	v_fma_mix_f32 v7, v7, v2, 0 op_sel_hi:[0,1,0]
	v_fma_mix_f32 v1, v1, v2, 0 op_sel_hi:[0,1,0]
	;; [unrolled: 1-line block ×6, first 2 shown]
	v_fma_f32 v8, v55, v10, -v69
	buffer_load_dword v69, off, s[20:23], 0 offset:112 ; 4-byte Folded Reload
	v_fma_mix_f32 v7, v25, v3, v7 op_sel_hi:[0,1,0]
	v_fma_mix_f32 v1, v24, v3, v1 op_sel_hi:[0,1,0]
	;; [unrolled: 1-line block ×3, first 2 shown]
	v_fma_f32 v3, v19, v10, -v74
	v_fma_mix_f32 v2, v28, v5, v2 op_sel_hi:[0,1,0]
	v_fma_mix_f32 v9, v27, v5, v9 op_sel_hi:[0,1,0]
	;; [unrolled: 1-line block ×3, first 2 shown]
	v_fma_f32 v5, v45, v13, -v39
	buffer_load_dword v39, off, s[20:23], 0 offset:80 ; 4-byte Folded Reload
	v_fma_f32 v19, v46, v15, -v40
	buffer_load_dword v40, off, s[20:23], 0 offset:84 ; 4-byte Folded Reload
	;; [unrolled: 2-line block ×3, first 2 shown]
	buffer_load_dword v23, off, s[20:23], 0 offset:40 ; 4-byte Folded Reload
	v_mul_f32_e32 v29, v109, v11
	v_fma_f32 v29, v75, v10, -v29
	v_mul_f32_e32 v42, v104, v12
	v_mul_f32_e32 v26, v108, v11
	v_fma_f32 v26, v65, v10, -v26
	v_add_f32_e32 v89, v89, v26
	v_fma_f32 v24, v50, v15, -v43
	v_fma_f32 v25, v51, v17, -v47
	v_mul_f32_e32 v33, v33, v16
	v_fma_f32 v4, v4, v17, -v33
	v_mul_f32_e32 v77, v107, v16
	;; [unrolled: 2-line block ×7, first 2 shown]
	v_fma_f32 v34, v59, v15, -v65
	v_fma_f32 v37, v115, v10, -v37
	v_add_f32_e32 v88, v88, v37
	v_fma_f32 v37, v53, v15, -v66
	v_mul_f32_e32 v73, v78, v11
	v_mul_f32_e32 v68, v68, v16
	;; [unrolled: 1-line block ×6, first 2 shown]
	v_fma_f32 v6, v6, v10, -v73
	v_fma_f32 v31, v31, v17, -v68
	v_add_f32_e32 v80, v80, v8
	v_fma_f32 v8, v38, v13, -v70
	v_fma_f32 v32, v32, v15, -v71
	;; [unrolled: 1-line block ×5, first 2 shown]
	v_add_u32_e32 v21, 8, v21
	s_waitcnt vmcnt(4)
	v_add_f32_e32 v69, v69, v8
	s_waitcnt vmcnt(3)
	v_add_f32_e32 v39, v39, v2
	s_waitcnt vmcnt(2)
	v_add_f32_e32 v40, v40, v3
	v_fma_f32 v3, v9, v15, -v79
	s_waitcnt vmcnt(0)
	v_add_f32_e32 v23, v23, v29
	buffer_store_dword v23, off, s[20:23], 0 offset:40 ; 4-byte Folded Spill
	v_fma_f32 v23, v49, v13, -v42
	buffer_load_dword v49, off, s[20:23], 0 offset:48 ; 4-byte Folded Reload
	buffer_load_dword v42, off, s[20:23], 0 offset:92 ; 4-byte Folded Reload
	;; [unrolled: 1-line block ×9, first 2 shown]
	v_add_f32_e32 v41, v41, v0
	s_waitcnt vmcnt(8)
	v_add_f32_e32 v49, v49, v5
	buffer_load_dword v5, off, s[20:23], 0 offset:44 ; 4-byte Folded Reload
	s_waitcnt vmcnt(6)
	v_add_f32_e32 v47, v47, v6
	s_waitcnt vmcnt(5)
	v_add_f32_e32 v26, v26, v35
	buffer_store_dword v26, off, s[20:23], 0 offset:24 ; 4-byte Folded Spill
	v_fma_f32 v26, v62, v13, -v52
	v_fma_f32 v35, v56, v17, -v67
	buffer_load_dword v67, off, s[20:23], 0 offset:108 ; 4-byte Folded Reload
	v_fma_f32 v6, v7, v13, -v75
	v_add_f32_e32 v90, v90, v35
	v_add_f32_e32 v43, v43, v6
	;; [unrolled: 1-line block ×3, first 2 shown]
	s_waitcnt vmcnt(2)
	v_add_f32_e32 v5, v5, v20
	buffer_store_dword v5, off, s[20:23], 0 offset:44 ; 4-byte Folded Spill
	buffer_load_dword v5, off, s[20:23], 0 offset:36 ; 4-byte Folded Reload
	s_waitcnt vmcnt(0)
	v_add_f32_e32 v5, v5, v23
	buffer_store_dword v5, off, s[20:23], 0 offset:36 ; 4-byte Folded Spill
	buffer_load_dword v5, off, s[20:23], 0 offset:32 ; 4-byte Folded Reload
	;; [unrolled: 4-line block ×3, first 2 shown]
	v_add_f32_e32 v33, v33, v19
	s_waitcnt vmcnt(0)
	v_add_f32_e32 v5, v5, v25
	buffer_store_dword v5, off, s[20:23], 0 offset:28 ; 4-byte Folded Spill
	buffer_load_dword v5, off, s[20:23], 0 offset:20 ; 4-byte Folded Reload
	v_add_f32_e32 v77, v77, v31
	s_waitcnt vmcnt(0)
	v_add_f32_e32 v5, v5, v26
	buffer_store_dword v5, off, s[20:23], 0 offset:20 ; 4-byte Folded Spill
	buffer_load_dword v5, off, s[20:23], 0 offset:16 ; 4-byte Folded Reload
	;; [unrolled: 5-line block ×4, first 2 shown]
	v_add_f32_e32 v29, v29, v36
	buffer_store_dword v29, off, s[20:23], 0 offset:8 ; 4-byte Folded Spill
	v_fma_f32 v29, v61, v13, -v64
	v_fma_f32 v36, v44, v13, -v54
	v_add_f32_e32 v84, v84, v36
	buffer_load_dword v36, off, s[20:23], 0 offset:72 ; 4-byte Folded Reload
	s_waitcnt vmcnt(2)
	v_add_f32_e32 v5, v5, v29
	buffer_store_dword v5, off, s[20:23], 0 offset:4 ; 4-byte Folded Spill
	buffer_load_dword v5, off, s[20:23], 0  ; 4-byte Folded Reload
	s_waitcnt vmcnt(2)
	v_add_f32_e32 v36, v36, v4
	s_waitcnt vmcnt(0)
	v_add_f32_e32 v5, v5, v34
	buffer_store_dword v5, off, s[20:23], 0 ; 4-byte Folded Spill
	buffer_load_dword v5, off, s[20:23], 0 offset:124 ; 4-byte Folded Reload
	s_waitcnt vmcnt(0)
	v_add_f32_e32 v5, v5, v37
	buffer_load_dword v37, off, s[20:23], 0 offset:76 ; 4-byte Folded Reload
	s_waitcnt vmcnt(0)
	v_add_f32_e32 v37, v37, v3
	s_cbranch_scc1 .LBB171_8
; %bb.9:                                ;   in Loop: Header=BB171_5 Depth=1
	buffer_load_dword v27, off, s[20:23], 0 offset:44 ; 4-byte Folded Reload
	buffer_load_dword v26, off, s[20:23], 0 offset:40 ; 4-byte Folded Reload
	;; [unrolled: 1-line block ×11, first 2 shown]
	buffer_load_dword v15, off, s[20:23], 0 ; 4-byte Folded Reload
	buffer_load_dword v79, off, s[20:23], 0 offset:52 ; 4-byte Folded Reload
	s_waitcnt vmcnt(0)
	s_barrier
	buffer_load_dword v28, off, s[20:23], 0 offset:128 ; 4-byte Folded Reload
	s_add_i32 s14, s14, 1
	v_mov_b32_e32 v12, v84
	v_mov_b32_e32 v84, v5
	s_cmp_eq_u32 s14, s4
	s_cbranch_scc1 .LBB171_11
; %bb.10:                               ;   in Loop: Header=BB171_5 Depth=1
	buffer_load_dword v1, off, s[20:23], 0 offset:280 ; 4-byte Folded Reload
	v_mov_b32_e32 v76, v80
	v_mov_b32_e32 v80, v84
	;; [unrolled: 1-line block ×3, first 2 shown]
	s_branch .LBB171_5
.LBB171_11:
	buffer_load_dword v0, off, s[20:23], 0 offset:424 ; 4-byte Folded Reload
	buffer_load_dword v1, off, s[20:23], 0 offset:280 ; 4-byte Folded Reload
	v_mov_b32_e32 v11, v84
	v_mov_b32_e32 v21, v2
.LBB171_12:
	s_waitcnt vmcnt(1)
	v_cmp_gt_u32_e32 vcc, s8, v0
	s_and_saveexec_b64 s[0:1], vcc
	s_cbranch_execz .LBB171_63
; %bb.13:
	v_mul_lo_u32 v4, v0, s10
	v_add_u32_e32 v0, s6, v79
	v_cmp_gt_u32_e64 s[0:1], s10, v0
	s_and_saveexec_b64 s[2:3], s[0:1]
	s_cbranch_execz .LBB171_15
; %bb.14:
	v_add_u32_e32 v5, v0, v4
	v_mov_b32_e32 v6, 0
	v_bfe_u32 v2, v89, 16, 1
	s_movk_i32 s4, 0x7fff
	v_lshlrev_b64 v[6:7], 1, v[5:6]
	v_add3_u32 v3, v89, v2, s4
	v_cmp_o_f32_e32 vcc, v89, v89
	v_mov_b32_e32 v2, 0x7fc0
	v_cndmask_b32_sdwa v3, v2, v3, vcc dst_sel:DWORD dst_unused:UNUSED_PAD src0_sel:DWORD src1_sel:WORD_1
	s_waitcnt lgkmcnt(0)
	v_mov_b32_e32 v5, s13
	v_add_co_u32_e32 v6, vcc, s12, v6
	v_addc_co_u32_e32 v7, vcc, v5, v7, vcc
	global_store_short v[6:7], v3, off
.LBB171_15:
	s_or_b64 exec, exec, s[2:3]
	v_add_u32_e32 v9, 32, v0
	v_cmp_gt_u32_e64 s[2:3], s10, v9
	s_and_saveexec_b64 s[4:5], s[2:3]
	s_cbranch_execz .LBB171_17
; %bb.16:
	v_bfe_u32 v2, v49, 16, 1
	s_movk_i32 s6, 0x7fff
	v_add3_u32 v2, v49, v2, s6
	v_cmp_o_f32_e32 vcc, v49, v49
	v_mov_b32_e32 v3, 0x7fc0
	v_cndmask_b32_sdwa v5, v3, v2, vcc dst_sel:DWORD dst_unused:UNUSED_PAD src0_sel:DWORD src1_sel:WORD_1
	v_add_u32_e32 v2, v9, v4
	v_mov_b32_e32 v3, 0
	v_lshlrev_b64 v[2:3], 1, v[2:3]
	s_waitcnt lgkmcnt(0)
	v_mov_b32_e32 v6, s13
	v_add_co_u32_e32 v2, vcc, s12, v2
	v_addc_co_u32_e32 v3, vcc, v6, v3, vcc
	global_store_short v[2:3], v5, off
.LBB171_17:
	s_or_b64 exec, exec, s[4:5]
	v_add_u32_e32 v2, 64, v0
	v_cmp_gt_u32_e64 s[4:5], s10, v2
	s_and_saveexec_b64 s[6:7], s[4:5]
	s_cbranch_execz .LBB171_19
; %bb.18:
	v_bfe_u32 v3, v33, 16, 1
	s_movk_i32 s9, 0x7fff
	v_add3_u32 v3, v33, v3, s9
	v_cmp_o_f32_e32 vcc, v33, v33
	v_mov_b32_e32 v5, 0x7fc0
	v_cndmask_b32_sdwa v3, v5, v3, vcc dst_sel:DWORD dst_unused:UNUSED_PAD src0_sel:DWORD src1_sel:WORD_1
	v_add_u32_e32 v5, v2, v4
	v_mov_b32_e32 v6, 0
	v_lshlrev_b64 v[5:6], 1, v[5:6]
	s_waitcnt lgkmcnt(0)
	v_mov_b32_e32 v7, s13
	v_add_co_u32_e32 v5, vcc, s12, v5
	v_addc_co_u32_e32 v6, vcc, v7, v6, vcc
	global_store_short v[5:6], v3, off
.LBB171_19:
	;; [unrolled: 21-line block ×3, first 2 shown]
	s_or_b64 exec, exec, s[14:15]
	s_waitcnt vmcnt(0)
	v_add3_u32 v4, v1, s11, 8
	v_cmp_gt_u32_e32 vcc, s8, v4
	s_and_b64 exec, exec, vcc
	s_cbranch_execz .LBB171_63
; %bb.22:
	v_mul_lo_u32 v4, v4, s10
	s_and_saveexec_b64 s[14:15], s[0:1]
	s_cbranch_execnz .LBB171_64
; %bb.23:
	s_or_b64 exec, exec, s[14:15]
	s_and_saveexec_b64 s[14:15], s[2:3]
	s_cbranch_execnz .LBB171_65
.LBB171_24:
	s_or_b64 exec, exec, s[14:15]
	s_and_saveexec_b64 s[14:15], s[4:5]
	s_cbranch_execnz .LBB171_66
.LBB171_25:
	s_or_b64 exec, exec, s[14:15]
	s_and_saveexec_b64 s[14:15], s[6:7]
	s_cbranch_execz .LBB171_27
.LBB171_26:
	v_bfe_u32 v5, v23, 16, 1
	s_movk_i32 s9, 0x7fff
	v_add3_u32 v5, v23, v5, s9
	v_cmp_o_f32_e32 vcc, v23, v23
	v_mov_b32_e32 v6, 0x7fc0
	v_cndmask_b32_sdwa v6, v6, v5, vcc dst_sel:DWORD dst_unused:UNUSED_PAD src0_sel:DWORD src1_sel:WORD_1
	v_add_u32_e32 v4, v4, v3
	v_mov_b32_e32 v5, 0
	v_lshlrev_b64 v[4:5], 1, v[4:5]
	s_waitcnt lgkmcnt(0)
	v_mov_b32_e32 v7, s13
	v_add_co_u32_e32 v4, vcc, s12, v4
	v_addc_co_u32_e32 v5, vcc, v7, v5, vcc
	global_store_short v[4:5], v6, off
.LBB171_27:
	s_or_b64 exec, exec, s[14:15]
	v_add3_u32 v4, v1, s11, 16
	v_cmp_gt_u32_e32 vcc, s8, v4
	s_and_b64 exec, exec, vcc
	s_cbranch_execz .LBB171_63
; %bb.28:
	v_mul_lo_u32 v4, v4, s10
	s_and_saveexec_b64 s[14:15], s[0:1]
	s_cbranch_execnz .LBB171_67
; %bb.29:
	s_or_b64 exec, exec, s[14:15]
	s_and_saveexec_b64 s[14:15], s[2:3]
	s_cbranch_execnz .LBB171_68
.LBB171_30:
	s_or_b64 exec, exec, s[14:15]
	s_and_saveexec_b64 s[14:15], s[4:5]
	s_cbranch_execnz .LBB171_69
.LBB171_31:
	s_or_b64 exec, exec, s[14:15]
	s_and_saveexec_b64 s[14:15], s[6:7]
	s_cbranch_execz .LBB171_33
.LBB171_32:
	v_bfe_u32 v5, v18, 16, 1
	s_movk_i32 s9, 0x7fff
	v_add3_u32 v5, v18, v5, s9
	v_cmp_o_f32_e32 vcc, v18, v18
	v_mov_b32_e32 v6, 0x7fc0
	v_cndmask_b32_sdwa v6, v6, v5, vcc dst_sel:DWORD dst_unused:UNUSED_PAD src0_sel:DWORD src1_sel:WORD_1
	v_add_u32_e32 v4, v4, v3
	v_mov_b32_e32 v5, 0
	v_lshlrev_b64 v[4:5], 1, v[4:5]
	s_waitcnt lgkmcnt(0)
	v_mov_b32_e32 v7, s13
	v_add_co_u32_e32 v4, vcc, s12, v4
	v_addc_co_u32_e32 v5, vcc, v7, v5, vcc
	global_store_short v[4:5], v6, off
.LBB171_33:
	s_or_b64 exec, exec, s[14:15]
	v_add3_u32 v4, v1, s11, 24
	v_cmp_gt_u32_e32 vcc, s8, v4
	s_and_b64 exec, exec, vcc
	s_cbranch_execz .LBB171_63
; %bb.34:
	v_mul_lo_u32 v4, v4, s10
	s_and_saveexec_b64 s[14:15], s[0:1]
	s_cbranch_execnz .LBB171_70
; %bb.35:
	s_or_b64 exec, exec, s[14:15]
	s_and_saveexec_b64 s[14:15], s[2:3]
	s_cbranch_execnz .LBB171_71
.LBB171_36:
	s_or_b64 exec, exec, s[14:15]
	s_and_saveexec_b64 s[14:15], s[4:5]
	s_cbranch_execnz .LBB171_72
.LBB171_37:
	s_or_b64 exec, exec, s[14:15]
	s_and_saveexec_b64 s[14:15], s[6:7]
	s_cbranch_execz .LBB171_39
.LBB171_38:
	v_bfe_u32 v5, v90, 16, 1
	s_movk_i32 s9, 0x7fff
	v_add3_u32 v5, v90, v5, s9
	v_cmp_o_f32_e32 vcc, v90, v90
	v_mov_b32_e32 v6, 0x7fc0
	v_cndmask_b32_sdwa v6, v6, v5, vcc dst_sel:DWORD dst_unused:UNUSED_PAD src0_sel:DWORD src1_sel:WORD_1
	v_add_u32_e32 v4, v4, v3
	v_mov_b32_e32 v5, 0
	v_lshlrev_b64 v[4:5], 1, v[4:5]
	s_waitcnt lgkmcnt(0)
	v_mov_b32_e32 v7, s13
	v_add_co_u32_e32 v4, vcc, s12, v4
	v_addc_co_u32_e32 v5, vcc, v7, v5, vcc
	global_store_short v[4:5], v6, off
.LBB171_39:
	s_or_b64 exec, exec, s[14:15]
	v_add3_u32 v4, v1, s11, 32
	v_cmp_gt_u32_e32 vcc, s8, v4
	s_and_b64 exec, exec, vcc
	s_cbranch_execz .LBB171_63
; %bb.40:
	v_mul_lo_u32 v4, v4, s10
	s_and_saveexec_b64 s[14:15], s[0:1]
	s_cbranch_execnz .LBB171_73
; %bb.41:
	s_or_b64 exec, exec, s[14:15]
	s_and_saveexec_b64 s[14:15], s[2:3]
	s_cbranch_execnz .LBB171_74
.LBB171_42:
	s_or_b64 exec, exec, s[14:15]
	s_and_saveexec_b64 s[14:15], s[4:5]
	s_cbranch_execnz .LBB171_75
.LBB171_43:
	s_or_b64 exec, exec, s[14:15]
	s_and_saveexec_b64 s[14:15], s[6:7]
	s_cbranch_execz .LBB171_45
.LBB171_44:
	v_bfe_u32 v5, v77, 16, 1
	s_movk_i32 s9, 0x7fff
	v_add3_u32 v5, v77, v5, s9
	v_cmp_o_f32_e32 vcc, v77, v77
	v_mov_b32_e32 v6, 0x7fc0
	v_cndmask_b32_sdwa v6, v6, v5, vcc dst_sel:DWORD dst_unused:UNUSED_PAD src0_sel:DWORD src1_sel:WORD_1
	v_add_u32_e32 v4, v4, v3
	v_mov_b32_e32 v5, 0
	v_lshlrev_b64 v[4:5], 1, v[4:5]
	s_waitcnt lgkmcnt(0)
	v_mov_b32_e32 v7, s13
	v_add_co_u32_e32 v4, vcc, s12, v4
	v_addc_co_u32_e32 v5, vcc, v7, v5, vcc
	global_store_short v[4:5], v6, off
.LBB171_45:
	s_or_b64 exec, exec, s[14:15]
	v_add3_u32 v4, v1, s11, 40
	v_cmp_gt_u32_e32 vcc, s8, v4
	s_and_b64 exec, exec, vcc
	s_cbranch_execz .LBB171_63
; %bb.46:
	v_mul_lo_u32 v4, v4, s10
	s_and_saveexec_b64 s[14:15], s[0:1]
	s_cbranch_execnz .LBB171_76
; %bb.47:
	s_or_b64 exec, exec, s[14:15]
	s_and_saveexec_b64 s[14:15], s[2:3]
	s_cbranch_execnz .LBB171_77
.LBB171_48:
	s_or_b64 exec, exec, s[14:15]
	s_and_saveexec_b64 s[14:15], s[4:5]
	s_cbranch_execnz .LBB171_78
.LBB171_49:
	s_or_b64 exec, exec, s[14:15]
	s_and_saveexec_b64 s[14:15], s[6:7]
	s_cbranch_execz .LBB171_51
.LBB171_50:
	v_bfe_u32 v5, v57, 16, 1
	s_movk_i32 s9, 0x7fff
	v_add3_u32 v5, v57, v5, s9
	v_cmp_o_f32_e32 vcc, v57, v57
	v_mov_b32_e32 v6, 0x7fc0
	v_cndmask_b32_sdwa v6, v6, v5, vcc dst_sel:DWORD dst_unused:UNUSED_PAD src0_sel:DWORD src1_sel:WORD_1
	v_add_u32_e32 v4, v4, v3
	v_mov_b32_e32 v5, 0
	v_lshlrev_b64 v[4:5], 1, v[4:5]
	s_waitcnt lgkmcnt(0)
	v_mov_b32_e32 v7, s13
	v_add_co_u32_e32 v4, vcc, s12, v4
	v_addc_co_u32_e32 v5, vcc, v7, v5, vcc
	global_store_short v[4:5], v6, off
.LBB171_51:
	s_or_b64 exec, exec, s[14:15]
	v_add3_u32 v4, v1, s11, 48
	v_cmp_gt_u32_e32 vcc, s8, v4
	s_and_b64 exec, exec, vcc
	s_cbranch_execz .LBB171_63
; %bb.52:
	v_mul_lo_u32 v4, v4, s10
	s_and_saveexec_b64 s[14:15], s[0:1]
	s_cbranch_execnz .LBB171_79
; %bb.53:
	s_or_b64 exec, exec, s[14:15]
	s_and_saveexec_b64 s[14:15], s[2:3]
	s_cbranch_execnz .LBB171_80
.LBB171_54:
	s_or_b64 exec, exec, s[14:15]
	s_and_saveexec_b64 s[14:15], s[4:5]
	s_cbranch_execnz .LBB171_81
.LBB171_55:
	s_or_b64 exec, exec, s[14:15]
	s_and_saveexec_b64 s[14:15], s[6:7]
	s_cbranch_execz .LBB171_57
.LBB171_56:
	v_bfe_u32 v5, v41, 16, 1
	s_movk_i32 s9, 0x7fff
	v_add3_u32 v5, v41, v5, s9
	v_cmp_o_f32_e32 vcc, v41, v41
	v_mov_b32_e32 v6, 0x7fc0
	v_cndmask_b32_sdwa v6, v6, v5, vcc dst_sel:DWORD dst_unused:UNUSED_PAD src0_sel:DWORD src1_sel:WORD_1
	v_add_u32_e32 v4, v4, v3
	v_mov_b32_e32 v5, 0
	v_lshlrev_b64 v[4:5], 1, v[4:5]
	s_waitcnt lgkmcnt(0)
	v_mov_b32_e32 v7, s13
	v_add_co_u32_e32 v4, vcc, s12, v4
	v_addc_co_u32_e32 v5, vcc, v7, v5, vcc
	global_store_short v[4:5], v6, off
.LBB171_57:
	s_or_b64 exec, exec, s[14:15]
	v_add3_u32 v4, v1, s11, 56
	v_cmp_gt_u32_e32 vcc, s8, v4
	s_and_b64 exec, exec, vcc
	s_cbranch_execz .LBB171_63
; %bb.58:
	v_mul_lo_u32 v4, v4, s10
	s_and_saveexec_b64 s[8:9], s[0:1]
	s_cbranch_execnz .LBB171_82
; %bb.59:
	s_or_b64 exec, exec, s[8:9]
	s_and_saveexec_b64 s[0:1], s[2:3]
	s_cbranch_execnz .LBB171_83
.LBB171_60:
	s_or_b64 exec, exec, s[0:1]
	s_and_saveexec_b64 s[0:1], s[4:5]
	s_cbranch_execnz .LBB171_84
.LBB171_61:
	s_or_b64 exec, exec, s[0:1]
	s_and_b64 exec, exec, s[6:7]
	s_cbranch_execz .LBB171_63
.LBB171_62:
	v_bfe_u32 v0, v36, 16, 1
	s_movk_i32 s0, 0x7fff
	v_add3_u32 v0, v36, v0, s0
	v_cmp_o_f32_e32 vcc, v36, v36
	v_mov_b32_e32 v1, 0x7fc0
	v_cndmask_b32_sdwa v2, v1, v0, vcc dst_sel:DWORD dst_unused:UNUSED_PAD src0_sel:DWORD src1_sel:WORD_1
	v_add_u32_e32 v0, v4, v3
	v_mov_b32_e32 v1, 0
	v_lshlrev_b64 v[0:1], 1, v[0:1]
	s_waitcnt lgkmcnt(0)
	v_mov_b32_e32 v3, s13
	v_add_co_u32_e32 v0, vcc, s12, v0
	v_addc_co_u32_e32 v1, vcc, v3, v1, vcc
	global_store_short v[0:1], v2, off
.LBB171_63:
	s_endpgm
.LBB171_64:
	v_bfe_u32 v5, v26, 16, 1
	s_movk_i32 s9, 0x7fff
	v_add3_u32 v5, v26, v5, s9
	v_cmp_o_f32_e32 vcc, v26, v26
	v_mov_b32_e32 v6, 0x7fc0
	v_cndmask_b32_sdwa v7, v6, v5, vcc dst_sel:DWORD dst_unused:UNUSED_PAD src0_sel:DWORD src1_sel:WORD_1
	v_add_u32_e32 v5, v4, v0
	v_mov_b32_e32 v6, 0
	v_lshlrev_b64 v[5:6], 1, v[5:6]
	s_waitcnt lgkmcnt(0)
	v_mov_b32_e32 v8, s13
	v_add_co_u32_e32 v5, vcc, s12, v5
	v_addc_co_u32_e32 v6, vcc, v8, v6, vcc
	global_store_short v[5:6], v7, off
	s_or_b64 exec, exec, s[14:15]
	s_and_saveexec_b64 s[14:15], s[2:3]
	s_cbranch_execz .LBB171_24
.LBB171_65:
	v_bfe_u32 v5, v21, 16, 1
	s_movk_i32 s9, 0x7fff
	v_add3_u32 v5, v21, v5, s9
	v_cmp_o_f32_e32 vcc, v21, v21
	v_mov_b32_e32 v6, 0x7fc0
	v_cndmask_b32_sdwa v7, v6, v5, vcc dst_sel:DWORD dst_unused:UNUSED_PAD src0_sel:DWORD src1_sel:WORD_1
	v_add_u32_e32 v5, v4, v9
	v_mov_b32_e32 v6, 0
	v_lshlrev_b64 v[5:6], 1, v[5:6]
	s_waitcnt lgkmcnt(0)
	v_mov_b32_e32 v8, s13
	v_add_co_u32_e32 v5, vcc, s12, v5
	v_addc_co_u32_e32 v6, vcc, v8, v6, vcc
	global_store_short v[5:6], v7, off
	s_or_b64 exec, exec, s[14:15]
	s_and_saveexec_b64 s[14:15], s[4:5]
	s_cbranch_execz .LBB171_25
.LBB171_66:
	v_bfe_u32 v5, v24, 16, 1
	s_movk_i32 s9, 0x7fff
	v_add3_u32 v5, v24, v5, s9
	v_cmp_o_f32_e32 vcc, v24, v24
	v_mov_b32_e32 v6, 0x7fc0
	v_cndmask_b32_sdwa v7, v6, v5, vcc dst_sel:DWORD dst_unused:UNUSED_PAD src0_sel:DWORD src1_sel:WORD_1
	v_add_u32_e32 v5, v4, v2
	v_mov_b32_e32 v6, 0
	v_lshlrev_b64 v[5:6], 1, v[5:6]
	s_waitcnt lgkmcnt(0)
	v_mov_b32_e32 v8, s13
	v_add_co_u32_e32 v5, vcc, s12, v5
	v_addc_co_u32_e32 v6, vcc, v8, v6, vcc
	global_store_short v[5:6], v7, off
	s_or_b64 exec, exec, s[14:15]
	s_and_saveexec_b64 s[14:15], s[6:7]
	s_cbranch_execnz .LBB171_26
	s_branch .LBB171_27
.LBB171_67:
	v_bfe_u32 v5, v22, 16, 1
	s_movk_i32 s9, 0x7fff
	v_add3_u32 v5, v22, v5, s9
	v_cmp_o_f32_e32 vcc, v22, v22
	v_mov_b32_e32 v6, 0x7fc0
	v_cndmask_b32_sdwa v7, v6, v5, vcc dst_sel:DWORD dst_unused:UNUSED_PAD src0_sel:DWORD src1_sel:WORD_1
	v_add_u32_e32 v5, v4, v0
	v_mov_b32_e32 v6, 0
	v_lshlrev_b64 v[5:6], 1, v[5:6]
	s_waitcnt lgkmcnt(0)
	v_mov_b32_e32 v8, s13
	v_add_co_u32_e32 v5, vcc, s12, v5
	v_addc_co_u32_e32 v6, vcc, v8, v6, vcc
	global_store_short v[5:6], v7, off
	s_or_b64 exec, exec, s[14:15]
	s_and_saveexec_b64 s[14:15], s[2:3]
	s_cbranch_execz .LBB171_30
.LBB171_68:
	v_bfe_u32 v5, v20, 16, 1
	s_movk_i32 s9, 0x7fff
	v_add3_u32 v5, v20, v5, s9
	v_cmp_o_f32_e32 vcc, v20, v20
	v_mov_b32_e32 v6, 0x7fc0
	v_cndmask_b32_sdwa v7, v6, v5, vcc dst_sel:DWORD dst_unused:UNUSED_PAD src0_sel:DWORD src1_sel:WORD_1
	v_add_u32_e32 v5, v4, v9
	v_mov_b32_e32 v6, 0
	v_lshlrev_b64 v[5:6], 1, v[5:6]
	s_waitcnt lgkmcnt(0)
	v_mov_b32_e32 v8, s13
	v_add_co_u32_e32 v5, vcc, s12, v5
	v_addc_co_u32_e32 v6, vcc, v8, v6, vcc
	global_store_short v[5:6], v7, off
	s_or_b64 exec, exec, s[14:15]
	s_and_saveexec_b64 s[14:15], s[4:5]
	s_cbranch_execz .LBB171_31
.LBB171_69:
	v_bfe_u32 v5, v19, 16, 1
	s_movk_i32 s9, 0x7fff
	v_add3_u32 v5, v19, v5, s9
	v_cmp_o_f32_e32 vcc, v19, v19
	v_mov_b32_e32 v6, 0x7fc0
	v_cndmask_b32_sdwa v7, v6, v5, vcc dst_sel:DWORD dst_unused:UNUSED_PAD src0_sel:DWORD src1_sel:WORD_1
	v_add_u32_e32 v5, v4, v2
	v_mov_b32_e32 v6, 0
	v_lshlrev_b64 v[5:6], 1, v[5:6]
	s_waitcnt lgkmcnt(0)
	v_mov_b32_e32 v8, s13
	v_add_co_u32_e32 v5, vcc, s12, v5
	v_addc_co_u32_e32 v6, vcc, v8, v6, vcc
	global_store_short v[5:6], v7, off
	s_or_b64 exec, exec, s[14:15]
	s_and_saveexec_b64 s[14:15], s[6:7]
	s_cbranch_execnz .LBB171_32
	s_branch .LBB171_33
.LBB171_70:
	v_bfe_u32 v5, v17, 16, 1
	s_movk_i32 s9, 0x7fff
	v_add3_u32 v5, v17, v5, s9
	v_cmp_o_f32_e32 vcc, v17, v17
	v_mov_b32_e32 v6, 0x7fc0
	v_cndmask_b32_sdwa v7, v6, v5, vcc dst_sel:DWORD dst_unused:UNUSED_PAD src0_sel:DWORD src1_sel:WORD_1
	v_add_u32_e32 v5, v4, v0
	v_mov_b32_e32 v6, 0
	v_lshlrev_b64 v[5:6], 1, v[5:6]
	s_waitcnt lgkmcnt(0)
	v_mov_b32_e32 v8, s13
	v_add_co_u32_e32 v5, vcc, s12, v5
	v_addc_co_u32_e32 v6, vcc, v8, v6, vcc
	global_store_short v[5:6], v7, off
	s_or_b64 exec, exec, s[14:15]
	s_and_saveexec_b64 s[14:15], s[2:3]
	s_cbranch_execz .LBB171_36
.LBB171_71:
	v_bfe_u32 v5, v16, 16, 1
	s_movk_i32 s9, 0x7fff
	v_add3_u32 v5, v16, v5, s9
	v_cmp_o_f32_e32 vcc, v16, v16
	v_mov_b32_e32 v6, 0x7fc0
	v_cndmask_b32_sdwa v7, v6, v5, vcc dst_sel:DWORD dst_unused:UNUSED_PAD src0_sel:DWORD src1_sel:WORD_1
	v_add_u32_e32 v5, v4, v9
	v_mov_b32_e32 v6, 0
	v_lshlrev_b64 v[5:6], 1, v[5:6]
	s_waitcnt lgkmcnt(0)
	v_mov_b32_e32 v8, s13
	v_add_co_u32_e32 v5, vcc, s12, v5
	v_addc_co_u32_e32 v6, vcc, v8, v6, vcc
	global_store_short v[5:6], v7, off
	s_or_b64 exec, exec, s[14:15]
	s_and_saveexec_b64 s[14:15], s[4:5]
	s_cbranch_execz .LBB171_37
.LBB171_72:
	v_bfe_u32 v5, v15, 16, 1
	s_movk_i32 s9, 0x7fff
	v_add3_u32 v5, v15, v5, s9
	v_cmp_o_f32_e32 vcc, v15, v15
	v_mov_b32_e32 v6, 0x7fc0
	v_cndmask_b32_sdwa v7, v6, v5, vcc dst_sel:DWORD dst_unused:UNUSED_PAD src0_sel:DWORD src1_sel:WORD_1
	v_add_u32_e32 v5, v4, v2
	v_mov_b32_e32 v6, 0
	v_lshlrev_b64 v[5:6], 1, v[5:6]
	s_waitcnt lgkmcnt(0)
	v_mov_b32_e32 v8, s13
	v_add_co_u32_e32 v5, vcc, s12, v5
	v_addc_co_u32_e32 v6, vcc, v8, v6, vcc
	global_store_short v[5:6], v7, off
	s_or_b64 exec, exec, s[14:15]
	s_and_saveexec_b64 s[14:15], s[6:7]
	s_cbranch_execnz .LBB171_38
	s_branch .LBB171_39
.LBB171_73:
	v_bfe_u32 v5, v88, 16, 1
	s_movk_i32 s9, 0x7fff
	v_add3_u32 v5, v88, v5, s9
	v_cmp_o_f32_e32 vcc, v88, v88
	v_mov_b32_e32 v6, 0x7fc0
	v_cndmask_b32_sdwa v7, v6, v5, vcc dst_sel:DWORD dst_unused:UNUSED_PAD src0_sel:DWORD src1_sel:WORD_1
	v_add_u32_e32 v5, v4, v0
	v_mov_b32_e32 v6, 0
	v_lshlrev_b64 v[5:6], 1, v[5:6]
	s_waitcnt lgkmcnt(0)
	v_mov_b32_e32 v8, s13
	v_add_co_u32_e32 v5, vcc, s12, v5
	v_addc_co_u32_e32 v6, vcc, v8, v6, vcc
	global_store_short v[5:6], v7, off
	s_or_b64 exec, exec, s[14:15]
	s_and_saveexec_b64 s[14:15], s[2:3]
	s_cbranch_execz .LBB171_42
.LBB171_74:
	v_bfe_u32 v5, v12, 16, 1
	s_movk_i32 s9, 0x7fff
	v_add3_u32 v5, v12, v5, s9
	v_cmp_o_f32_e32 vcc, v12, v12
	v_mov_b32_e32 v6, 0x7fc0
	v_cndmask_b32_sdwa v7, v6, v5, vcc dst_sel:DWORD dst_unused:UNUSED_PAD src0_sel:DWORD src1_sel:WORD_1
	v_add_u32_e32 v5, v4, v9
	v_mov_b32_e32 v6, 0
	v_lshlrev_b64 v[5:6], 1, v[5:6]
	s_waitcnt lgkmcnt(0)
	v_mov_b32_e32 v8, s13
	v_add_co_u32_e32 v5, vcc, s12, v5
	v_addc_co_u32_e32 v6, vcc, v8, v6, vcc
	global_store_short v[5:6], v7, off
	s_or_b64 exec, exec, s[14:15]
	s_and_saveexec_b64 s[14:15], s[4:5]
	s_cbranch_execz .LBB171_43
.LBB171_75:
	v_bfe_u32 v5, v11, 16, 1
	s_movk_i32 s9, 0x7fff
	v_add3_u32 v5, v11, v5, s9
	v_cmp_o_f32_e32 vcc, v11, v11
	v_mov_b32_e32 v6, 0x7fc0
	v_cndmask_b32_sdwa v7, v6, v5, vcc dst_sel:DWORD dst_unused:UNUSED_PAD src0_sel:DWORD src1_sel:WORD_1
	v_add_u32_e32 v5, v4, v2
	v_mov_b32_e32 v6, 0
	v_lshlrev_b64 v[5:6], 1, v[5:6]
	s_waitcnt lgkmcnt(0)
	v_mov_b32_e32 v8, s13
	v_add_co_u32_e32 v5, vcc, s12, v5
	v_addc_co_u32_e32 v6, vcc, v8, v6, vcc
	global_store_short v[5:6], v7, off
	s_or_b64 exec, exec, s[14:15]
	s_and_saveexec_b64 s[14:15], s[6:7]
	s_cbranch_execnz .LBB171_44
	s_branch .LBB171_45
.LBB171_76:
	v_bfe_u32 v5, v80, 16, 1
	s_movk_i32 s9, 0x7fff
	v_add3_u32 v5, v80, v5, s9
	v_cmp_o_f32_e32 vcc, v80, v80
	v_mov_b32_e32 v6, 0x7fc0
	v_cndmask_b32_sdwa v7, v6, v5, vcc dst_sel:DWORD dst_unused:UNUSED_PAD src0_sel:DWORD src1_sel:WORD_1
	v_add_u32_e32 v5, v4, v0
	v_mov_b32_e32 v6, 0
	v_lshlrev_b64 v[5:6], 1, v[5:6]
	s_waitcnt lgkmcnt(0)
	v_mov_b32_e32 v8, s13
	v_add_co_u32_e32 v5, vcc, s12, v5
	v_addc_co_u32_e32 v6, vcc, v8, v6, vcc
	global_store_short v[5:6], v7, off
	s_or_b64 exec, exec, s[14:15]
	s_and_saveexec_b64 s[14:15], s[2:3]
	s_cbranch_execz .LBB171_48
.LBB171_77:
	v_bfe_u32 v5, v69, 16, 1
	s_movk_i32 s9, 0x7fff
	v_add3_u32 v5, v69, v5, s9
	v_cmp_o_f32_e32 vcc, v69, v69
	v_mov_b32_e32 v6, 0x7fc0
	v_cndmask_b32_sdwa v7, v6, v5, vcc dst_sel:DWORD dst_unused:UNUSED_PAD src0_sel:DWORD src1_sel:WORD_1
	v_add_u32_e32 v5, v4, v9
	v_mov_b32_e32 v6, 0
	v_lshlrev_b64 v[5:6], 1, v[5:6]
	s_waitcnt lgkmcnt(0)
	v_mov_b32_e32 v8, s13
	v_add_co_u32_e32 v5, vcc, s12, v5
	v_addc_co_u32_e32 v6, vcc, v8, v6, vcc
	global_store_short v[5:6], v7, off
	s_or_b64 exec, exec, s[14:15]
	s_and_saveexec_b64 s[14:15], s[4:5]
	s_cbranch_execz .LBB171_49
.LBB171_78:
	v_bfe_u32 v5, v67, 16, 1
	s_movk_i32 s9, 0x7fff
	v_add3_u32 v5, v67, v5, s9
	v_cmp_o_f32_e32 vcc, v67, v67
	v_mov_b32_e32 v6, 0x7fc0
	v_cndmask_b32_sdwa v7, v6, v5, vcc dst_sel:DWORD dst_unused:UNUSED_PAD src0_sel:DWORD src1_sel:WORD_1
	v_add_u32_e32 v5, v4, v2
	v_mov_b32_e32 v6, 0
	v_lshlrev_b64 v[5:6], 1, v[5:6]
	s_waitcnt lgkmcnt(0)
	v_mov_b32_e32 v8, s13
	v_add_co_u32_e32 v5, vcc, s12, v5
	v_addc_co_u32_e32 v6, vcc, v8, v6, vcc
	global_store_short v[5:6], v7, off
	s_or_b64 exec, exec, s[14:15]
	s_and_saveexec_b64 s[14:15], s[6:7]
	s_cbranch_execnz .LBB171_50
	s_branch .LBB171_51
.LBB171_79:
	v_bfe_u32 v5, v47, 16, 1
	s_movk_i32 s9, 0x7fff
	v_add3_u32 v5, v47, v5, s9
	v_cmp_o_f32_e32 vcc, v47, v47
	v_mov_b32_e32 v6, 0x7fc0
	v_cndmask_b32_sdwa v7, v6, v5, vcc dst_sel:DWORD dst_unused:UNUSED_PAD src0_sel:DWORD src1_sel:WORD_1
	v_add_u32_e32 v5, v4, v0
	v_mov_b32_e32 v6, 0
	v_lshlrev_b64 v[5:6], 1, v[5:6]
	s_waitcnt lgkmcnt(0)
	v_mov_b32_e32 v8, s13
	v_add_co_u32_e32 v5, vcc, s12, v5
	v_addc_co_u32_e32 v6, vcc, v8, v6, vcc
	global_store_short v[5:6], v7, off
	s_or_b64 exec, exec, s[14:15]
	s_and_saveexec_b64 s[14:15], s[2:3]
	s_cbranch_execz .LBB171_54
.LBB171_80:
	v_bfe_u32 v5, v43, 16, 1
	s_movk_i32 s9, 0x7fff
	v_add3_u32 v5, v43, v5, s9
	v_cmp_o_f32_e32 vcc, v43, v43
	v_mov_b32_e32 v6, 0x7fc0
	v_cndmask_b32_sdwa v7, v6, v5, vcc dst_sel:DWORD dst_unused:UNUSED_PAD src0_sel:DWORD src1_sel:WORD_1
	v_add_u32_e32 v5, v4, v9
	v_mov_b32_e32 v6, 0
	v_lshlrev_b64 v[5:6], 1, v[5:6]
	s_waitcnt lgkmcnt(0)
	v_mov_b32_e32 v8, s13
	v_add_co_u32_e32 v5, vcc, s12, v5
	v_addc_co_u32_e32 v6, vcc, v8, v6, vcc
	global_store_short v[5:6], v7, off
	s_or_b64 exec, exec, s[14:15]
	s_and_saveexec_b64 s[14:15], s[4:5]
	s_cbranch_execz .LBB171_55
.LBB171_81:
	v_bfe_u32 v5, v42, 16, 1
	s_movk_i32 s9, 0x7fff
	v_add3_u32 v5, v42, v5, s9
	v_cmp_o_f32_e32 vcc, v42, v42
	v_mov_b32_e32 v6, 0x7fc0
	v_cndmask_b32_sdwa v7, v6, v5, vcc dst_sel:DWORD dst_unused:UNUSED_PAD src0_sel:DWORD src1_sel:WORD_1
	v_add_u32_e32 v5, v4, v2
	v_mov_b32_e32 v6, 0
	v_lshlrev_b64 v[5:6], 1, v[5:6]
	s_waitcnt lgkmcnt(0)
	v_mov_b32_e32 v8, s13
	v_add_co_u32_e32 v5, vcc, s12, v5
	v_addc_co_u32_e32 v6, vcc, v8, v6, vcc
	global_store_short v[5:6], v7, off
	s_or_b64 exec, exec, s[14:15]
	s_and_saveexec_b64 s[14:15], s[6:7]
	s_cbranch_execnz .LBB171_56
	s_branch .LBB171_57
.LBB171_82:
	v_bfe_u32 v5, v40, 16, 1
	s_movk_i32 s0, 0x7fff
	v_add3_u32 v5, v40, v5, s0
	v_cmp_o_f32_e32 vcc, v40, v40
	v_mov_b32_e32 v6, 0x7fc0
	v_cndmask_b32_sdwa v7, v6, v5, vcc dst_sel:DWORD dst_unused:UNUSED_PAD src0_sel:DWORD src1_sel:WORD_1
	v_add_u32_e32 v5, v4, v0
	v_mov_b32_e32 v6, 0
	v_lshlrev_b64 v[5:6], 1, v[5:6]
	s_waitcnt lgkmcnt(0)
	v_mov_b32_e32 v0, s13
	v_add_co_u32_e32 v5, vcc, s12, v5
	v_addc_co_u32_e32 v6, vcc, v0, v6, vcc
	global_store_short v[5:6], v7, off
	s_or_b64 exec, exec, s[8:9]
	s_and_saveexec_b64 s[0:1], s[2:3]
	s_cbranch_execz .LBB171_60
.LBB171_83:
	v_bfe_u32 v0, v39, 16, 1
	s_movk_i32 s2, 0x7fff
	v_add3_u32 v0, v39, v0, s2
	v_cmp_o_f32_e32 vcc, v39, v39
	v_mov_b32_e32 v5, 0x7fc0
	v_cndmask_b32_sdwa v5, v5, v0, vcc dst_sel:DWORD dst_unused:UNUSED_PAD src0_sel:DWORD src1_sel:WORD_1
	v_add_u32_e32 v0, v4, v9
	v_mov_b32_e32 v1, 0
	v_lshlrev_b64 v[0:1], 1, v[0:1]
	s_waitcnt lgkmcnt(0)
	v_mov_b32_e32 v6, s13
	v_add_co_u32_e32 v0, vcc, s12, v0
	v_addc_co_u32_e32 v1, vcc, v6, v1, vcc
	global_store_short v[0:1], v5, off
	s_or_b64 exec, exec, s[0:1]
	s_and_saveexec_b64 s[0:1], s[4:5]
	s_cbranch_execz .LBB171_61
.LBB171_84:
	v_bfe_u32 v0, v37, 16, 1
	s_movk_i32 s2, 0x7fff
	v_add3_u32 v0, v37, v0, s2
	v_cmp_o_f32_e32 vcc, v37, v37
	v_mov_b32_e32 v1, 0x7fc0
	v_cndmask_b32_sdwa v5, v1, v0, vcc dst_sel:DWORD dst_unused:UNUSED_PAD src0_sel:DWORD src1_sel:WORD_1
	v_add_u32_e32 v0, v4, v2
	v_mov_b32_e32 v1, 0
	v_lshlrev_b64 v[0:1], 1, v[0:1]
	s_waitcnt lgkmcnt(0)
	v_mov_b32_e32 v2, s13
	v_add_co_u32_e32 v0, vcc, s12, v0
	v_addc_co_u32_e32 v1, vcc, v2, v1, vcc
	global_store_short v[0:1], v5, off
	s_or_b64 exec, exec, s[0:1]
	s_and_b64 exec, exec, s[6:7]
	s_cbranch_execnz .LBB171_62
	s_branch .LBB171_63
	.section	.rodata,"a",@progbits
	.p2align	6, 0x0
	.amdhsa_kernel _ZL12mul_mat_q4_KIN3c108BFloat16ELb0EEvPKvS3_PT_iiiii
		.amdhsa_group_segment_fixed_size 28752
		.amdhsa_private_segment_fixed_size 432
		.amdhsa_kernarg_size 44
		.amdhsa_user_sgpr_count 6
		.amdhsa_user_sgpr_private_segment_buffer 1
		.amdhsa_user_sgpr_dispatch_ptr 0
		.amdhsa_user_sgpr_queue_ptr 0
		.amdhsa_user_sgpr_kernarg_segment_ptr 1
		.amdhsa_user_sgpr_dispatch_id 0
		.amdhsa_user_sgpr_flat_scratch_init 0
		.amdhsa_user_sgpr_private_segment_size 0
		.amdhsa_uses_dynamic_stack 0
		.amdhsa_system_sgpr_private_segment_wavefront_offset 1
		.amdhsa_system_sgpr_workgroup_id_x 1
		.amdhsa_system_sgpr_workgroup_id_y 1
		.amdhsa_system_sgpr_workgroup_id_z 0
		.amdhsa_system_sgpr_workgroup_info 0
		.amdhsa_system_vgpr_workitem_id 1
		.amdhsa_next_free_vgpr 128
		.amdhsa_next_free_sgpr 98
		.amdhsa_reserve_vcc 1
		.amdhsa_reserve_flat_scratch 0
		.amdhsa_float_round_mode_32 0
		.amdhsa_float_round_mode_16_64 0
		.amdhsa_float_denorm_mode_32 3
		.amdhsa_float_denorm_mode_16_64 3
		.amdhsa_dx10_clamp 1
		.amdhsa_ieee_mode 1
		.amdhsa_fp16_overflow 0
		.amdhsa_exception_fp_ieee_invalid_op 0
		.amdhsa_exception_fp_denorm_src 0
		.amdhsa_exception_fp_ieee_div_zero 0
		.amdhsa_exception_fp_ieee_overflow 0
		.amdhsa_exception_fp_ieee_underflow 0
		.amdhsa_exception_fp_ieee_inexact 0
		.amdhsa_exception_int_div_zero 0
	.end_amdhsa_kernel
	.section	.text._ZL12mul_mat_q4_KIN3c108BFloat16ELb0EEvPKvS3_PT_iiiii,"axG",@progbits,_ZL12mul_mat_q4_KIN3c108BFloat16ELb0EEvPKvS3_PT_iiiii,comdat
.Lfunc_end171:
	.size	_ZL12mul_mat_q4_KIN3c108BFloat16ELb0EEvPKvS3_PT_iiiii, .Lfunc_end171-_ZL12mul_mat_q4_KIN3c108BFloat16ELb0EEvPKvS3_PT_iiiii
                                        ; -- End function
	.set _ZL12mul_mat_q4_KIN3c108BFloat16ELb0EEvPKvS3_PT_iiiii.num_vgpr, 128
	.set _ZL12mul_mat_q4_KIN3c108BFloat16ELb0EEvPKvS3_PT_iiiii.num_agpr, 0
	.set _ZL12mul_mat_q4_KIN3c108BFloat16ELb0EEvPKvS3_PT_iiiii.numbered_sgpr, 24
	.set _ZL12mul_mat_q4_KIN3c108BFloat16ELb0EEvPKvS3_PT_iiiii.num_named_barrier, 0
	.set _ZL12mul_mat_q4_KIN3c108BFloat16ELb0EEvPKvS3_PT_iiiii.private_seg_size, 432
	.set _ZL12mul_mat_q4_KIN3c108BFloat16ELb0EEvPKvS3_PT_iiiii.uses_vcc, 1
	.set _ZL12mul_mat_q4_KIN3c108BFloat16ELb0EEvPKvS3_PT_iiiii.uses_flat_scratch, 0
	.set _ZL12mul_mat_q4_KIN3c108BFloat16ELb0EEvPKvS3_PT_iiiii.has_dyn_sized_stack, 0
	.set _ZL12mul_mat_q4_KIN3c108BFloat16ELb0EEvPKvS3_PT_iiiii.has_recursion, 0
	.set _ZL12mul_mat_q4_KIN3c108BFloat16ELb0EEvPKvS3_PT_iiiii.has_indirect_call, 0
	.section	.AMDGPU.csdata,"",@progbits
; Kernel info:
; codeLenInByte = 25580
; TotalNumSgprs: 28
; NumVgprs: 128
; ScratchSize: 432
; MemoryBound: 0
; FloatMode: 240
; IeeeMode: 1
; LDSByteSize: 28752 bytes/workgroup (compile time only)
; SGPRBlocks: 12
; VGPRBlocks: 31
; NumSGPRsForWavesPerEU: 102
; NumVGPRsForWavesPerEU: 128
; Occupancy: 2
; WaveLimiterHint : 0
; COMPUTE_PGM_RSRC2:SCRATCH_EN: 1
; COMPUTE_PGM_RSRC2:USER_SGPR: 6
; COMPUTE_PGM_RSRC2:TRAP_HANDLER: 0
; COMPUTE_PGM_RSRC2:TGID_X_EN: 1
; COMPUTE_PGM_RSRC2:TGID_Y_EN: 1
; COMPUTE_PGM_RSRC2:TGID_Z_EN: 0
; COMPUTE_PGM_RSRC2:TIDIG_COMP_CNT: 1
	.section	.text._ZL12mul_mat_q4_KIN3c108BFloat16ELb1EEvPKvS3_PT_iiiii,"axG",@progbits,_ZL12mul_mat_q4_KIN3c108BFloat16ELb1EEvPKvS3_PT_iiiii,comdat
	.globl	_ZL12mul_mat_q4_KIN3c108BFloat16ELb1EEvPKvS3_PT_iiiii ; -- Begin function _ZL12mul_mat_q4_KIN3c108BFloat16ELb1EEvPKvS3_PT_iiiii
	.p2align	8
	.type	_ZL12mul_mat_q4_KIN3c108BFloat16ELb1EEvPKvS3_PT_iiiii,@function
_ZL12mul_mat_q4_KIN3c108BFloat16ELb1EEvPKvS3_PT_iiiii: ; @_ZL12mul_mat_q4_KIN3c108BFloat16ELb1EEvPKvS3_PT_iiiii
; %bb.0:
	s_mov_b64 s[22:23], s[2:3]
	s_mov_b64 s[20:21], s[0:1]
	s_add_u32 s20, s20, s8
	s_addc_u32 s21, s21, 0
	buffer_store_dword v0, off, s[20:23], 0 offset:56 ; 4-byte Folded Spill
	s_load_dwordx4 s[8:11], s[4:5], 0x18
	s_load_dword s14, s[4:5], 0x28
	s_lshl_b32 s15, s7, 6
	v_add_u32_e32 v24, s15, v1
	s_waitcnt lgkmcnt(0)
	s_cmpk_gt_i32 s8, 0xff
	s_cbranch_scc1 .LBB172_2
; %bb.1:
	v_add_u32_e32 v0, s15, v1
	s_mov_b64 s[0:1], 0
	s_branch .LBB172_3
.LBB172_2:
	s_mov_b64 s[0:1], -1
                                        ; implicit-def: $vgpr0
.LBB172_3:
	s_load_dwordx2 s[12:13], s[4:5], 0x10
	s_lshl_b32 s6, s6, 7
	v_mov_b32_e32 v54, 0
	s_andn2_b64 vcc, exec, s[0:1]
	v_mov_b32_e32 v60, 0
	v_mov_b32_e32 v79, 0
	;; [unrolled: 1-line block ×31, first 2 shown]
	s_cbranch_vccnz .LBB172_11
; %bb.4:
	buffer_load_dword v32, off, s[20:23], 0 offset:56 ; 4-byte Folded Reload
	s_load_dwordx4 s[0:3], s[4:5], 0x0
	s_ashr_i32 s4, s8, 31
	s_lshr_b32 s4, s4, 24
	s_add_i32 s4, s8, s4
	s_ashr_i32 s5, s11, 31
	s_ashr_i32 s4, s4, 8
	s_lshr_b32 s5, s5, 27
	s_add_i32 s5, s11, s5
	s_mul_i32 s7, s4, s6
	s_ashr_i32 s11, s5, 5
	s_mul_hi_i32 s8, s7, 0x90
	s_mulk_i32 s7, 0x90
	s_waitcnt lgkmcnt(0)
	s_add_u32 s7, s0, s7
	s_addc_u32 s8, s1, s8
	s_not_b32 s0, s6
	s_add_i32 s18, s9, s0
	s_movk_i32 s0, 0x84
	v_add_u32_e32 v27, 16, v1
	v_add_u32_e32 v4, 24, v1
	;; [unrolled: 1-line block ×6, first 2 shown]
	s_movk_i32 s1, 0x6e40
	v_mov_b32_e32 v20, 0x4200
	v_lshlrev_b32_e32 v21, 7, v5
	v_lshlrev_b32_e32 v22, 7, v6
	;; [unrolled: 1-line block ×3, first 2 shown]
	s_movk_i32 s5, 0x90
	s_mov_b32 s9, 0
	v_mov_b32_e32 v99, 0
	v_mov_b32_e32 v106, 0
	;; [unrolled: 1-line block ×20, first 2 shown]
	s_waitcnt vmcnt(0)
	v_lshlrev_b32_e32 v28, 2, v32
	v_and_b32_e32 v0, 0x7c, v28
	buffer_store_dword v0, off, s[20:23], 0 offset:292 ; 4-byte Folded Spill
	v_min_i32_e32 v0, s18, v1
	v_mul_lo_u32 v2, v0, s4
	v_and_b32_e32 v16, 3, v32
	v_cmp_gt_u32_e32 vcc, 2, v16
	v_lshlrev_b32_e32 v18, 2, v16
	buffer_store_dword v2, off, s[20:23], 0 offset:296 ; 4-byte Folded Spill
	v_mad_u64_u32 v[2:3], s[16:17], v0, s0, v[28:29]
	buffer_store_dword v2, off, s[20:23], 0 offset:300 ; 4-byte Folded Spill
	s_nop 0
	buffer_store_dword v3, off, s[20:23], 0 offset:304 ; 4-byte Folded Spill
	v_add_u32_e32 v0, 8, v1
	v_min_i32_e32 v2, s18, v0
	v_mul_lo_u32 v3, v2, s4
	v_and_b32_e32 v19, 31, v32
	v_lshl_or_b32 v30, v19, 2, v20
	v_lshrrev_b32_e32 v25, 5, v32
	buffer_store_dword v3, off, s[20:23], 0 offset:308 ; 4-byte Folded Spill
	v_mad_u64_u32 v[2:3], s[16:17], v2, s0, v[28:29]
	buffer_store_dword v2, off, s[20:23], 0 offset:312 ; 4-byte Folded Spill
	s_nop 0
	buffer_store_dword v3, off, s[20:23], 0 offset:316 ; 4-byte Folded Spill
	v_min_i32_e32 v2, s18, v27
	v_mul_lo_u32 v3, v2, s4
	v_and_b32_e32 v15, 28, v28
	v_lshrrev_b32_e32 v31, 3, v32
	v_lshlrev_b32_e32 v117, 2, v31
	buffer_store_dword v3, off, s[20:23], 0 offset:320 ; 4-byte Folded Spill
	v_mad_u64_u32 v[2:3], s[16:17], v2, s0, v[28:29]
	buffer_store_dword v2, off, s[20:23], 0 offset:324 ; 4-byte Folded Spill
	s_nop 0
	buffer_store_dword v3, off, s[20:23], 0 offset:328 ; 4-byte Folded Spill
	v_min_i32_e32 v2, s18, v4
	v_mul_lo_u32 v3, v2, s4
	buffer_store_dword v3, off, s[20:23], 0 offset:332 ; 4-byte Folded Spill
	v_mad_u64_u32 v[2:3], s[16:17], v2, s0, v[28:29]
	buffer_store_dword v2, off, s[20:23], 0 offset:336 ; 4-byte Folded Spill
	s_nop 0
	buffer_store_dword v3, off, s[20:23], 0 offset:340 ; 4-byte Folded Spill
	v_min_i32_e32 v2, s18, v5
	v_mul_lo_u32 v3, v2, s4
	;; [unrolled: 7-line block ×5, first 2 shown]
	buffer_store_dword v3, off, s[20:23], 0 offset:380 ; 4-byte Folded Spill
	v_mad_u64_u32 v[2:3], s[16:17], v2, s0, v[28:29]
	buffer_store_dword v2, off, s[20:23], 0 offset:384 ; 4-byte Folded Spill
	s_nop 0
	buffer_store_dword v3, off, s[20:23], 0 offset:388 ; 4-byte Folded Spill
	v_add_u32_e32 v2, 64, v1
	v_min_i32_e32 v2, s18, v2
	v_mul_lo_u32 v3, v2, s4
	buffer_store_dword v3, off, s[20:23], 0 offset:392 ; 4-byte Folded Spill
	v_mad_u64_u32 v[2:3], s[16:17], v2, s0, v[28:29]
	buffer_store_dword v2, off, s[20:23], 0 offset:396 ; 4-byte Folded Spill
	s_nop 0
	buffer_store_dword v3, off, s[20:23], 0 offset:400 ; 4-byte Folded Spill
	v_add_u32_e32 v2, 0x48, v1
	v_min_i32_e32 v2, s18, v2
	v_mul_lo_u32 v3, v2, s4
	;; [unrolled: 8-line block ×8, first 2 shown]
	buffer_store_dword v3, off, s[20:23], 0 offset:476 ; 4-byte Folded Spill
	v_mad_u64_u32 v[2:3], s[16:17], v2, s0, v[28:29]
	buffer_store_dword v2, off, s[20:23], 0 offset:480 ; 4-byte Folded Spill
	s_nop 0
	buffer_store_dword v3, off, s[20:23], 0 offset:484 ; 4-byte Folded Spill
	v_lshlrev_b32_e32 v2, 5, v1
	buffer_store_dword v2, off, s[20:23], 0 offset:140 ; 4-byte Folded Spill
	v_add_u32_e32 v2, v2, v32
	v_and_b32_e32 v2, 0x7f, v2
	v_min_i32_e32 v2, s18, v2
	v_mul_lo_u32 v3, v2, s4
	s_movk_i32 s16, 0x6200
	v_mov_b32_e32 v29, v28
	buffer_store_dword v3, off, s[20:23], 0 offset:488 ; 4-byte Folded Spill
	v_ashrrev_i32_e32 v3, 31, v2
	v_lshrrev_b32_e32 v3, 27, v3
	v_add_u32_e32 v3, v2, v3
	v_ashrrev_i32_e32 v3, 5, v3
	v_lshlrev_b32_e32 v3, 2, v3
	v_lshlrev_b32_e32 v2, 2, v2
	v_add3_u32 v2, v3, v2, s1
	buffer_store_dword v2, off, s[20:23], 0 offset:492 ; 4-byte Folded Spill
	v_lshrrev_b32_e32 v2, 2, v32
	v_lshl_add_u32 v17, v1, 3, v2
	v_add_u32_e32 v2, 0xfe, v16
	v_and_b32_e32 v2, 0xff, v2
	v_cndmask_b32_e32 v2, v2, v16, vcc
	v_cmp_ne_u32_e32 vcc, 0, v16
	v_addc_co_u32_e32 v9, vcc, 0, v2, vcc
	v_cmp_lt_u32_e32 vcc, 1, v16
	v_and_b32_e32 v3, 4, v28
	v_lshlrev_b32_e32 v2, 1, v2
	v_cndmask_b32_e32 v3, 0, v3, vcc
	buffer_store_dword v2, off, s[20:23], 0 offset:500 ; 4-byte Folded Spill
	v_and_b32_e32 v2, 0x7f, v17
	buffer_store_dword v3, off, s[20:23], 0 offset:496 ; 4-byte Folded Spill
	v_min_i32_e32 v3, s18, v2
	v_mul_lo_u32 v11, v3, s4
	v_xor_b32_e32 v2, 64, v2
	v_min_i32_e32 v2, s18, v2
	v_lshlrev_b32_e32 v12, 4, v3
	buffer_store_dword v11, off, s[20:23], 0 offset:504 ; 4-byte Folded Spill
	v_ashrrev_i32_e32 v11, 31, v3
	v_lshrrev_b32_e32 v11, 29, v11
	v_add_u32_e32 v11, v3, v11
	v_mul_lo_u32 v3, v2, s4
	v_ashrrev_i32_e32 v11, 3, v11
	v_lshlrev_b32_e32 v11, 2, v11
	v_and_b32_e32 v17, 63, v17
	buffer_store_dword v3, off, s[20:23], 0 offset:508 ; 4-byte Folded Spill
	v_ashrrev_i32_e32 v3, 31, v2
	v_lshrrev_b32_e32 v3, 29, v3
	v_add_u32_e32 v3, v2, v3
	v_ashrrev_i32_e32 v3, 3, v3
	v_lshlrev_b32_e32 v3, 2, v3
	v_add3_u32 v11, v11, v18, s16
	v_add3_u32 v13, v3, v18, s16
	s_add_i32 s16, s10, -1
	v_or_b32_e32 v19, s15, v17
	v_min_i32_e32 v19, s16, v19
	v_lshlrev_b32_e32 v14, 4, v2
	v_cvt_f64_i32_e32 v[2:3], s16
	v_mad_u64_u32 v[19:20], s[16:17], v19, s11, v[16:17]
	v_lshl_or_b32 v16, v17, 4, v18
	v_add_u32_e32 v16, 0x6a40, v16
	buffer_store_dword v19, off, s[20:23], 0 offset:516 ; 4-byte Folded Spill
	s_nop 0
	buffer_store_dword v20, off, s[20:23], 0 offset:520 ; 4-byte Folded Spill
	buffer_store_dword v16, off, s[20:23], 0 offset:196 ; 4-byte Folded Spill
	v_cvt_f64_u32_e32 v[16:17], v24
	buffer_store_dword v24, off, s[20:23], 0 offset:560 ; 4-byte Folded Spill
	buffer_store_dword v25, off, s[20:23], 0 offset:288 ; 4-byte Folded Spill
	v_cndmask_b32_e64 v10, 0, 1, vcc
	v_min_f64 v[16:17], v[16:17], v[2:3]
	v_lshlrev_b32_e32 v20, 7, v4
	v_lshlrev_b32_e32 v19, 7, v27
	v_cvt_i32_f64_e32 v16, v[16:17]
	v_mul_lo_u32 v16, s11, v16
	buffer_store_dword v16, off, s[20:23], 0 offset:200 ; 4-byte Folded Spill
	v_lshlrev_b32_e32 v16, 7, v1
	buffer_store_dword v16, off, s[20:23], 0 offset:204 ; 4-byte Folded Spill
	v_add_u32_e32 v16, 8, v24
	v_cvt_f64_u32_e32 v[16:17], v16
	v_min_f64 v[16:17], v[16:17], v[2:3]
	v_cvt_i32_f64_e32 v16, v[16:17]
	v_add_u32_e32 v17, 16, v24
	v_cvt_f64_u32_e32 v[17:18], v17
	v_mul_lo_u32 v16, s11, v16
	v_min_f64 v[17:18], v[17:18], v[2:3]
	buffer_store_dword v16, off, s[20:23], 0 offset:208 ; 4-byte Folded Spill
	v_lshlrev_b32_e32 v16, 7, v0
	v_lshlrev_b32_e32 v0, 5, v0
	v_cvt_i32_f64_e32 v17, v[17:18]
	v_mul_lo_u32 v17, s11, v17
	buffer_store_dword v17, off, s[20:23], 0 offset:212 ; 4-byte Folded Spill
	v_add_u32_e32 v17, 24, v24
	v_cvt_f64_u32_e32 v[17:18], v17
	v_min_f64 v[17:18], v[17:18], v[2:3]
	v_cvt_i32_f64_e32 v17, v[17:18]
	v_mul_lo_u32 v17, s11, v17
	buffer_store_dword v17, off, s[20:23], 0 offset:216 ; 4-byte Folded Spill
	v_add_u32_e32 v17, 32, v24
	v_cvt_f64_u32_e32 v[17:18], v17
	v_min_f64 v[17:18], v[17:18], v[2:3]
	;; [unrolled: 6-line block ×5, first 2 shown]
	v_cvt_i32_f64_e32 v2, v[2:3]
	v_lshlrev_b32_e32 v3, 2, v25
	v_add3_u32 v3, v28, v3, s1
	buffer_store_dword v3, off, s[20:23], 0 offset:236 ; 4-byte Folded Spill
	v_add_u32_e32 v3, 32, v32
	v_lshrrev_b32_e32 v33, 3, v3
	v_lshlrev_b32_e32 v17, 2, v3
	v_and_b32_e32 v3, 60, v33
	v_add3_u32 v3, v28, v3, s1
	v_mul_lo_u32 v2, s11, v2
	buffer_store_dword v3, off, s[20:23], 0 offset:240 ; 4-byte Folded Spill
	v_add_u32_e32 v3, 64, v32
	v_lshlrev_b32_e32 v18, 2, v3
	v_lshrrev_b32_e32 v3, 3, v3
	v_and_b32_e32 v24, 60, v3
	v_add3_u32 v24, v28, v24, s1
	buffer_store_dword v2, off, s[20:23], 0 offset:232 ; 4-byte Folded Spill
	buffer_store_dword v24, off, s[20:23], 0 offset:244 ; 4-byte Folded Spill
	;; [unrolled: 1-line block ×3, first 2 shown]
	s_nop 0
	buffer_store_dword v30, off, s[20:23], 0 offset:136 ; 4-byte Folded Spill
	buffer_store_dword v0, off, s[20:23], 0 offset:144 ; 4-byte Folded Spill
	v_lshlrev_b32_e32 v0, 5, v27
	buffer_store_dword v0, off, s[20:23], 0 offset:148 ; 4-byte Folded Spill
	v_lshlrev_b32_e32 v0, 5, v4
	;; [unrolled: 2-line block ×6, first 2 shown]
	buffer_store_dword v0, off, s[20:23], 0 offset:168 ; 4-byte Folded Spill
	v_mov_b32_e32 v0, 0x1080
	v_mad_u32_u24 v0, v32, s0, v0
	buffer_store_dword v0, off, s[20:23], 0 offset:172 ; 4-byte Folded Spill
	v_mov_b32_e32 v0, 0x2100
	v_mad_u32_u24 v0, v32, s0, v0
	v_add_u32_e32 v24, 0x60, v32
	buffer_store_dword v0, off, s[20:23], 0 offset:176 ; 4-byte Folded Spill
	v_mov_b32_e32 v0, 0x3180
	v_lshlrev_b32_e32 v25, 2, v24
	v_lshrrev_b32_e32 v24, 3, v24
	v_mad_u32_u24 v0, v32, s0, v0
	v_and_b32_e32 v26, 60, v24
	buffer_store_dword v0, off, s[20:23], 0 offset:180 ; 4-byte Folded Spill
	v_add_co_u32_e32 v4, vcc, s2, v15
	v_mov_b32_e32 v0, s3
	v_add3_u32 v26, v28, v26, s1
	v_addc_co_u32_e32 v5, vcc, 0, v0, vcc
	v_mad_u32_u24 v0, v32, s0, 64
	buffer_store_dword v26, off, s[20:23], 0 offset:248 ; 4-byte Folded Spill
	buffer_store_dword v4, off, s[20:23], 0 offset:252 ; 4-byte Folded Spill
	s_nop 0
	buffer_store_dword v5, off, s[20:23], 0 offset:256 ; 4-byte Folded Spill
	buffer_store_dword v0, off, s[20:23], 0 offset:532 ; 4-byte Folded Spill
	v_mov_b32_e32 v0, 0x6a40
	v_lshl_add_u32 v0, v1, 4, v0
	buffer_store_dword v0, off, s[20:23], 0 offset:536 ; 4-byte Folded Spill
	v_lshlrev_b32_e32 v0, 2, v24
	buffer_store_dword v0, off, s[20:23], 0 offset:52 ; 4-byte Folded Spill
	v_lshlrev_b32_e32 v0, 2, v9
	;; [unrolled: 2-line block ×3, first 2 shown]
	buffer_store_dword v0, off, s[20:23], 0 offset:544 ; 4-byte Folded Spill
	v_add_u32_e32 v0, v11, v12
	buffer_store_dword v0, off, s[20:23], 0 offset:548 ; 4-byte Folded Spill
	v_add_u32_e32 v0, v13, v14
	buffer_store_dword v0, off, s[20:23], 0 offset:552 ; 4-byte Folded Spill
	v_lshlrev_b32_e32 v0, 2, v17
	buffer_store_dword v0, off, s[20:23], 0 offset:184 ; 4-byte Folded Spill
	v_lshlrev_b32_e32 v0, 2, v18
	;; [unrolled: 2-line block ×6, first 2 shown]
	buffer_store_dword v31, off, s[20:23], 0 offset:524 ; 4-byte Folded Spill
	s_mov_b32 s11, 0x30303030
	v_mov_b32_e32 v17, 0
	v_mov_b32_e32 v13, 0
	;; [unrolled: 1-line block ×8, first 2 shown]
	v_add_u32_e32 v0, v30, v16
	buffer_store_dword v0, off, s[20:23], 0 offset:260 ; 4-byte Folded Spill
	v_add_u32_e32 v0, v30, v19
	buffer_store_dword v0, off, s[20:23], 0 offset:264 ; 4-byte Folded Spill
	;; [unrolled: 2-line block ×6, first 2 shown]
	buffer_store_dword v30, off, s[20:23], 0 offset:512 ; 4-byte Folded Spill
	v_add_u32_e32 v0, v30, v2
	v_mov_b32_e32 v21, 0
	v_mov_b32_e32 v20, 0
	;; [unrolled: 1-line block ×4, first 2 shown]
	buffer_store_dword v0, off, s[20:23], 0 offset:284 ; 4-byte Folded Spill
	buffer_store_dword v92, off, s[20:23], 0 offset:60 ; 4-byte Folded Spill
	;; [unrolled: 1-line block ×4, first 2 shown]
.LBB172_5:                              ; =>This Loop Header: Depth=1
                                        ;     Child Loop BB172_6 Depth 2
                                        ;     Child Loop BB172_8 Depth 2
	buffer_store_dword v21, off, s[20:23], 0 offset:44 ; 4-byte Folded Spill
	buffer_store_dword v20, off, s[20:23], 0 offset:40 ; 4-byte Folded Spill
	;; [unrolled: 1-line block ×11, first 2 shown]
	buffer_store_dword v10, off, s[20:23], 0 ; 4-byte Folded Spill
	buffer_load_dword v0, off, s[20:23], 0 offset:288 ; 4-byte Folded Reload
	buffer_load_dword v6, off, s[20:23], 0 offset:292 ; 4-byte Folded Reload
	s_mul_i32 s0, s9, 0x90
	s_mul_hi_u32 s1, s9, 0x90
	s_add_u32 s0, s7, s0
	s_addc_u32 s1, s8, s1
	v_mov_b32_e32 v3, s1
	v_mov_b32_e32 v2, s0
	s_lshl_b32 s16, s9, 3
	s_mov_b32 s18, 0
	s_waitcnt vmcnt(1)
	v_mad_u64_u32 v[4:5], s[0:1], v0, s5, v[2:3]
	buffer_load_dword v0, off, s[20:23], 0 offset:296 ; 4-byte Folded Reload
	s_waitcnt vmcnt(0)
	v_mad_i64_i32 v[0:1], s[0:1], v0, s5, v[4:5]
	v_add_co_u32_e32 v0, vcc, v0, v6
	v_addc_co_u32_e32 v1, vcc, 0, v1, vcc
	global_load_dword v0, v[0:1], off offset:16
	s_nop 0
	buffer_load_dword v8, off, s[20:23], 0 offset:300 ; 4-byte Folded Reload
	buffer_load_dword v9, off, s[20:23], 0 offset:304 ; 4-byte Folded Reload
	s_waitcnt vmcnt(1)
	ds_write_b32 v8, v0
	buffer_load_dword v0, off, s[20:23], 0 offset:308 ; 4-byte Folded Reload
	s_waitcnt vmcnt(0)
	v_mad_i64_i32 v[0:1], s[0:1], v0, s5, v[4:5]
	v_add_co_u32_e32 v0, vcc, v0, v6
	v_addc_co_u32_e32 v1, vcc, 0, v1, vcc
	global_load_dword v0, v[0:1], off offset:16
	s_nop 0
	buffer_load_dword v8, off, s[20:23], 0 offset:312 ; 4-byte Folded Reload
	buffer_load_dword v9, off, s[20:23], 0 offset:316 ; 4-byte Folded Reload
	s_waitcnt vmcnt(1)
	ds_write_b32 v8, v0
	;; [unrolled: 11-line block ×15, first 2 shown]
	buffer_load_dword v0, off, s[20:23], 0 offset:476 ; 4-byte Folded Reload
	s_waitcnt vmcnt(0)
	v_mad_i64_i32 v[0:1], s[0:1], v0, s5, v[4:5]
	v_add_co_u32_e32 v0, vcc, v0, v6
	v_addc_co_u32_e32 v1, vcc, 0, v1, vcc
	global_load_dword v0, v[0:1], off offset:16
	s_nop 0
	buffer_load_dword v4, off, s[20:23], 0 offset:480 ; 4-byte Folded Reload
	buffer_load_dword v5, off, s[20:23], 0 offset:484 ; 4-byte Folded Reload
	;; [unrolled: 1-line block ×5, first 2 shown]
	s_waitcnt vmcnt(4)
	ds_write_b32 v4, v0
	buffer_load_dword v0, off, s[20:23], 0 offset:488 ; 4-byte Folded Reload
	s_waitcnt vmcnt(0)
	v_mad_i64_i32 v[0:1], s[0:1], v0, s5, v[2:3]
	global_load_dword v0, v[0:1], off
	s_nop 0
	buffer_load_dword v1, off, s[20:23], 0 offset:492 ; 4-byte Folded Reload
	s_waitcnt vmcnt(0)
	ds_write_b32 v1, v0
	buffer_load_dword v0, off, s[20:23], 0 offset:504 ; 4-byte Folded Reload
	s_waitcnt vmcnt(0)
	v_mad_i64_i32 v[0:1], s[0:1], v0, s5, v[2:3]
	v_add_co_u32_e32 v4, vcc, v0, v8
	v_addc_co_u32_e32 v5, vcc, 0, v1, vcc
	global_load_dword v4, v[4:5], off offset:4
	v_add_co_u32_e32 v0, vcc, v0, v9
	buffer_load_dword v5, off, s[20:23], 0 offset:496 ; 4-byte Folded Reload
	v_addc_co_u32_e32 v1, vcc, 0, v1, vcc
	global_load_dword v0, v[0:1], off offset:4
	s_waitcnt vmcnt(1)
	v_ashrrev_i32_e32 v4, v5, v4
	buffer_load_dword v1, off, s[20:23], 0 offset:548 ; 4-byte Folded Reload
	v_and_b32_e32 v4, 0xf0f0f0f, v4
	s_waitcnt vmcnt(1)
	v_ashrrev_i32_e32 v0, v6, v0
	v_and_or_b32 v0, v0, s11, v4
	s_waitcnt vmcnt(0)
	ds_write_b32 v1, v0
	buffer_load_dword v0, off, s[20:23], 0 offset:508 ; 4-byte Folded Reload
	s_waitcnt vmcnt(0)
	v_mad_i64_i32 v[0:1], s[0:1], v0, s5, v[2:3]
	v_add_co_u32_e32 v2, vcc, v0, v8
	v_addc_co_u32_e32 v3, vcc, 0, v1, vcc
	v_add_co_u32_e32 v0, vcc, v0, v9
	global_load_dword v2, v[2:3], off offset:4
	v_addc_co_u32_e32 v1, vcc, 0, v1, vcc
	global_load_dword v0, v[0:1], off offset:4
	s_waitcnt vmcnt(1)
	v_ashrrev_i32_e32 v2, v5, v2
	buffer_load_dword v1, off, s[20:23], 0 offset:552 ; 4-byte Folded Reload
	v_and_b32_e32 v2, 0xf0f0f0f, v2
	s_waitcnt vmcnt(1)
	v_ashrrev_i32_e32 v0, v6, v0
	v_and_or_b32 v0, v0, s11, v2
	s_waitcnt vmcnt(0)
	ds_write_b32 v1, v0
	buffer_load_dword v0, off, s[20:23], 0 offset:516 ; 4-byte Folded Reload
	buffer_load_dword v1, off, s[20:23], 0 offset:520 ; 4-byte Folded Reload
	s_waitcnt vmcnt(1)
	v_add_u32_e32 v6, s16, v0
	buffer_load_dword v0, off, s[20:23], 0 offset:524 ; 4-byte Folded Reload
	s_waitcnt vmcnt(0)
	v_add_u32_e32 v2, s16, v0
	buffer_load_dword v0, off, s[20:23], 0 offset:200 ; 4-byte Folded Reload
	buffer_load_dword v4, off, s[20:23], 0 offset:252 ; 4-byte Folded Reload
	;; [unrolled: 1-line block ×3, first 2 shown]
	s_waitcnt vmcnt(2)
	v_add_u32_e32 v0, v2, v0
	s_waitcnt vmcnt(0)
	v_mad_i64_i32 v[0:1], s[0:1], v0, 36, v[4:5]
	global_load_dword v0, v[0:1], off offset:4
	s_nop 0
	buffer_load_dword v1, off, s[20:23], 0 offset:512 ; 4-byte Folded Reload
	buffer_load_dword v3, off, s[20:23], 0 offset:204 ; 4-byte Folded Reload
	s_waitcnt vmcnt(0)
	v_add_u32_e32 v1, v1, v3
	ds_write_b32 v1, v0
	buffer_load_dword v0, off, s[20:23], 0 offset:208 ; 4-byte Folded Reload
	s_waitcnt vmcnt(0)
	v_add_u32_e32 v0, v2, v0
	buffer_store_dword v1, off, s[20:23], 0 offset:76 ; 4-byte Folded Spill
	v_mad_i64_i32 v[0:1], s[0:1], v0, 36, v[4:5]
	buffer_store_dword v6, off, s[20:23], 0 offset:72 ; 4-byte Folded Spill
	global_load_dword v0, v[0:1], off offset:4
	s_nop 0
	buffer_load_dword v1, off, s[20:23], 0 offset:260 ; 4-byte Folded Reload
	s_waitcnt vmcnt(0)
	ds_write_b32 v1, v0
	buffer_load_dword v0, off, s[20:23], 0 offset:212 ; 4-byte Folded Reload
	s_waitcnt vmcnt(0)
	v_add_u32_e32 v0, v2, v0
	v_mad_i64_i32 v[0:1], s[0:1], v0, 36, v[4:5]
	global_load_dword v0, v[0:1], off offset:4
	s_nop 0
	buffer_load_dword v1, off, s[20:23], 0 offset:264 ; 4-byte Folded Reload
	s_waitcnt vmcnt(0)
	ds_write_b32 v1, v0
	buffer_load_dword v0, off, s[20:23], 0 offset:216 ; 4-byte Folded Reload
	s_waitcnt vmcnt(0)
	v_add_u32_e32 v0, v2, v0
	v_mad_i64_i32 v[0:1], s[0:1], v0, 36, v[4:5]
	;; [unrolled: 9-line block ×6, first 2 shown]
	global_load_dword v0, v[0:1], off offset:4
	s_nop 0
	buffer_load_dword v1, off, s[20:23], 0 offset:284 ; 4-byte Folded Reload
	s_waitcnt vmcnt(0)
	ds_write_b32 v1, v0
	v_mad_u64_u32 v[0:1], s[0:1], v6, 36, s[2:3]
	s_mov_b64 s[0:1], -1
	global_load_dword v0, v[0:1], off
	s_nop 0
	buffer_load_dword v1, off, s[20:23], 0 offset:196 ; 4-byte Folded Reload
	s_waitcnt vmcnt(0)
	ds_write_b32 v1, v0
	s_waitcnt lgkmcnt(0)
	s_barrier
	buffer_load_dword v0, off, s[20:23], 0 offset:236 ; 4-byte Folded Reload
	buffer_load_dword v53, off, s[20:23], 0 offset:52 ; 4-byte Folded Reload
	s_waitcnt vmcnt(1)
	ds_read_b32 v0, v0
	s_waitcnt lgkmcnt(0)
	v_cvt_f32_f16_e32 v69, v0
	v_cvt_f32_f16_sdwa v26, v0 dst_sel:DWORD dst_unused:UNUSED_PAD src0_sel:WORD_1
	buffer_load_dword v0, off, s[20:23], 0 offset:240 ; 4-byte Folded Reload
	s_waitcnt vmcnt(0)
	ds_read_b32 v0, v0 offset:128
	s_waitcnt lgkmcnt(0)
	v_cvt_f32_f16_sdwa v70, v0 dst_sel:DWORD dst_unused:UNUSED_PAD src0_sel:WORD_1
	v_cvt_f32_f16_e32 v27, v0
	buffer_load_dword v0, off, s[20:23], 0 offset:244 ; 4-byte Folded Reload
	s_waitcnt vmcnt(0)
	ds_read_b32 v0, v0 offset:256
	s_waitcnt lgkmcnt(0)
	v_cvt_f32_f16_sdwa v71, v0 dst_sel:DWORD dst_unused:UNUSED_PAD src0_sel:WORD_1
	v_cvt_f32_f16_e32 v28, v0
	;; [unrolled: 6-line block ×3, first 2 shown]
.LBB172_6:                              ;   Parent Loop BB172_5 Depth=1
                                        ; =>  This Inner Loop Header: Depth=2
	buffer_load_dword v0, off, s[20:23], 0 offset:140 ; 4-byte Folded Reload
	s_lshl_b32 s17, s18, 1
	s_lshr_b32 s19, s18, 2
	s_addk_i32 s19, 0x6200
	s_lshl_b32 s18, s18, 2
	s_and_b64 vcc, exec, s[0:1]
	s_mov_b64 s[0:1], 0
	s_waitcnt vmcnt(0)
	v_or_b32_e32 v0, s17, v0
	v_lshlrev_b32_e32 v1, 2, v0
	v_lshrrev_b32_e32 v18, 1, v0
	ds_read_b128 v[14:17], v1 offset:16896
	ds_read_b128 v[10:13], v1 offset:16912
	;; [unrolled: 1-line block ×4, first 2 shown]
	buffer_load_dword v0, off, s[20:23], 0 offset:132 ; 4-byte Folded Reload
	buffer_load_dword v1, off, s[20:23], 0 offset:136 ; 4-byte Folded Reload
	s_waitcnt vmcnt(1)
	v_lshlrev_b32_e32 v0, 2, v0
	v_add3_u32 v30, s19, v117, v0
	buffer_load_dword v0, off, s[20:23], 0 offset:56 ; 4-byte Folded Reload
	s_waitcnt vmcnt(0)
	v_mul_u32_u24_e32 v0, 0x84, v0
	v_add_u32_e32 v19, s18, v0
	ds_read2_b32 v[0:1], v19 offset1:1
	s_waitcnt lgkmcnt(0)
	v_and_b32_e32 v81, 0xf0f0f0f, v0
	v_dot4_i32_i8 v20, v81, v14, 0
	v_and_b32_e32 v82, 0xf0f0f0f, v1
	v_dot4_i32_i8 v22, v82, v15, v20
	ds_read2_b32 v[20:21], v19 offset0:2 offset1:3
	v_lshrrev_b32_e32 v0, 4, v0
	v_and_b32_e32 v111, 0xf0f0f0f, v0
	v_lshrrev_b32_e32 v1, 4, v1
	v_dot4_i32_i8 v0, v111, v6, 0
	s_waitcnt lgkmcnt(0)
	v_and_b32_e32 v86, 0xf0f0f0f, v20
	v_dot4_i32_i8 v22, v86, v16, v22
	v_and_b32_e32 v87, 0xf0f0f0f, v21
	v_dot4_i32_i8 v24, v87, v17, v22
	ds_read2_b32 v[22:23], v19 offset0:4 offset1:5
	v_and_b32_e32 v89, 0xf0f0f0f, v1
	v_lshrrev_b32_e32 v1, 4, v20
	v_dot4_i32_i8 v0, v89, v7, v0
	v_and_b32_e32 v84, 0xf0f0f0f, v1
	s_waitcnt lgkmcnt(0)
	v_and_b32_e32 v35, 0xf0f0f0f, v22
	v_dot4_i32_i8 v24, v35, v10, v24
	v_and_b32_e32 v61, 0xf0f0f0f, v23
	v_dot4_i32_i8 v31, v61, v11, v24
	ds_read2_b32 v[24:25], v19 offset0:6 offset1:7
	v_lshrrev_b32_e32 v1, 4, v21
	v_dot4_i32_i8 v0, v84, v8, v0
	v_and_b32_e32 v85, 0xf0f0f0f, v1
	v_lshrrev_b32_e32 v1, 4, v22
	ds_read_u16 v32, v30
	ds_read_u8 v33, v30 offset:8
	ds_read_u8 v30, v30 offset:9
	v_dot4_i32_i8 v0, v85, v9, v0
	v_and_b32_e32 v90, 0xf0f0f0f, v1
	v_lshrrev_b32_e32 v1, 4, v23
	s_waitcnt lgkmcnt(3)
	v_and_b32_e32 v19, 0xf0f0f0f, v24
	v_dot4_i32_i8 v0, v90, v2, v0
	v_and_b32_e32 v94, 0xf0f0f0f, v1
	v_lshrrev_b32_e32 v1, 4, v24
	v_dot4_i32_i8 v31, v19, v12, v31
	v_and_b32_e32 v125, 0xf0f0f0f, v25
	v_dot4_i32_i8 v0, v94, v3, v0
	v_and_b32_e32 v96, 0xf0f0f0f, v1
	v_lshrrev_b32_e32 v1, 4, v25
	v_dot4_i32_i8 v31, v125, v13, v31
	v_dot4_i32_i8 v0, v96, v4, v0
	v_and_b32_e32 v100, 0xf0f0f0f, v1
	s_waitcnt lgkmcnt(2)
	v_and_b32_e32 v105, 0xff, v32
	v_dot4_i32_i8 v0, v100, v5, v0
	v_lshrrev_b16_e32 v101, 8, v32
	v_mul_lo_u32 v1, v31, v105
	v_mul_lo_u32 v0, v0, v101
	ds_read_b64 v[38:39], v18 offset:27200
	s_waitcnt lgkmcnt(2)
	v_cvt_f32_ubyte0_e32 v126, v33
	v_cvt_f32_i32_e32 v1, v1
	v_cvt_f32_i32_e32 v0, v0
	s_waitcnt lgkmcnt(1)
	v_cvt_f32_ubyte0_e32 v103, v30
	s_waitcnt lgkmcnt(0)
	v_fma_mix_f32 v18, v38, v126, 0 op_sel:[1,0,0] op_sel_hi:[1,0,0]
	v_fma_mix_f32 v1, v38, v1, 0 op_sel_hi:[1,0,0]
	v_fma_mix_f32 v0, v39, v0, v1 op_sel_hi:[1,0,0]
	v_fma_mix_f32 v1, v39, v103, v18 op_sel:[1,0,0] op_sel_hi:[1,0,0]
	v_mul_f32_e32 v1, v1, v26
	v_fma_f32 v0, v0, v69, -v1
	v_add_f32_e32 v99, v99, v0
	buffer_load_dword v0, off, s[20:23], 0 offset:184 ; 4-byte Folded Reload
	buffer_load_dword v1, off, s[20:23], 0 offset:172 ; 4-byte Folded Reload
	s_waitcnt vmcnt(1)
	v_add3_u32 v0, s19, v116, v0
	s_waitcnt vmcnt(0)
	v_add_u32_e32 v1, s18, v1
	ds_read2_b32 v[22:23], v1 offset1:1
	ds_read2_b32 v[24:25], v1 offset0:2 offset1:3
	ds_read2_b32 v[30:31], v1 offset0:4 offset1:5
	;; [unrolled: 1-line block ×3, first 2 shown]
	ds_read_u16 v20, v0
	ds_read_u16 v0, v0 offset:8
	s_waitcnt lgkmcnt(5)
	v_and_b32_e32 v107, 0xf0f0f0f, v22
	v_dot4_i32_i8 v18, v107, v14, 0
	v_and_b32_e32 v109, 0xf0f0f0f, v23
	v_dot4_i32_i8 v18, v109, v15, v18
	s_waitcnt lgkmcnt(4)
	v_and_b32_e32 v110, 0xf0f0f0f, v24
	v_dot4_i32_i8 v18, v110, v16, v18
	v_and_b32_e32 v112, 0xf0f0f0f, v25
	v_dot4_i32_i8 v18, v112, v17, v18
	;; [unrolled: 5-line block ×4, first 2 shown]
	s_waitcnt lgkmcnt(1)
	v_and_b32_e32 v21, 0xff, v20
	v_mul_lo_u32 v18, v18, v21
	v_lshrrev_b32_e32 v23, 4, v23
	v_and_b32_e32 v65, 0xf0f0f0f, v23
	v_lshrrev_b32_e32 v23, 4, v24
	v_cvt_f32_i32_e32 v34, v18
	v_lshrrev_b32_e32 v18, 4, v22
	v_and_b32_e32 v22, 0xf0f0f0f, v18
	v_dot4_i32_i8 v18, v22, v6, 0
	v_dot4_i32_i8 v18, v65, v7, v18
	v_and_b32_e32 v23, 0xf0f0f0f, v23
	v_lshrrev_b32_e32 v24, 4, v25
	v_dot4_i32_i8 v18, v23, v8, v18
	v_and_b32_e32 v67, 0xf0f0f0f, v24
	v_lshrrev_b32_e32 v24, 4, v30
	;; [unrolled: 3-line block ×5, first 2 shown]
	v_dot4_i32_i8 v18, v68, v4, v18
	v_and_b32_e32 v59, 0xf0f0f0f, v30
	v_dot4_i32_i8 v18, v59, v5, v18
	v_lshrrev_b16_e32 v80, 8, v20
	v_mul_lo_u32 v18, v18, v80
	s_waitcnt lgkmcnt(0)
	v_cvt_f32_ubyte0_e32 v64, v0
	v_fma_mix_f32 v30, v38, v34, 0 op_sel_hi:[1,0,0]
	v_cvt_f32_i32_e32 v20, v18
	v_cvt_f32_ubyte1_e32 v18, v0
	v_fma_mix_f32 v0, v38, v64, 0 op_sel:[1,0,0] op_sel_hi:[1,0,0]
	v_fma_mix_f32 v0, v39, v18, v0 op_sel:[1,0,0] op_sel_hi:[1,0,0]
	v_fma_mix_f32 v20, v39, v20, v30 op_sel_hi:[1,0,0]
	v_mul_f32_e32 v0, v0, v70
	v_fma_f32 v0, v20, v27, -v0
	v_add_f32_e32 v40, v40, v0
	buffer_load_dword v0, off, s[20:23], 0 offset:188 ; 4-byte Folded Reload
	buffer_load_dword v20, off, s[20:23], 0 offset:176 ; 4-byte Folded Reload
	s_waitcnt vmcnt(1)
	v_add3_u32 v0, s19, v92, v0
	s_waitcnt vmcnt(0)
	v_add_u32_e32 v20, s18, v20
	ds_read2_b32 v[30:31], v20 offset1:1
	v_mov_b32_e32 v92, v40
	ds_read2_b32 v[40:41], v20 offset0:4 offset1:5
	ds_read2_b32 v[42:43], v20 offset0:6 offset1:7
	s_waitcnt lgkmcnt(2)
	v_and_b32_e32 v36, 0xf0f0f0f, v30
	v_dot4_i32_i8 v32, v36, v14, 0
	v_and_b32_e32 v37, 0xf0f0f0f, v31
	v_dot4_i32_i8 v34, v37, v15, v32
	ds_read2_b32 v[32:33], v20 offset0:2 offset1:3
	s_waitcnt lgkmcnt(2)
	v_and_b32_e32 v117, 0xf0f0f0f, v40
	v_and_b32_e32 v118, 0xf0f0f0f, v41
	s_waitcnt lgkmcnt(1)
	v_and_b32_e32 v119, 0xf0f0f0f, v42
	v_and_b32_e32 v120, 0xf0f0f0f, v43
	s_waitcnt lgkmcnt(0)
	v_and_b32_e32 v115, 0xf0f0f0f, v32
	v_dot4_i32_i8 v34, v115, v16, v34
	v_and_b32_e32 v116, 0xf0f0f0f, v33
	v_dot4_i32_i8 v34, v116, v17, v34
	v_dot4_i32_i8 v34, v117, v10, v34
	;; [unrolled: 1-line block ×4, first 2 shown]
	ds_read_u16 v34, v0
	ds_read_u16 v44, v0 offset:8
	v_dot4_i32_i8 v20, v120, v13, v20
	s_waitcnt lgkmcnt(1)
	v_and_b32_e32 v121, 0xff, v34
	v_mul_lo_u32 v0, v20, v121
	v_lshrrev_b32_e32 v20, 4, v31
	v_and_b32_e32 v124, 0xf0f0f0f, v20
	v_lshrrev_b32_e32 v20, 4, v32
	v_cvt_f32_i32_e32 v45, v0
	v_lshrrev_b32_e32 v0, 4, v30
	v_and_b32_e32 v123, 0xf0f0f0f, v0
	v_dot4_i32_i8 v0, v123, v6, 0
	v_dot4_i32_i8 v0, v124, v7, v0
	v_and_b32_e32 v58, 0xf0f0f0f, v20
	v_lshrrev_b32_e32 v20, 4, v33
	v_dot4_i32_i8 v0, v58, v8, v0
	v_and_b32_e32 v91, 0xf0f0f0f, v20
	v_lshrrev_b32_e32 v20, 4, v40
	;; [unrolled: 3-line block ×5, first 2 shown]
	v_dot4_i32_i8 v0, v63, v4, v0
	v_and_b32_e32 v127, 0xf0f0f0f, v30
	v_dot4_i32_i8 v30, v127, v5, v0
	v_lshrrev_b16_e32 v0, 8, v34
	v_mul_lo_u32 v30, v30, v0
	s_waitcnt lgkmcnt(0)
	v_cvt_f32_ubyte0_e32 v122, v44
	v_cvt_f32_ubyte1_e32 v52, v44
	v_fma_mix_f32 v31, v38, v122, 0 op_sel:[1,0,0] op_sel_hi:[1,0,0]
	v_cvt_f32_i32_e32 v30, v30
	v_fma_mix_f32 v32, v38, v45, 0 op_sel_hi:[1,0,0]
	v_fma_mix_f32 v31, v39, v52, v31 op_sel:[1,0,0] op_sel_hi:[1,0,0]
	v_mul_f32_e32 v31, v31, v71
	v_fma_mix_f32 v30, v39, v30, v32 op_sel_hi:[1,0,0]
	v_fma_f32 v30, v30, v28, -v31
	v_add_f32_e32 v46, v46, v30
	buffer_load_dword v30, off, s[20:23], 0 offset:192 ; 4-byte Folded Reload
	buffer_load_dword v31, off, s[20:23], 0 offset:180 ; 4-byte Folded Reload
	s_waitcnt vmcnt(1)
	v_add3_u32 v30, s19, v53, v30
	s_waitcnt vmcnt(0)
	v_add_u32_e32 v33, s18, v31
	ds_read2_b32 v[31:32], v33 offset1:1
	buffer_store_dword v46, off, s[20:23], 0 offset:48 ; 4-byte Folded Spill
	s_mov_b32 s18, 8
	s_waitcnt lgkmcnt(0)
	v_and_b32_e32 v48, 0xf0f0f0f, v31
	v_dot4_i32_i8 v14, v48, v14, 0
	v_and_b32_e32 v49, 0xf0f0f0f, v32
	v_dot4_i32_i8 v34, v49, v15, v14
	ds_read2_b32 v[14:15], v33 offset0:2 offset1:3
	s_waitcnt lgkmcnt(0)
	v_and_b32_e32 v47, 0xf0f0f0f, v14
	v_dot4_i32_i8 v16, v47, v16, v34
	v_and_b32_e32 v40, 0xf0f0f0f, v15
	v_dot4_i32_i8 v34, v40, v17, v16
	ds_read2_b32 v[16:17], v33 offset0:4 offset1:5
	;; [unrolled: 6-line block ×3, first 2 shown]
	s_waitcnt lgkmcnt(0)
	v_and_b32_e32 v43, 0xf0f0f0f, v10
	v_dot4_i32_i8 v12, v43, v12, v34
	v_and_b32_e32 v44, 0xf0f0f0f, v11
	v_dot4_i32_i8 v12, v44, v13, v12
	ds_read_u16 v13, v30
	ds_read_u16 v50, v30 offset:8
	v_lshrrev_b32_e32 v30, 4, v31
	v_and_b32_e32 v78, 0xf0f0f0f, v30
	v_lshrrev_b32_e32 v30, 4, v32
	v_dot4_i32_i8 v6, v78, v6, 0
	v_and_b32_e32 v34, 0xf0f0f0f, v30
	v_dot4_i32_i8 v6, v34, v7, v6
	v_lshrrev_b32_e32 v7, 4, v14
	v_and_b32_e32 v33, 0xf0f0f0f, v7
	v_lshrrev_b32_e32 v7, 4, v15
	v_dot4_i32_i8 v6, v33, v8, v6
	v_and_b32_e32 v77, 0xf0f0f0f, v7
	v_lshrrev_b32_e32 v7, 4, v16
	v_dot4_i32_i8 v6, v77, v9, v6
	v_and_b32_e32 v32, 0xf0f0f0f, v7
	v_dot4_i32_i8 v2, v32, v2, v6
	v_lshrrev_b32_e32 v6, 4, v17
	v_and_b32_e32 v76, 0xf0f0f0f, v6
	v_dot4_i32_i8 v2, v76, v3, v2
	v_lshrrev_b32_e32 v3, 4, v10
	v_and_b32_e32 v31, 0xf0f0f0f, v3
	v_lshrrev_b32_e32 v3, 4, v11
	s_waitcnt lgkmcnt(1)
	v_and_b32_e32 v45, 0xff, v13
	v_dot4_i32_i8 v2, v31, v4, v2
	v_and_b32_e32 v30, 0xf0f0f0f, v3
	v_mul_lo_u32 v12, v12, v45
	v_dot4_i32_i8 v2, v30, v5, v2
	v_lshrrev_b16_e32 v75, 8, v13
	v_mul_lo_u32 v2, v2, v75
	v_cvt_f32_i32_e32 v12, v12
	s_waitcnt lgkmcnt(0)
	v_cvt_f32_ubyte0_e32 v46, v50
	v_cvt_f32_ubyte1_e32 v74, v50
	v_cvt_f32_i32_e32 v2, v2
	v_fma_mix_f32 v3, v38, v46, 0 op_sel:[1,0,0] op_sel_hi:[1,0,0]
	v_fma_mix_f32 v4, v38, v12, 0 op_sel_hi:[1,0,0]
	v_fma_mix_f32 v3, v39, v74, v3 op_sel:[1,0,0] op_sel_hi:[1,0,0]
	v_fma_mix_f32 v2, v39, v2, v4 op_sel_hi:[1,0,0]
	v_mul_f32_e32 v3, v3, v73
	v_fma_f32 v2, v2, v29, -v3
	v_add_f32_e32 v108, v108, v2
	buffer_load_dword v2, off, s[20:23], 0 offset:144 ; 4-byte Folded Reload
	s_waitcnt vmcnt(0)
	v_or_b32_e32 v2, s17, v2
	v_lshlrev_b32_e32 v3, 2, v2
	v_lshrrev_b32_e32 v38, 1, v2
	ds_read_b128 v[14:17], v3 offset:16896
	ds_read_b128 v[10:13], v3 offset:16912
	;; [unrolled: 1-line block ×4, first 2 shown]
	ds_read_b64 v[38:39], v38 offset:27200
	s_waitcnt lgkmcnt(4)
	v_dot4_i32_i8 v50, v81, v14, 0
	v_dot4_i32_i8 v50, v82, v15, v50
	s_waitcnt lgkmcnt(2)
	v_dot4_i32_i8 v53, v111, v6, 0
	v_dot4_i32_i8 v50, v86, v16, v50
	;; [unrolled: 1-line block ×8, first 2 shown]
	s_waitcnt lgkmcnt(1)
	v_dot4_i32_i8 v53, v90, v2, v53
	v_dot4_i32_i8 v50, v19, v12, v50
	;; [unrolled: 1-line block ×5, first 2 shown]
	v_mul_lo_u32 v50, v50, v105
	v_dot4_i32_i8 v53, v100, v5, v53
	v_mul_lo_u32 v53, v53, v101
	s_waitcnt lgkmcnt(0)
	v_fma_mix_f32 v51, v126, v38, 0 op_sel:[0,1,0] op_sel_hi:[0,1,0]
	v_cvt_f32_i32_e32 v50, v50
	v_fma_mix_f32 v51, v103, v39, v51 op_sel:[0,1,0] op_sel_hi:[0,1,0]
	v_cvt_f32_i32_e32 v53, v53
	v_mul_f32_e32 v51, v51, v26
	v_fma_mix_f32 v50, v50, v38, 0 op_sel_hi:[0,1,0]
	v_fma_mix_f32 v50, v53, v39, v50 op_sel_hi:[0,1,0]
	v_fma_f32 v50, v50, v69, -v51
	buffer_load_dword v51, off, s[20:23], 0 offset:44 ; 4-byte Folded Reload
	v_dot4_i32_i8 v53, v22, v6, 0
	v_dot4_i32_i8 v53, v65, v7, v53
	;; [unrolled: 1-line block ×8, first 2 shown]
	v_mul_lo_u32 v53, v53, v80
	v_cvt_f32_i32_e32 v53, v53
	s_waitcnt vmcnt(0)
	v_add_f32_e32 v51, v51, v50
	v_dot4_i32_i8 v50, v107, v14, 0
	v_dot4_i32_i8 v50, v109, v15, v50
	;; [unrolled: 1-line block ×8, first 2 shown]
	v_mul_lo_u32 v50, v50, v21
	buffer_store_dword v51, off, s[20:23], 0 offset:44 ; 4-byte Folded Spill
	v_fma_mix_f32 v51, v64, v38, 0 op_sel:[0,1,0] op_sel_hi:[0,1,0]
	v_fma_mix_f32 v51, v18, v39, v51 op_sel:[0,1,0] op_sel_hi:[0,1,0]
	v_cvt_f32_i32_e32 v50, v50
	v_mul_f32_e32 v51, v51, v70
	v_fma_mix_f32 v50, v50, v38, 0 op_sel_hi:[0,1,0]
	v_fma_mix_f32 v50, v53, v39, v50 op_sel_hi:[0,1,0]
	v_fma_f32 v50, v50, v27, -v51
	buffer_load_dword v51, off, s[20:23], 0 offset:40 ; 4-byte Folded Reload
	v_dot4_i32_i8 v53, v123, v6, 0
	v_dot4_i32_i8 v6, v78, v6, 0
	v_dot4_i32_i8 v53, v124, v7, v53
	v_dot4_i32_i8 v6, v34, v7, v6
	v_dot4_i32_i8 v53, v58, v8, v53
	v_dot4_i32_i8 v6, v33, v8, v6
	v_dot4_i32_i8 v53, v91, v9, v53
	v_dot4_i32_i8 v6, v77, v9, v6
	v_dot4_i32_i8 v53, v62, v2, v53
	v_dot4_i32_i8 v2, v32, v2, v6
	v_dot4_i32_i8 v53, v20, v3, v53
	v_dot4_i32_i8 v2, v76, v3, v2
	v_dot4_i32_i8 v53, v63, v4, v53
	v_dot4_i32_i8 v2, v31, v4, v2
	v_dot4_i32_i8 v53, v127, v5, v53
	v_dot4_i32_i8 v2, v30, v5, v2
	v_mul_lo_u32 v53, v53, v0
	v_mul_lo_u32 v2, v2, v75
	v_cvt_f32_i32_e32 v53, v53
	v_cvt_f32_i32_e32 v2, v2
	s_waitcnt vmcnt(0)
	v_add_f32_e32 v51, v51, v50
	v_dot4_i32_i8 v50, v36, v14, 0
	v_dot4_i32_i8 v14, v48, v14, 0
	;; [unrolled: 1-line block ×16, first 2 shown]
	v_mul_lo_u32 v50, v50, v121
	v_mul_lo_u32 v10, v10, v45
	buffer_store_dword v51, off, s[20:23], 0 offset:40 ; 4-byte Folded Spill
	v_fma_mix_f32 v51, v122, v38, 0 op_sel:[0,1,0] op_sel_hi:[0,1,0]
	v_cvt_f32_i32_e32 v50, v50
	v_cvt_f32_i32_e32 v10, v10
	v_fma_mix_f32 v11, v46, v38, 0 op_sel:[0,1,0] op_sel_hi:[0,1,0]
	v_fma_mix_f32 v51, v52, v39, v51 op_sel:[0,1,0] op_sel_hi:[0,1,0]
	v_fma_mix_f32 v50, v50, v38, 0 op_sel_hi:[0,1,0]
	v_fma_mix_f32 v10, v10, v38, 0 op_sel_hi:[0,1,0]
	v_fma_mix_f32 v3, v74, v39, v11 op_sel:[0,1,0] op_sel_hi:[0,1,0]
	v_fma_mix_f32 v50, v53, v39, v50 op_sel_hi:[0,1,0]
	v_mul_f32_e32 v51, v51, v71
	v_fma_mix_f32 v2, v2, v39, v10 op_sel_hi:[0,1,0]
	v_mul_f32_e32 v3, v3, v73
	v_fma_f32 v50, v50, v28, -v51
	buffer_load_dword v51, off, s[20:23], 0 offset:36 ; 4-byte Folded Reload
	v_fma_f32 v2, v2, v29, -v3
	buffer_load_dword v3, off, s[20:23], 0 offset:32 ; 4-byte Folded Reload
	s_waitcnt vmcnt(1)
	v_add_f32_e32 v51, v51, v50
	buffer_store_dword v51, off, s[20:23], 0 offset:36 ; 4-byte Folded Spill
	s_waitcnt vmcnt(1)
	v_add_f32_e32 v3, v3, v2
	buffer_load_dword v2, off, s[20:23], 0 offset:148 ; 4-byte Folded Reload
	s_waitcnt vmcnt(0)
	v_or_b32_e32 v2, s17, v2
	buffer_store_dword v3, off, s[20:23], 0 offset:32 ; 4-byte Folded Spill
	v_lshlrev_b32_e32 v3, 2, v2
	v_lshrrev_b32_e32 v38, 1, v2
	ds_read_b128 v[14:17], v3 offset:16896
	ds_read_b128 v[10:13], v3 offset:16912
	;; [unrolled: 1-line block ×4, first 2 shown]
	ds_read_b64 v[38:39], v38 offset:27200
	s_waitcnt lgkmcnt(4)
	v_dot4_i32_i8 v50, v81, v14, 0
	v_dot4_i32_i8 v50, v82, v15, v50
	s_waitcnt lgkmcnt(2)
	v_dot4_i32_i8 v53, v111, v6, 0
	v_dot4_i32_i8 v50, v86, v16, v50
	;; [unrolled: 1-line block ×8, first 2 shown]
	s_waitcnt lgkmcnt(1)
	v_dot4_i32_i8 v53, v90, v2, v53
	v_dot4_i32_i8 v50, v19, v12, v50
	;; [unrolled: 1-line block ×5, first 2 shown]
	v_mul_lo_u32 v50, v50, v105
	v_dot4_i32_i8 v53, v100, v5, v53
	v_mul_lo_u32 v53, v53, v101
	s_waitcnt lgkmcnt(0)
	v_fma_mix_f32 v51, v126, v38, 0 op_sel:[0,1,0] op_sel_hi:[0,1,0]
	v_cvt_f32_i32_e32 v50, v50
	v_fma_mix_f32 v51, v103, v39, v51 op_sel:[0,1,0] op_sel_hi:[0,1,0]
	v_cvt_f32_i32_e32 v53, v53
	v_mul_f32_e32 v51, v51, v26
	v_fma_mix_f32 v50, v50, v38, 0 op_sel_hi:[0,1,0]
	v_fma_mix_f32 v50, v53, v39, v50 op_sel_hi:[0,1,0]
	v_fma_f32 v50, v50, v69, -v51
	buffer_load_dword v51, off, s[20:23], 0 offset:28 ; 4-byte Folded Reload
	v_dot4_i32_i8 v53, v22, v6, 0
	v_dot4_i32_i8 v53, v65, v7, v53
	;; [unrolled: 1-line block ×8, first 2 shown]
	v_mul_lo_u32 v53, v53, v80
	v_cvt_f32_i32_e32 v53, v53
	s_waitcnt vmcnt(0)
	v_add_f32_e32 v51, v51, v50
	v_dot4_i32_i8 v50, v107, v14, 0
	v_dot4_i32_i8 v50, v109, v15, v50
	;; [unrolled: 1-line block ×8, first 2 shown]
	v_mul_lo_u32 v50, v50, v21
	buffer_store_dword v51, off, s[20:23], 0 offset:28 ; 4-byte Folded Spill
	v_fma_mix_f32 v51, v64, v38, 0 op_sel:[0,1,0] op_sel_hi:[0,1,0]
	v_fma_mix_f32 v51, v18, v39, v51 op_sel:[0,1,0] op_sel_hi:[0,1,0]
	v_cvt_f32_i32_e32 v50, v50
	v_mul_f32_e32 v51, v51, v70
	v_fma_mix_f32 v50, v50, v38, 0 op_sel_hi:[0,1,0]
	v_fma_mix_f32 v50, v53, v39, v50 op_sel_hi:[0,1,0]
	v_fma_f32 v50, v50, v27, -v51
	buffer_load_dword v51, off, s[20:23], 0 offset:24 ; 4-byte Folded Reload
	v_dot4_i32_i8 v53, v123, v6, 0
	v_dot4_i32_i8 v6, v78, v6, 0
	;; [unrolled: 1-line block ×16, first 2 shown]
	v_mul_lo_u32 v53, v53, v0
	v_mul_lo_u32 v2, v2, v75
	v_cvt_f32_i32_e32 v53, v53
	v_cvt_f32_i32_e32 v2, v2
	s_waitcnt vmcnt(0)
	v_add_f32_e32 v51, v51, v50
	v_dot4_i32_i8 v50, v36, v14, 0
	v_dot4_i32_i8 v14, v48, v14, 0
	;; [unrolled: 1-line block ×16, first 2 shown]
	v_mul_lo_u32 v50, v50, v121
	v_mul_lo_u32 v10, v10, v45
	buffer_store_dword v51, off, s[20:23], 0 offset:24 ; 4-byte Folded Spill
	v_fma_mix_f32 v51, v122, v38, 0 op_sel:[0,1,0] op_sel_hi:[0,1,0]
	v_cvt_f32_i32_e32 v50, v50
	v_cvt_f32_i32_e32 v10, v10
	v_fma_mix_f32 v11, v46, v38, 0 op_sel:[0,1,0] op_sel_hi:[0,1,0]
	v_fma_mix_f32 v51, v52, v39, v51 op_sel:[0,1,0] op_sel_hi:[0,1,0]
	v_fma_mix_f32 v50, v50, v38, 0 op_sel_hi:[0,1,0]
	v_fma_mix_f32 v10, v10, v38, 0 op_sel_hi:[0,1,0]
	v_fma_mix_f32 v3, v74, v39, v11 op_sel:[0,1,0] op_sel_hi:[0,1,0]
	v_fma_mix_f32 v50, v53, v39, v50 op_sel_hi:[0,1,0]
	v_mul_f32_e32 v51, v51, v71
	v_fma_mix_f32 v2, v2, v39, v10 op_sel_hi:[0,1,0]
	v_mul_f32_e32 v3, v3, v73
	v_fma_f32 v50, v50, v28, -v51
	buffer_load_dword v51, off, s[20:23], 0 offset:20 ; 4-byte Folded Reload
	v_fma_f32 v2, v2, v29, -v3
	buffer_load_dword v3, off, s[20:23], 0 offset:16 ; 4-byte Folded Reload
	s_waitcnt vmcnt(1)
	v_add_f32_e32 v51, v51, v50
	buffer_store_dword v51, off, s[20:23], 0 offset:20 ; 4-byte Folded Spill
	s_waitcnt vmcnt(1)
	v_add_f32_e32 v3, v3, v2
	buffer_load_dword v2, off, s[20:23], 0 offset:152 ; 4-byte Folded Reload
	s_waitcnt vmcnt(0)
	v_or_b32_e32 v2, s17, v2
	buffer_store_dword v3, off, s[20:23], 0 offset:16 ; 4-byte Folded Spill
	v_lshlrev_b32_e32 v3, 2, v2
	v_lshrrev_b32_e32 v38, 1, v2
	ds_read_b128 v[14:17], v3 offset:16896
	ds_read_b128 v[10:13], v3 offset:16912
	;; [unrolled: 1-line block ×4, first 2 shown]
	ds_read_b64 v[38:39], v38 offset:27200
	s_waitcnt lgkmcnt(4)
	v_dot4_i32_i8 v50, v81, v14, 0
	v_dot4_i32_i8 v50, v82, v15, v50
	s_waitcnt lgkmcnt(2)
	v_dot4_i32_i8 v53, v111, v6, 0
	v_dot4_i32_i8 v50, v86, v16, v50
	;; [unrolled: 1-line block ×8, first 2 shown]
	s_waitcnt lgkmcnt(1)
	v_dot4_i32_i8 v53, v90, v2, v53
	v_dot4_i32_i8 v50, v19, v12, v50
	;; [unrolled: 1-line block ×5, first 2 shown]
	v_mul_lo_u32 v50, v50, v105
	v_dot4_i32_i8 v53, v100, v5, v53
	v_mul_lo_u32 v53, v53, v101
	s_waitcnt lgkmcnt(0)
	v_fma_mix_f32 v51, v126, v38, 0 op_sel:[0,1,0] op_sel_hi:[0,1,0]
	v_cvt_f32_i32_e32 v50, v50
	v_fma_mix_f32 v51, v103, v39, v51 op_sel:[0,1,0] op_sel_hi:[0,1,0]
	v_cvt_f32_i32_e32 v53, v53
	v_mul_f32_e32 v51, v51, v26
	v_fma_mix_f32 v50, v50, v38, 0 op_sel_hi:[0,1,0]
	v_fma_mix_f32 v50, v53, v39, v50 op_sel_hi:[0,1,0]
	v_fma_f32 v50, v50, v69, -v51
	buffer_load_dword v51, off, s[20:23], 0 offset:12 ; 4-byte Folded Reload
	v_dot4_i32_i8 v53, v22, v6, 0
	v_dot4_i32_i8 v53, v65, v7, v53
	;; [unrolled: 1-line block ×8, first 2 shown]
	v_mul_lo_u32 v53, v53, v80
	v_cvt_f32_i32_e32 v53, v53
	s_waitcnt vmcnt(0)
	v_add_f32_e32 v51, v51, v50
	v_dot4_i32_i8 v50, v107, v14, 0
	v_dot4_i32_i8 v50, v109, v15, v50
	;; [unrolled: 1-line block ×8, first 2 shown]
	v_mul_lo_u32 v50, v50, v21
	buffer_store_dword v51, off, s[20:23], 0 offset:12 ; 4-byte Folded Spill
	v_fma_mix_f32 v51, v64, v38, 0 op_sel:[0,1,0] op_sel_hi:[0,1,0]
	v_fma_mix_f32 v51, v18, v39, v51 op_sel:[0,1,0] op_sel_hi:[0,1,0]
	v_cvt_f32_i32_e32 v50, v50
	v_mul_f32_e32 v51, v51, v70
	v_fma_mix_f32 v50, v50, v38, 0 op_sel_hi:[0,1,0]
	v_fma_mix_f32 v50, v53, v39, v50 op_sel_hi:[0,1,0]
	v_fma_f32 v50, v50, v27, -v51
	buffer_load_dword v51, off, s[20:23], 0 offset:8 ; 4-byte Folded Reload
	v_dot4_i32_i8 v53, v123, v6, 0
	v_dot4_i32_i8 v6, v78, v6, 0
	;; [unrolled: 1-line block ×16, first 2 shown]
	v_mul_lo_u32 v53, v53, v0
	v_mul_lo_u32 v2, v2, v75
	v_cvt_f32_i32_e32 v53, v53
	v_cvt_f32_i32_e32 v2, v2
	s_waitcnt vmcnt(0)
	v_add_f32_e32 v51, v51, v50
	v_dot4_i32_i8 v50, v36, v14, 0
	v_dot4_i32_i8 v14, v48, v14, 0
	;; [unrolled: 1-line block ×16, first 2 shown]
	v_mul_lo_u32 v50, v50, v121
	v_mul_lo_u32 v10, v10, v45
	buffer_store_dword v51, off, s[20:23], 0 offset:8 ; 4-byte Folded Spill
	v_fma_mix_f32 v51, v122, v38, 0 op_sel:[0,1,0] op_sel_hi:[0,1,0]
	v_cvt_f32_i32_e32 v50, v50
	v_cvt_f32_i32_e32 v10, v10
	v_fma_mix_f32 v11, v46, v38, 0 op_sel:[0,1,0] op_sel_hi:[0,1,0]
	v_fma_mix_f32 v51, v52, v39, v51 op_sel:[0,1,0] op_sel_hi:[0,1,0]
	v_fma_mix_f32 v50, v50, v38, 0 op_sel_hi:[0,1,0]
	v_fma_mix_f32 v10, v10, v38, 0 op_sel_hi:[0,1,0]
	v_fma_mix_f32 v3, v74, v39, v11 op_sel:[0,1,0] op_sel_hi:[0,1,0]
	v_fma_mix_f32 v50, v53, v39, v50 op_sel_hi:[0,1,0]
	v_mul_f32_e32 v51, v51, v71
	v_fma_mix_f32 v2, v2, v39, v10 op_sel_hi:[0,1,0]
	v_mul_f32_e32 v3, v3, v73
	v_fma_f32 v50, v50, v28, -v51
	buffer_load_dword v51, off, s[20:23], 0 offset:4 ; 4-byte Folded Reload
	v_fma_f32 v2, v2, v29, -v3
	buffer_load_dword v3, off, s[20:23], 0  ; 4-byte Folded Reload
	s_waitcnt vmcnt(1)
	v_add_f32_e32 v51, v51, v50
	buffer_store_dword v51, off, s[20:23], 0 offset:4 ; 4-byte Folded Spill
	s_waitcnt vmcnt(1)
	v_add_f32_e32 v3, v3, v2
	buffer_load_dword v2, off, s[20:23], 0 offset:156 ; 4-byte Folded Reload
	s_waitcnt vmcnt(0)
	v_or_b32_e32 v2, s17, v2
	buffer_store_dword v3, off, s[20:23], 0 ; 4-byte Folded Spill
	v_lshlrev_b32_e32 v3, 2, v2
	v_lshrrev_b32_e32 v38, 1, v2
	ds_read_b128 v[14:17], v3 offset:16896
	ds_read_b128 v[10:13], v3 offset:16912
	;; [unrolled: 1-line block ×4, first 2 shown]
	ds_read_b64 v[38:39], v38 offset:27200
	s_waitcnt lgkmcnt(4)
	v_dot4_i32_i8 v50, v81, v14, 0
	v_dot4_i32_i8 v50, v82, v15, v50
	s_waitcnt lgkmcnt(2)
	v_dot4_i32_i8 v53, v111, v6, 0
	v_dot4_i32_i8 v50, v86, v16, v50
	;; [unrolled: 1-line block ×8, first 2 shown]
	s_waitcnt lgkmcnt(1)
	v_dot4_i32_i8 v53, v90, v2, v53
	v_dot4_i32_i8 v50, v19, v12, v50
	v_dot4_i32_i8 v53, v94, v3, v53
	v_dot4_i32_i8 v50, v125, v13, v50
	v_dot4_i32_i8 v53, v96, v4, v53
	v_mul_lo_u32 v50, v50, v105
	v_dot4_i32_i8 v53, v100, v5, v53
	v_mul_lo_u32 v53, v53, v101
	s_waitcnt lgkmcnt(0)
	v_fma_mix_f32 v51, v126, v38, 0 op_sel:[0,1,0] op_sel_hi:[0,1,0]
	v_cvt_f32_i32_e32 v50, v50
	v_fma_mix_f32 v51, v103, v39, v51 op_sel:[0,1,0] op_sel_hi:[0,1,0]
	v_cvt_f32_i32_e32 v53, v53
	v_mul_f32_e32 v51, v51, v26
	v_fma_mix_f32 v50, v50, v38, 0 op_sel_hi:[0,1,0]
	v_fma_mix_f32 v50, v53, v39, v50 op_sel_hi:[0,1,0]
	v_fma_f32 v50, v50, v69, -v51
	v_add_f32_e32 v106, v106, v50
	v_dot4_i32_i8 v50, v107, v14, 0
	v_dot4_i32_i8 v50, v109, v15, v50
	;; [unrolled: 1-line block ×15, first 2 shown]
	v_mul_lo_u32 v50, v50, v21
	v_dot4_i32_i8 v53, v59, v5, v53
	v_mul_lo_u32 v53, v53, v80
	v_fma_mix_f32 v51, v64, v38, 0 op_sel:[0,1,0] op_sel_hi:[0,1,0]
	v_cvt_f32_i32_e32 v50, v50
	v_fma_mix_f32 v51, v18, v39, v51 op_sel:[0,1,0] op_sel_hi:[0,1,0]
	v_cvt_f32_i32_e32 v53, v53
	v_mul_f32_e32 v51, v51, v70
	v_fma_mix_f32 v50, v50, v38, 0 op_sel_hi:[0,1,0]
	v_fma_mix_f32 v50, v53, v39, v50 op_sel_hi:[0,1,0]
	v_fma_f32 v50, v50, v27, -v51
	v_add_f32_e32 v104, v104, v50
	v_dot4_i32_i8 v50, v36, v14, 0
	v_dot4_i32_i8 v14, v48, v14, 0
	;; [unrolled: 1-line block ×25, first 2 shown]
	v_mul_lo_u32 v10, v10, v45
	v_dot4_i32_i8 v2, v30, v5, v2
	v_mul_lo_u32 v2, v2, v75
	v_dot4_i32_i8 v50, v118, v11, v50
	v_cvt_f32_i32_e32 v10, v10
	v_fma_mix_f32 v11, v46, v38, 0 op_sel:[0,1,0] op_sel_hi:[0,1,0]
	v_cvt_f32_i32_e32 v2, v2
	v_dot4_i32_i8 v53, v20, v3, v53
	v_fma_mix_f32 v10, v10, v38, 0 op_sel_hi:[0,1,0]
	v_fma_mix_f32 v3, v74, v39, v11 op_sel:[0,1,0] op_sel_hi:[0,1,0]
	v_fma_mix_f32 v2, v2, v39, v10 op_sel_hi:[0,1,0]
	v_mul_f32_e32 v3, v3, v73
	v_fma_f32 v2, v2, v29, -v3
	v_add_f32_e32 v98, v98, v2
	buffer_load_dword v2, off, s[20:23], 0 offset:160 ; 4-byte Folded Reload
	v_dot4_i32_i8 v50, v119, v12, v50
	v_dot4_i32_i8 v50, v120, v13, v50
	;; [unrolled: 1-line block ×3, first 2 shown]
	v_mul_lo_u32 v50, v50, v121
	v_dot4_i32_i8 v53, v127, v5, v53
	v_mul_lo_u32 v53, v53, v0
	v_fma_mix_f32 v51, v122, v38, 0 op_sel:[0,1,0] op_sel_hi:[0,1,0]
	v_cvt_f32_i32_e32 v50, v50
	v_fma_mix_f32 v51, v52, v39, v51 op_sel:[0,1,0] op_sel_hi:[0,1,0]
	v_cvt_f32_i32_e32 v53, v53
	v_mul_f32_e32 v51, v51, v71
	v_fma_mix_f32 v50, v50, v38, 0 op_sel_hi:[0,1,0]
	v_fma_mix_f32 v50, v53, v39, v50 op_sel_hi:[0,1,0]
	v_fma_f32 v50, v50, v28, -v51
	v_add_f32_e32 v102, v102, v50
	s_waitcnt vmcnt(0)
	v_or_b32_e32 v2, s17, v2
	v_lshlrev_b32_e32 v3, 2, v2
	v_lshrrev_b32_e32 v38, 1, v2
	ds_read_b128 v[14:17], v3 offset:16896
	ds_read_b128 v[10:13], v3 offset:16912
	;; [unrolled: 1-line block ×4, first 2 shown]
	ds_read_b64 v[38:39], v38 offset:27200
	s_waitcnt lgkmcnt(4)
	v_dot4_i32_i8 v50, v81, v14, 0
	v_dot4_i32_i8 v50, v82, v15, v50
	s_waitcnt lgkmcnt(2)
	v_dot4_i32_i8 v53, v111, v6, 0
	v_dot4_i32_i8 v50, v86, v16, v50
	v_dot4_i32_i8 v53, v89, v7, v53
	v_dot4_i32_i8 v50, v87, v17, v50
	v_dot4_i32_i8 v53, v84, v8, v53
	v_dot4_i32_i8 v50, v35, v10, v50
	v_dot4_i32_i8 v53, v85, v9, v53
	v_dot4_i32_i8 v50, v61, v11, v50
	s_waitcnt lgkmcnt(1)
	v_dot4_i32_i8 v53, v90, v2, v53
	v_dot4_i32_i8 v50, v19, v12, v50
	;; [unrolled: 1-line block ×5, first 2 shown]
	v_mul_lo_u32 v50, v50, v105
	v_dot4_i32_i8 v53, v100, v5, v53
	v_mul_lo_u32 v53, v53, v101
	s_waitcnt lgkmcnt(0)
	v_fma_mix_f32 v51, v126, v38, 0 op_sel:[0,1,0] op_sel_hi:[0,1,0]
	v_cvt_f32_i32_e32 v50, v50
	v_fma_mix_f32 v51, v103, v39, v51 op_sel:[0,1,0] op_sel_hi:[0,1,0]
	v_cvt_f32_i32_e32 v53, v53
	v_mul_f32_e32 v51, v51, v26
	v_fma_mix_f32 v50, v50, v38, 0 op_sel_hi:[0,1,0]
	v_fma_mix_f32 v50, v53, v39, v50 op_sel_hi:[0,1,0]
	v_fma_f32 v50, v50, v69, -v51
	v_add_f32_e32 v97, v97, v50
	v_dot4_i32_i8 v50, v107, v14, 0
	v_dot4_i32_i8 v50, v109, v15, v50
	v_dot4_i32_i8 v53, v22, v6, 0
	v_dot4_i32_i8 v50, v110, v16, v50
	v_dot4_i32_i8 v53, v65, v7, v53
	v_dot4_i32_i8 v50, v112, v17, v50
	v_dot4_i32_i8 v53, v23, v8, v53
	v_dot4_i32_i8 v50, v113, v10, v50
	v_dot4_i32_i8 v53, v67, v9, v53
	v_dot4_i32_i8 v50, v114, v11, v50
	v_dot4_i32_i8 v53, v24, v2, v53
	v_dot4_i32_i8 v50, v95, v12, v50
	v_dot4_i32_i8 v53, v25, v3, v53
	v_dot4_i32_i8 v50, v1, v13, v50
	v_dot4_i32_i8 v53, v68, v4, v53
	v_mul_lo_u32 v50, v50, v21
	v_dot4_i32_i8 v53, v59, v5, v53
	v_mul_lo_u32 v53, v53, v80
	v_fma_mix_f32 v51, v64, v38, 0 op_sel:[0,1,0] op_sel_hi:[0,1,0]
	v_cvt_f32_i32_e32 v50, v50
	v_fma_mix_f32 v51, v18, v39, v51 op_sel:[0,1,0] op_sel_hi:[0,1,0]
	v_cvt_f32_i32_e32 v53, v53
	v_mul_f32_e32 v51, v51, v70
	v_fma_mix_f32 v50, v50, v38, 0 op_sel_hi:[0,1,0]
	v_fma_mix_f32 v50, v53, v39, v50 op_sel_hi:[0,1,0]
	v_fma_f32 v50, v50, v27, -v51
	v_add_f32_e32 v93, v93, v50
	v_dot4_i32_i8 v50, v36, v14, 0
	v_dot4_i32_i8 v14, v48, v14, 0
	;; [unrolled: 1-line block ×25, first 2 shown]
	v_mul_lo_u32 v10, v10, v45
	v_dot4_i32_i8 v2, v30, v5, v2
	v_mul_lo_u32 v2, v2, v75
	v_dot4_i32_i8 v50, v118, v11, v50
	v_cvt_f32_i32_e32 v10, v10
	v_fma_mix_f32 v11, v46, v38, 0 op_sel:[0,1,0] op_sel_hi:[0,1,0]
	v_cvt_f32_i32_e32 v2, v2
	v_dot4_i32_i8 v53, v20, v3, v53
	v_fma_mix_f32 v10, v10, v38, 0 op_sel_hi:[0,1,0]
	v_fma_mix_f32 v3, v74, v39, v11 op_sel:[0,1,0] op_sel_hi:[0,1,0]
	v_fma_mix_f32 v2, v2, v39, v10 op_sel_hi:[0,1,0]
	v_mul_f32_e32 v3, v3, v73
	v_fma_f32 v2, v2, v29, -v3
	v_add_f32_e32 v79, v79, v2
	buffer_load_dword v2, off, s[20:23], 0 offset:164 ; 4-byte Folded Reload
	v_dot4_i32_i8 v50, v119, v12, v50
	v_dot4_i32_i8 v50, v120, v13, v50
	;; [unrolled: 1-line block ×3, first 2 shown]
	v_mul_lo_u32 v50, v50, v121
	v_dot4_i32_i8 v53, v127, v5, v53
	v_mul_lo_u32 v53, v53, v0
	v_fma_mix_f32 v51, v122, v38, 0 op_sel:[0,1,0] op_sel_hi:[0,1,0]
	v_cvt_f32_i32_e32 v50, v50
	v_fma_mix_f32 v51, v52, v39, v51 op_sel:[0,1,0] op_sel_hi:[0,1,0]
	v_cvt_f32_i32_e32 v53, v53
	v_mul_f32_e32 v51, v51, v71
	v_fma_mix_f32 v50, v50, v38, 0 op_sel_hi:[0,1,0]
	v_fma_mix_f32 v50, v53, v39, v50 op_sel_hi:[0,1,0]
	v_fma_f32 v50, v50, v28, -v51
	v_add_f32_e32 v88, v88, v50
	s_waitcnt vmcnt(0)
	v_or_b32_e32 v2, s17, v2
	v_lshlrev_b32_e32 v3, 2, v2
	v_lshrrev_b32_e32 v38, 1, v2
	ds_read_b128 v[14:17], v3 offset:16896
	ds_read_b128 v[10:13], v3 offset:16912
	;; [unrolled: 1-line block ×4, first 2 shown]
	ds_read_b64 v[38:39], v38 offset:27200
	s_waitcnt lgkmcnt(4)
	v_dot4_i32_i8 v50, v81, v14, 0
	v_dot4_i32_i8 v50, v82, v15, v50
	s_waitcnt lgkmcnt(2)
	v_dot4_i32_i8 v53, v111, v6, 0
	v_dot4_i32_i8 v50, v86, v16, v50
	;; [unrolled: 1-line block ×8, first 2 shown]
	s_waitcnt lgkmcnt(1)
	v_dot4_i32_i8 v53, v90, v2, v53
	v_dot4_i32_i8 v50, v19, v12, v50
	;; [unrolled: 1-line block ×5, first 2 shown]
	v_mul_lo_u32 v50, v50, v105
	v_dot4_i32_i8 v53, v100, v5, v53
	v_mul_lo_u32 v53, v53, v101
	s_waitcnt lgkmcnt(0)
	v_fma_mix_f32 v51, v126, v38, 0 op_sel:[0,1,0] op_sel_hi:[0,1,0]
	v_cvt_f32_i32_e32 v50, v50
	v_fma_mix_f32 v51, v103, v39, v51 op_sel:[0,1,0] op_sel_hi:[0,1,0]
	v_cvt_f32_i32_e32 v53, v53
	v_mul_f32_e32 v51, v51, v26
	v_fma_mix_f32 v50, v50, v38, 0 op_sel_hi:[0,1,0]
	v_fma_mix_f32 v50, v53, v39, v50 op_sel_hi:[0,1,0]
	v_fma_f32 v50, v50, v69, -v51
	v_add_f32_e32 v83, v83, v50
	v_dot4_i32_i8 v50, v107, v14, 0
	v_dot4_i32_i8 v50, v109, v15, v50
	;; [unrolled: 1-line block ×15, first 2 shown]
	v_mul_lo_u32 v50, v50, v21
	v_dot4_i32_i8 v53, v59, v5, v53
	v_mul_lo_u32 v53, v53, v80
	v_fma_mix_f32 v51, v64, v38, 0 op_sel:[0,1,0] op_sel_hi:[0,1,0]
	v_cvt_f32_i32_e32 v50, v50
	v_fma_mix_f32 v51, v18, v39, v51 op_sel:[0,1,0] op_sel_hi:[0,1,0]
	v_cvt_f32_i32_e32 v53, v53
	v_mul_f32_e32 v51, v51, v70
	v_fma_mix_f32 v50, v50, v38, 0 op_sel_hi:[0,1,0]
	v_fma_mix_f32 v50, v53, v39, v50 op_sel_hi:[0,1,0]
	v_fma_f32 v50, v50, v27, -v51
	v_add_f32_e32 v72, v72, v50
	v_dot4_i32_i8 v50, v36, v14, 0
	v_dot4_i32_i8 v14, v48, v14, 0
	;; [unrolled: 1-line block ×28, first 2 shown]
	v_mul_lo_u32 v10, v10, v45
	v_dot4_i32_i8 v2, v30, v5, v2
	v_dot4_i32_i8 v50, v120, v13, v50
	;; [unrolled: 1-line block ×3, first 2 shown]
	v_mul_lo_u32 v2, v2, v75
	v_mul_lo_u32 v50, v50, v121
	v_dot4_i32_i8 v53, v127, v5, v53
	v_mul_lo_u32 v53, v53, v0
	v_cvt_f32_i32_e32 v10, v10
	v_cvt_f32_i32_e32 v2, v2
	;; [unrolled: 1-line block ×4, first 2 shown]
	v_fma_mix_f32 v11, v46, v38, 0 op_sel:[0,1,0] op_sel_hi:[0,1,0]
	v_fma_mix_f32 v10, v10, v38, 0 op_sel_hi:[0,1,0]
	v_fma_mix_f32 v3, v74, v39, v11 op_sel:[0,1,0] op_sel_hi:[0,1,0]
	v_fma_mix_f32 v2, v2, v39, v10 op_sel_hi:[0,1,0]
	v_mul_f32_e32 v3, v3, v73
	v_fma_mix_f32 v50, v50, v38, 0 op_sel_hi:[0,1,0]
	v_fma_f32 v2, v2, v29, -v3
	v_fma_mix_f32 v50, v53, v39, v50 op_sel_hi:[0,1,0]
	buffer_load_dword v53, off, s[20:23], 0 offset:52 ; 4-byte Folded Reload
	v_add_f32_e32 v60, v60, v2
	buffer_load_dword v2, off, s[20:23], 0 offset:168 ; 4-byte Folded Reload
	v_fma_mix_f32 v51, v122, v38, 0 op_sel:[0,1,0] op_sel_hi:[0,1,0]
	v_fma_mix_f32 v51, v52, v39, v51 op_sel:[0,1,0] op_sel_hi:[0,1,0]
	v_mul_f32_e32 v51, v51, v71
	v_fma_f32 v50, v50, v28, -v51
	v_add_f32_e32 v66, v66, v50
	s_waitcnt vmcnt(0)
	v_or_b32_e32 v2, s17, v2
	v_lshlrev_b32_e32 v3, 2, v2
	v_lshrrev_b32_e32 v38, 1, v2
	ds_read_b128 v[14:17], v3 offset:16896
	ds_read_b128 v[10:13], v3 offset:16912
	;; [unrolled: 1-line block ×4, first 2 shown]
	ds_read_b64 v[38:39], v38 offset:27200
	s_waitcnt lgkmcnt(4)
	v_dot4_i32_i8 v50, v81, v14, 0
	v_dot4_i32_i8 v50, v82, v15, v50
	;; [unrolled: 1-line block ×4, first 2 shown]
	s_waitcnt lgkmcnt(3)
	v_dot4_i32_i8 v35, v35, v10, v50
	s_waitcnt lgkmcnt(2)
	v_dot4_i32_i8 v50, v111, v6, 0
	v_dot4_i32_i8 v50, v89, v7, v50
	;; [unrolled: 1-line block ×5, first 2 shown]
	s_waitcnt lgkmcnt(1)
	v_dot4_i32_i8 v50, v90, v2, v50
	v_dot4_i32_i8 v19, v19, v12, v35
	v_dot4_i32_i8 v50, v94, v3, v50
	v_dot4_i32_i8 v19, v125, v13, v19
	v_dot4_i32_i8 v50, v96, v4, v50
	v_mul_lo_u32 v19, v19, v105
	v_dot4_i32_i8 v50, v100, v5, v50
	v_mul_lo_u32 v50, v50, v101
	s_waitcnt lgkmcnt(0)
	v_fma_mix_f32 v35, v126, v38, 0 op_sel:[0,1,0] op_sel_hi:[0,1,0]
	v_cvt_f32_i32_e32 v19, v19
	v_fma_mix_f32 v35, v103, v39, v35 op_sel:[0,1,0] op_sel_hi:[0,1,0]
	v_cvt_f32_i32_e32 v50, v50
	v_mul_f32_e32 v35, v35, v26
	v_fma_mix_f32 v19, v19, v38, 0 op_sel_hi:[0,1,0]
	v_fma_mix_f32 v19, v50, v39, v19 op_sel_hi:[0,1,0]
	v_fma_f32 v19, v19, v69, -v35
	v_add_f32_e32 v57, v57, v19
	v_dot4_i32_i8 v19, v107, v14, 0
	v_dot4_i32_i8 v19, v109, v15, v19
	;; [unrolled: 1-line block ×8, first 2 shown]
	v_mul_lo_u32 v1, v1, v21
	v_dot4_i32_i8 v21, v22, v6, 0
	v_dot4_i32_i8 v21, v65, v7, v21
	;; [unrolled: 1-line block ×8, first 2 shown]
	v_mul_lo_u32 v21, v21, v80
	v_cvt_f32_i32_e32 v1, v1
	v_fma_mix_f32 v19, v64, v38, 0 op_sel:[0,1,0] op_sel_hi:[0,1,0]
	v_fma_mix_f32 v18, v18, v39, v19 op_sel:[0,1,0] op_sel_hi:[0,1,0]
	v_cvt_f32_i32_e32 v21, v21
	v_fma_mix_f32 v1, v1, v38, 0 op_sel_hi:[0,1,0]
	v_mul_f32_e32 v18, v18, v70
	v_dot4_i32_i8 v19, v123, v6, 0
	v_fma_mix_f32 v1, v21, v39, v1 op_sel_hi:[0,1,0]
	v_fma_f32 v1, v1, v27, -v18
	v_add_f32_e32 v56, v56, v1
	v_dot4_i32_i8 v1, v36, v14, 0
	v_dot4_i32_i8 v1, v37, v15, v1
	;; [unrolled: 1-line block ×14, first 2 shown]
	v_mul_lo_u32 v1, v1, v121
	v_dot4_i32_i8 v19, v127, v5, v19
	v_mul_lo_u32 v0, v19, v0
	v_fma_mix_f32 v18, v122, v38, 0 op_sel:[0,1,0] op_sel_hi:[0,1,0]
	v_cvt_f32_i32_e32 v1, v1
	buffer_load_dword v116, off, s[20:23], 0 offset:64 ; 4-byte Folded Reload
	buffer_load_dword v117, off, s[20:23], 0 offset:68 ; 4-byte Folded Reload
	v_cvt_f32_i32_e32 v0, v0
	v_fma_mix_f32 v1, v1, v38, 0 op_sel_hi:[0,1,0]
	v_dot4_i32_i8 v6, v78, v6, 0
	v_dot4_i32_i8 v6, v34, v7, v6
	v_fma_mix_f32 v0, v0, v39, v1 op_sel_hi:[0,1,0]
	v_fma_mix_f32 v1, v52, v39, v18 op_sel:[0,1,0] op_sel_hi:[0,1,0]
	v_mul_f32_e32 v1, v1, v71
	v_fma_f32 v0, v0, v28, -v1
	v_add_f32_e32 v55, v55, v0
	v_dot4_i32_i8 v0, v48, v14, 0
	v_dot4_i32_i8 v0, v49, v15, v0
	;; [unrolled: 1-line block ×8, first 2 shown]
	v_mul_lo_u32 v0, v0, v45
	v_mov_b32_e32 v40, v92
	buffer_load_dword v92, off, s[20:23], 0 offset:60 ; 4-byte Folded Reload
	v_dot4_i32_i8 v6, v33, v8, v6
	v_cvt_f32_i32_e32 v0, v0
	v_dot4_i32_i8 v6, v77, v9, v6
	v_dot4_i32_i8 v2, v32, v2, v6
	;; [unrolled: 1-line block ×3, first 2 shown]
	v_fma_mix_f32 v1, v0, v38, 0 op_sel_hi:[0,1,0]
	v_fma_mix_f32 v0, v46, v38, 0 op_sel:[0,1,0] op_sel_hi:[0,1,0]
	buffer_load_dword v46, off, s[20:23], 0 offset:48 ; 4-byte Folded Reload
	v_dot4_i32_i8 v2, v31, v4, v2
	v_dot4_i32_i8 v2, v30, v5, v2
	v_mul_lo_u32 v2, v2, v75
	v_fma_mix_f32 v0, v74, v39, v0 op_sel:[0,1,0] op_sel_hi:[0,1,0]
	v_mul_f32_e32 v0, v0, v73
	v_cvt_f32_i32_e32 v2, v2
	v_fma_mix_f32 v1, v2, v39, v1 op_sel_hi:[0,1,0]
	v_fma_f32 v0, v1, v29, -v0
	v_add_f32_e32 v54, v54, v0
	s_cbranch_vccnz .LBB172_6
; %bb.7:                                ;   in Loop: Header=BB172_5 Depth=1
	s_waitcnt vmcnt(0)
	s_barrier
	buffer_load_dword v0, off, s[20:23], 0 offset:528 ; 4-byte Folded Reload
	s_waitcnt vmcnt(0)
	v_add_u32_e32 v2, s16, v0
	buffer_load_dword v0, off, s[20:23], 0 offset:200 ; 4-byte Folded Reload
	buffer_load_dword v3, off, s[20:23], 0 offset:252 ; 4-byte Folded Reload
	buffer_load_dword v4, off, s[20:23], 0 offset:256 ; 4-byte Folded Reload
	s_mov_b32 s16, 0
	s_waitcnt vmcnt(2)
	v_add_u32_e32 v0, v2, v0
	s_waitcnt vmcnt(0)
	v_mad_i64_i32 v[0:1], s[0:1], v0, 36, v[3:4]
	global_load_dword v0, v[0:1], off offset:4
	s_nop 0
	buffer_load_dword v1, off, s[20:23], 0 offset:76 ; 4-byte Folded Reload
	s_waitcnt vmcnt(0)
	ds_write_b32 v1, v0
	buffer_load_dword v0, off, s[20:23], 0 offset:208 ; 4-byte Folded Reload
	s_waitcnt vmcnt(0)
	v_add_u32_e32 v0, v2, v0
	v_mad_i64_i32 v[0:1], s[0:1], v0, 36, v[3:4]
	global_load_dword v0, v[0:1], off offset:4
	s_nop 0
	buffer_load_dword v1, off, s[20:23], 0 offset:260 ; 4-byte Folded Reload
	s_waitcnt vmcnt(0)
	ds_write_b32 v1, v0
	buffer_load_dword v0, off, s[20:23], 0 offset:212 ; 4-byte Folded Reload
	s_waitcnt vmcnt(0)
	v_add_u32_e32 v0, v2, v0
	;; [unrolled: 9-line block ×8, first 2 shown]
	v_mad_u64_u32 v[0:1], s[0:1], v0, 36, s[2:3]
	s_mov_b32 s0, 16
	s_mov_b32 s1, 0
	global_load_dword v0, v[0:1], off
	s_nop 0
	buffer_load_dword v1, off, s[20:23], 0 offset:196 ; 4-byte Folded Reload
	s_waitcnt vmcnt(0)
	ds_write_b32 v1, v0
	s_waitcnt lgkmcnt(0)
	s_barrier
	buffer_load_dword v0, off, s[20:23], 0 offset:236 ; 4-byte Folded Reload
	s_waitcnt vmcnt(0)
	ds_read_b32 v0, v0
	s_waitcnt lgkmcnt(0)
	v_cvt_f32_f16_e32 v1, v0
	v_cvt_f32_f16_sdwa v0, v0 dst_sel:DWORD dst_unused:UNUSED_PAD src0_sel:WORD_1
	buffer_store_dword v1, off, s[20:23], 0 offset:112 ; 4-byte Folded Spill
	buffer_store_dword v0, off, s[20:23], 0 offset:116 ; 4-byte Folded Spill
	buffer_load_dword v0, off, s[20:23], 0 offset:240 ; 4-byte Folded Reload
	s_waitcnt vmcnt(0)
	ds_read_b32 v0, v0 offset:128
	s_waitcnt lgkmcnt(0)
	v_cvt_f32_f16_sdwa v1, v0 dst_sel:DWORD dst_unused:UNUSED_PAD src0_sel:WORD_1
	v_cvt_f32_f16_e32 v0, v0
	buffer_store_dword v1, off, s[20:23], 0 offset:120 ; 4-byte Folded Spill
	buffer_store_dword v0, off, s[20:23], 0 offset:124 ; 4-byte Folded Spill
	buffer_load_dword v0, off, s[20:23], 0 offset:244 ; 4-byte Folded Reload
	s_waitcnt vmcnt(0)
	ds_read_b32 v0, v0 offset:256
	s_waitcnt lgkmcnt(0)
	v_cvt_f32_f16_sdwa v1, v0 dst_sel:DWORD dst_unused:UNUSED_PAD src0_sel:WORD_1
	v_cvt_f32_f16_e32 v15, v0
	buffer_load_dword v0, off, s[20:23], 0 offset:248 ; 4-byte Folded Reload
	s_waitcnt vmcnt(0)
	ds_read_b32 v0, v0 offset:384
	buffer_store_dword v1, off, s[20:23], 0 offset:128 ; 4-byte Folded Spill
	s_waitcnt lgkmcnt(0)
	v_cvt_f32_f16_sdwa v16, v0 dst_sel:DWORD dst_unused:UNUSED_PAD src0_sel:WORD_1
	v_cvt_f32_f16_e32 v17, v0
	buffer_load_dword v0, off, s[20:23], 0 offset:204 ; 4-byte Folded Reload
	buffer_load_dword v26, off, s[20:23], 0 offset:536 ; 4-byte Folded Reload
	buffer_load_dword v27, off, s[20:23], 0 offset:532 ; 4-byte Folded Reload
	s_waitcnt vmcnt(2)
	v_add_u32_e32 v25, 0x4200, v0
.LBB172_8:                              ;   Parent Loop BB172_5 Depth=1
                                        ; =>  This Inner Loop Header: Depth=2
	buffer_store_dword v40, off, s[20:23], 0 offset:108 ; 4-byte Folded Spill
	buffer_store_dword v46, off, s[20:23], 0 offset:48 ; 4-byte Folded Spill
	;; [unrolled: 1-line block ×11, first 2 shown]
	ds_read_b128 v[2:5], v25
	s_waitcnt vmcnt(11)
	ds_read2_b32 v[8:9], v27 offset1:1
	ds_read2_b32 v[6:7], v27 offset0:2 offset1:3
	v_add_u32_e32 v0, 0x1080, v27
	v_add_u32_e32 v1, 0x1088, v27
	v_add_u32_e32 v24, 0x2100, v27
	v_add_u32_e32 v50, 0x2108, v27
	v_add_u32_e32 v51, 0x3180, v27
	v_add_u32_e32 v52, 0x3188, v27
	ds_read_b128 v[18:21], v25 offset:1024
	ds_read_b128 v[28:31], v25 offset:2048
	;; [unrolled: 1-line block ×7, first 2 shown]
	ds_read2_b32 v[22:23], v0 offset1:1
	ds_read2_b32 v[0:1], v1 offset1:1
	;; [unrolled: 1-line block ×6, first 2 shown]
	s_waitcnt lgkmcnt(14)
	v_and_b32_e32 v24, 0xf0f0f0f, v8
	v_and_b32_e32 v50, 0xf0f0f0f, v9
	s_waitcnt lgkmcnt(13)
	v_and_b32_e32 v51, 0xf0f0f0f, v6
	v_lshrrev_b32_e32 v53, 4, v8
	v_lshrrev_b32_e32 v70, 4, v9
	;; [unrolled: 1-line block ×3, first 2 shown]
	v_dot4_i32_i8 v6, v24, v2, 0
	s_waitcnt lgkmcnt(5)
	v_and_b32_e32 v8, 0xf0f0f0f, v22
	v_and_b32_e32 v9, 0xf0f0f0f, v23
	s_waitcnt lgkmcnt(4)
	v_and_b32_e32 v73, 0xf0f0f0f, v0
	v_lshrrev_b32_e32 v96, 4, v23
	v_lshrrev_b32_e32 v100, 4, v0
	s_waitcnt lgkmcnt(3)
	v_and_b32_e32 v0, 0xf0f0f0f, v48
	s_waitcnt lgkmcnt(1)
	v_and_b32_e32 v23, 0xf0f0f0f, v61
	v_and_b32_e32 v52, 0xf0f0f0f, v7
	v_lshrrev_b32_e32 v91, 4, v7
	v_lshrrev_b32_e32 v95, 4, v22
	v_and_b32_e32 v22, 0xf0f0f0f, v49
	v_and_b32_e32 v71, 0xf0f0f0f, v62
	v_lshrrev_b32_e32 v114, 4, v62
	v_dot4_i32_i8 v6, v50, v3, v6
	v_dot4_i32_i8 v7, v8, v2, 0
	;; [unrolled: 1-line block ×4, first 2 shown]
	v_and_b32_e32 v103, 0xf0f0f0f, v58
	s_waitcnt lgkmcnt(0)
	v_and_b32_e32 v107, 0xf0f0f0f, v63
	v_dot4_i32_i8 v6, v51, v4, v6
	v_dot4_i32_i8 v7, v9, v3, v7
	;; [unrolled: 1-line block ×4, first 2 shown]
	v_and_b32_e32 v94, 0xf0f0f0f, v1
	v_lshrrev_b32_e32 v101, 4, v1
	v_and_b32_e32 v105, 0xf0f0f0f, v59
	v_and_b32_e32 v113, 0xf0f0f0f, v64
	v_dot4_i32_i8 v1, v24, v18, 0
	v_dot4_i32_i8 v89, v52, v5, v6
	;; [unrolled: 1-line block ×35, first 2 shown]
	v_lshrrev_b32_e32 v116, 4, v64
	v_dot4_i32_i8 v64, v105, v31, v3
	v_dot4_i32_i8 v65, v113, v31, v4
	;; [unrolled: 1-line block ×11, first 2 shown]
	v_lshrrev_b32_e32 v115, 4, v63
	v_dot4_i32_i8 v67, v94, v21, v1
	v_dot4_i32_i8 v1, v24, v32, 0
	;; [unrolled: 1-line block ×45, first 2 shown]
	ds_read_b128 v[20:23], v25 offset:32
	v_dot4_i32_i8 v3, v51, v42, v3
	v_dot4_i32_i8 v4, v51, v46, v4
	;; [unrolled: 1-line block ×13, first 2 shown]
	ds_read_b128 v[28:31], v25 offset:1056
	v_dot4_i32_i8 v2, v103, v46, v32
	v_lshrrev_b32_e32 v48, 4, v48
	v_lshrrev_b32_e32 v61, 4, v61
	v_dot4_i32_i8 v76, v94, v43, v3
	v_dot4_i32_i8 v3, v107, v46, v33
	;; [unrolled: 1-line block ×4, first 2 shown]
	v_lshrrev_b32_e32 v49, 4, v49
	v_dot4_i32_i8 v1, v51, v34, v1
	v_dot4_i32_i8 v8, v73, v111, v8
	;; [unrolled: 1-line block ×6, first 2 shown]
	v_and_b32_e32 v2, 0xf0f0f0f, v53
	v_and_b32_e32 v41, 0xf0f0f0f, v91
	;; [unrolled: 1-line block ×6, first 2 shown]
	v_lshrrev_b32_e32 v58, 4, v58
	v_dot4_i32_i8 v1, v52, v35, v1
	v_dot4_i32_i8 v73, v94, v47, v5
	ds_read_b128 v[32:35], v25 offset:2080
	ds_read_b128 v[36:39], v25 offset:3104
	v_dot4_i32_i8 v8, v94, v112, v8
	v_and_b32_e32 v24, 0xf0f0f0f, v70
	v_and_b32_e32 v40, 0xf0f0f0f, v90
	v_dot4_i32_i8 v70, v113, v112, v3
	s_waitcnt lgkmcnt(3)
	v_dot4_i32_i8 v3, v2, v20, 0
	v_and_b32_e32 v90, 0xf0f0f0f, v101
	v_and_b32_e32 v94, 0xf0f0f0f, v49
	;; [unrolled: 1-line block ×3, first 2 shown]
	v_dot4_i32_i8 v42, v50, v20, 0
	v_dot4_i32_i8 v43, v91, v20, 0
	;; [unrolled: 1-line block ×3, first 2 shown]
	v_lshrrev_b32_e32 v59, 4, v59
	v_and_b32_e32 v51, 0xf0f0f0f, v96
	v_and_b32_e32 v95, 0xf0f0f0f, v58
	;; [unrolled: 1-line block ×3, first 2 shown]
	v_dot4_i32_i8 v3, v24, v21, v3
	v_dot4_i32_i8 v43, v94, v21, v43
	v_dot4_i32_i8 v20, v101, v21, v20
	v_and_b32_e32 v96, 0xf0f0f0f, v59
	v_and_b32_e32 v105, 0xf0f0f0f, v116
	s_waitcnt lgkmcnt(2)
	v_dot4_i32_i8 v5, v2, v28, 0
	v_dot4_i32_i8 v3, v40, v22, v3
	;; [unrolled: 1-line block ×18, first 2 shown]
	s_waitcnt lgkmcnt(1)
	v_dot4_i32_i8 v3, v2, v32, 0
	v_dot4_i32_i8 v42, v41, v31, v5
	;; [unrolled: 1-line block ×16, first 2 shown]
	ds_read_b128 v[30:33], v25 offset:4128
	ds_read2_b32 v[122:123], v27 offset0:6 offset1:7
	v_dot4_i32_i8 v43, v41, v35, v3
	v_dot4_i32_i8 v3, v53, v34, v20
	v_dot4_i32_i8 v20, v95, v34, v21
	v_dot4_i32_i8 v21, v103, v34, v22
	v_dot4_i32_i8 v49, v96, v35, v20
	s_waitcnt lgkmcnt(2)
	v_dot4_i32_i8 v20, v91, v36, 0
	v_dot4_i32_i8 v48, v90, v35, v3
	;; [unrolled: 1-line block ×12, first 2 shown]
	s_waitcnt lgkmcnt(1)
	v_dot4_i32_i8 v20, v50, v30, 0
	v_dot4_i32_i8 v23, v90, v39, v3
	;; [unrolled: 1-line block ×19, first 2 shown]
	ds_read_b128 v[33:36], v25 offset:5152
	v_dot4_i32_i8 v5, v24, v37, v5
	v_dot4_i32_i8 v5, v40, v38, v5
	v_dot4_i32_i8 v5, v41, v39, v5
	s_waitcnt lgkmcnt(1)
	v_and_b32_e32 v57, 0xf0f0f0f, v122
	s_waitcnt lgkmcnt(0)
	v_dot4_i32_i8 v21, v50, v33, 0
	v_dot4_i32_i8 v3, v2, v33, 0
	;; [unrolled: 1-line block ×16, first 2 shown]
	ds_read_b128 v[36:39], v25 offset:6176
	v_and_b32_e32 v79, 0xf0f0f0f, v123
	v_mov_b32_e32 v11, v99
	v_mov_b32_e32 v99, v83
	;; [unrolled: 1-line block ×3, first 2 shown]
	s_waitcnt lgkmcnt(0)
	v_dot4_i32_i8 v22, v50, v36, 0
	v_dot4_i32_i8 v107, v51, v37, v22
	;; [unrolled: 1-line block ×9, first 2 shown]
	ds_read_b128 v[109:112], v25 offset:7200
	v_dot4_i32_i8 v3, v40, v38, v3
	v_dot4_i32_i8 v22, v41, v39, v3
	;; [unrolled: 1-line block ×4, first 2 shown]
	s_waitcnt lgkmcnt(0)
	v_dot4_i32_i8 v2, v2, v109, 0
	v_dot4_i32_i8 v2, v24, v110, v2
	;; [unrolled: 1-line block ×12, first 2 shown]
	v_add_u32_e32 v51, 0x1090, v27
	v_dot4_i32_i8 v24, v41, v112, v2
	v_dot4_i32_i8 v2, v53, v111, v3
	;; [unrolled: 1-line block ×4, first 2 shown]
	ds_read2_b32 v[116:117], v51 offset1:1
	v_dot4_i32_i8 v39, v90, v112, v2
	v_dot4_i32_i8 v40, v96, v112, v3
	;; [unrolled: 1-line block ×3, first 2 shown]
	ds_read2_b32 v[2:3], v27 offset0:4 offset1:5
	ds_read_b128 v[109:112], v25 offset:16
	s_waitcnt lgkmcnt(2)
	v_and_b32_e32 v54, 0xf0f0f0f, v116
	v_and_b32_e32 v60, 0xf0f0f0f, v117
	v_mov_b32_e32 v102, v88
	s_waitcnt lgkmcnt(1)
	v_and_b32_e32 v96, 0xf0f0f0f, v2
	s_waitcnt lgkmcnt(0)
	v_dot4_i32_i8 v51, v54, v109, v87
	v_add_u32_e32 v87, 0x2110, v27
	ds_read2_b32 v[118:119], v87 offset1:1
	v_add_u32_e32 v87, 0x3190, v27
	ds_read2_b32 v[120:121], v87 offset1:1
	v_dot4_i32_i8 v50, v96, v109, v89
	v_and_b32_e32 v53, 0xf0f0f0f, v3
	v_dot4_i32_i8 v50, v53, v110, v50
	s_waitcnt lgkmcnt(1)
	v_and_b32_e32 v55, 0xf0f0f0f, v118
	s_waitcnt lgkmcnt(0)
	v_and_b32_e32 v56, 0xf0f0f0f, v120
	v_dot4_i32_i8 v86, v55, v109, v86
	v_dot4_i32_i8 v85, v56, v109, v85
	v_dot4_i32_i8 v50, v57, v111, v50
	v_and_b32_e32 v66, 0xf0f0f0f, v119
	v_and_b32_e32 v72, 0xf0f0f0f, v121
	v_dot4_i32_i8 v51, v60, v110, v51
	v_dot4_i32_i8 v86, v66, v110, v86
	;; [unrolled: 1-line block ×4, first 2 shown]
	v_add_u32_e32 v50, 0x1098, v27
	ds_read2_b32 v[124:125], v50 offset1:1
	v_add_u32_e32 v50, 0x2118, v27
	ds_read2_b32 v[126:127], v50 offset1:1
	v_add_u32_e32 v50, 0x3198, v27
	v_mov_b32_e32 v14, v106
	s_waitcnt lgkmcnt(1)
	v_and_b32_e32 v83, 0xf0f0f0f, v124
	v_dot4_i32_i8 v87, v83, v111, v51
	ds_read2_b32 v[50:51], v50 offset1:1
	s_waitcnt lgkmcnt(1)
	v_and_b32_e32 v88, 0xf0f0f0f, v126
	v_dot4_i32_i8 v86, v88, v111, v86
	v_mov_b32_e32 v106, v93
	v_and_b32_e32 v93, 0xf0f0f0f, v125
	s_waitcnt lgkmcnt(0)
	v_and_b32_e32 v92, 0xf0f0f0f, v50
	v_dot4_i32_i8 v85, v92, v111, v85
	v_mov_b32_e32 v108, v97
	v_and_b32_e32 v97, 0xf0f0f0f, v127
	v_mov_b32_e32 v10, v98
	v_and_b32_e32 v98, 0xf0f0f0f, v51
	v_dot4_i32_i8 v109, v93, v112, v87
	v_dot4_i32_i8 v105, v97, v112, v86
	;; [unrolled: 1-line block ×3, first 2 shown]
	ds_read_b128 v[111:114], v25 offset:1040
	v_lshrrev_b32_e32 v2, 4, v2
	v_lshrrev_b32_e32 v3, 4, v3
	v_lshrrev_b32_e32 v50, 4, v50
	v_lshrrev_b32_e32 v51, 4, v51
	s_waitcnt lgkmcnt(0)
	v_dot4_i32_i8 v7, v96, v111, v7
	v_dot4_i32_i8 v7, v53, v112, v7
	;; [unrolled: 1-line block ×16, first 2 shown]
	ds_read_b128 v[112:115], v25 offset:2064
	v_and_b32_e32 v50, 0xf0f0f0f, v50
	s_lshr_b32 s17, s0, 2
	s_and_b32 s17, s17, 0x3ffffffc
	s_add_i32 s0, s0, 8
	s_waitcnt lgkmcnt(0)
	v_dot4_i32_i8 v6, v96, v112, v6
	v_dot4_i32_i8 v6, v53, v113, v6
	;; [unrolled: 1-line block ×16, first 2 shown]
	ds_read_b128 v[112:115], v25 offset:3088
	s_add_i32 s18, s16, 16
	v_add_u32_e32 v27, 32, v27
	s_waitcnt lgkmcnt(0)
	v_dot4_i32_i8 v1, v96, v112, v1
	v_dot4_i32_i8 v1, v53, v113, v1
	;; [unrolled: 1-line block ×16, first 2 shown]
	ds_read_b128 v[112:115], v25 offset:4112
	s_waitcnt lgkmcnt(0)
	v_dot4_i32_i8 v1, v96, v112, v80
	v_dot4_i32_i8 v1, v53, v113, v1
	;; [unrolled: 1-line block ×16, first 2 shown]
	ds_read_b128 v[112:115], v25 offset:5136
	v_and_b32_e32 v81, 0xf0f0f0f, v3
	s_waitcnt lgkmcnt(0)
	v_dot4_i32_i8 v1, v96, v112, v71
	v_dot4_i32_i8 v1, v53, v113, v1
	;; [unrolled: 1-line block ×16, first 2 shown]
	ds_read_b128 v[112:115], v25 offset:6160
	s_waitcnt lgkmcnt(0)
	v_dot4_i32_i8 v1, v54, v112, v73
	v_dot4_i32_i8 v6, v55, v112, v74
	;; [unrolled: 1-line block ×3, first 2 shown]
	ds_read_b128 v[73:76], v25 offset:7184
	v_dot4_i32_i8 v0, v96, v112, v0
	v_dot4_i32_i8 v0, v53, v113, v0
	;; [unrolled: 1-line block ×10, first 2 shown]
	s_waitcnt lgkmcnt(0)
	v_dot4_i32_i8 v4, v96, v73, v4
	v_dot4_i32_i8 v7, v93, v115, v0
	;; [unrolled: 1-line block ×18, first 2 shown]
	ds_read_b128 v[75:78], v25 offset:48
	v_dot4_i32_i8 v1, v97, v115, v1
	v_lshrrev_b32_e32 v54, 4, v116
	v_lshrrev_b32_e32 v60, 4, v118
	;; [unrolled: 1-line block ×3, first 2 shown]
	v_and_b32_e32 v79, 0xf0f0f0f, v2
	ds_read_b128 v[112:115], v25 offset:1072
	v_lshrrev_b32_e32 v4, 4, v122
	v_lshrrev_b32_e32 v55, 4, v117
	;; [unrolled: 1-line block ×4, first 2 shown]
	v_and_b32_e32 v54, 0xf0f0f0f, v54
	v_and_b32_e32 v60, 0xf0f0f0f, v60
	;; [unrolled: 1-line block ×3, first 2 shown]
	s_waitcnt lgkmcnt(1)
	v_dot4_i32_i8 v2, v79, v75, v44
	v_lshrrev_b32_e32 v53, 4, v123
	v_lshrrev_b32_e32 v56, 4, v124
	;; [unrolled: 1-line block ×3, first 2 shown]
	v_and_b32_e32 v83, 0xf0f0f0f, v4
	v_and_b32_e32 v55, 0xf0f0f0f, v55
	;; [unrolled: 1-line block ×4, first 2 shown]
	v_dot4_i32_i8 v2, v81, v76, v2
	v_dot4_i32_i8 v3, v54, v75, v58
	v_dot4_i32_i8 v4, v60, v75, v59
	v_dot4_i32_i8 v44, v92, v75, v61
	v_lshrrev_b32_e32 v57, 4, v125
	v_lshrrev_b32_e32 v72, 4, v127
	v_and_b32_e32 v53, 0xf0f0f0f, v53
	v_and_b32_e32 v56, 0xf0f0f0f, v56
	;; [unrolled: 1-line block ×3, first 2 shown]
	v_dot4_i32_i8 v2, v83, v77, v2
	v_dot4_i32_i8 v3, v55, v76, v3
	;; [unrolled: 1-line block ×4, first 2 shown]
	v_and_b32_e32 v57, 0xf0f0f0f, v57
	v_and_b32_e32 v72, 0xf0f0f0f, v72
	;; [unrolled: 1-line block ×3, first 2 shown]
	v_dot4_i32_i8 v61, v53, v78, v2
	v_dot4_i32_i8 v2, v56, v77, v3
	;; [unrolled: 1-line block ×7, first 2 shown]
	s_waitcnt lgkmcnt(0)
	v_dot4_i32_i8 v2, v79, v112, v42
	v_dot4_i32_i8 v3, v54, v112, v45
	;; [unrolled: 1-line block ×4, first 2 shown]
	ds_read_b128 v[44:47], v25 offset:2096
	v_dot4_i32_i8 v2, v81, v113, v2
	v_dot4_i32_i8 v2, v83, v114, v2
	;; [unrolled: 1-line block ×10, first 2 shown]
	s_waitcnt lgkmcnt(0)
	v_dot4_i32_i8 v2, v79, v44, v43
	v_dot4_i32_i8 v96, v72, v115, v3
	;; [unrolled: 1-line block ×15, first 2 shown]
	ds_read_b128 v[42:45], v25 offset:3120
	v_dot4_i32_i8 v52, v57, v47, v2
	v_dot4_i32_i8 v48, v72, v47, v3
	;; [unrolled: 1-line block ×3, first 2 shown]
	v_mov_b32_e32 v98, v10
	s_waitcnt lgkmcnt(0)
	v_dot4_i32_i8 v2, v79, v42, v5
	v_dot4_i32_i8 v2, v81, v43, v2
	;; [unrolled: 1-line block ×16, first 2 shown]
	ds_read_b128 v[2:5], v25 offset:4144
	buffer_load_dword v116, off, s[20:23], 0 offset:64 ; 4-byte Folded Reload
	buffer_load_dword v117, off, s[20:23], 0 offset:68 ; 4-byte Folded Reload
	v_mov_b32_e32 v97, v108
	v_mov_b32_e32 v93, v106
	s_waitcnt lgkmcnt(0)
	v_dot4_i32_i8 v20, v79, v2, v20
	v_dot4_i32_i8 v20, v81, v3, v20
	;; [unrolled: 1-line block ×16, first 2 shown]
	ds_read_b128 v[2:5], v25 offset:5168
	v_mov_b32_e32 v106, v14
	s_waitcnt lgkmcnt(0)
	v_dot4_i32_i8 v20, v79, v2, v21
	v_dot4_i32_i8 v20, v81, v3, v20
	;; [unrolled: 1-line block ×16, first 2 shown]
	ds_read_b128 v[2:5], v25 offset:6192
	s_waitcnt lgkmcnt(0)
	v_dot4_i32_i8 v20, v79, v2, v22
	v_dot4_i32_i8 v20, v81, v3, v20
	;; [unrolled: 1-line block ×16, first 2 shown]
	ds_read_b128 v[2:5], v25 offset:7216
	v_add_u32_e32 v25, 64, v25
	s_waitcnt lgkmcnt(0)
	v_dot4_i32_i8 v24, v79, v2, v24
	v_dot4_i32_i8 v28, v54, v2, v39
	;; [unrolled: 1-line block ×4, first 2 shown]
	buffer_load_dword v92, off, s[20:23], 0 offset:60 ; 4-byte Folded Reload
	buffer_load_dword v10, off, s[20:23], 0 offset:56 ; 4-byte Folded Reload
	v_dot4_i32_i8 v2, v74, v3, v2
	v_dot4_i32_i8 v2, v50, v4, v2
	;; [unrolled: 1-line block ×12, first 2 shown]
	v_mov_b32_e32 v83, v99
	v_mov_b32_e32 v99, v11
	;; [unrolled: 1-line block ×4, first 2 shown]
	s_waitcnt vmcnt(0)
	v_lshlrev_b32_e32 v2, 4, v10
	buffer_load_dword v10, off, s[20:23], 0 offset:52 ; 4-byte Folded Reload
	v_add_u32_e32 v37, s1, v2
	v_add3_u32 v50, v117, s17, v37
	ds_read_u16 v2, v50 offset:25088
	v_add3_u32 v51, v116, s17, v37
	v_add3_u32 v53, v92, s17, v37
	s_add_i32 s1, s1, 2
	s_waitcnt vmcnt(0)
	v_add3_u32 v54, v10, s17, v37
	ds_read_u16 v37, v54 offset:26624
	s_waitcnt lgkmcnt(1)
	v_lshrrev_b16_e32 v73, 8, v2
	v_and_b32_e32 v74, 0xff, v2
	v_mul_lo_u32 v2, v110, v74
	v_mul_lo_u32 v3, v61, v73
	s_waitcnt lgkmcnt(0)
	v_and_b32_e32 v81, 0xff, v37
	v_mul_lo_u32 v59, v59, v73
	v_cvt_f32_i32_e32 v35, v2
	v_cvt_f32_i32_e32 v36, v3
	ds_read2_b64 v[2:5], v26 offset1:16
	v_cvt_f32_i32_e32 v59, v59
	v_mul_lo_u32 v34, v34, v73
	v_mul_lo_u32 v6, v6, v74
	;; [unrolled: 1-line block ×3, first 2 shown]
	s_waitcnt lgkmcnt(0)
	v_fma_mix_f32 v35, v2, v35, 0 op_sel_hi:[1,0,0]
	v_fma_mix_f32 v61, v3, v36, v35 op_sel_hi:[1,0,0]
	v_mul_lo_u32 v35, v111, v74
	v_mul_lo_u32 v36, v70, v73
	v_cvt_f32_i32_e32 v34, v34
	v_mul_lo_u32 v18, v18, v74
	v_cvt_f32_i32_e32 v35, v35
	v_cvt_f32_i32_e32 v36, v36
	v_cvt_f32_i32_e32 v6, v6
	v_mul_lo_u32 v29, v29, v73
	v_fma_mix_f32 v35, v35, v4, 0 op_sel_hi:[0,1,0]
	v_fma_mix_f32 v70, v36, v5, v35 op_sel_hi:[0,1,0]
	ds_read_u16 v35, v51 offset:25600
	v_cvt_f32_i32_e32 v23, v23
	v_cvt_f32_i32_e32 v18, v18
	v_mul_lo_u32 v0, v0, v81
	v_mul_lo_u32 v8, v8, v81
	s_waitcnt lgkmcnt(0)
	v_and_b32_e32 v76, 0xff, v35
	v_lshrrev_b16_e32 v75, 8, v35
	v_mul_lo_u32 v35, v109, v76
	v_mul_lo_u32 v36, v77, v75
	;; [unrolled: 1-line block ×4, first 2 shown]
	v_cvt_f32_i32_e32 v35, v35
	v_cvt_f32_i32_e32 v36, v36
	;; [unrolled: 1-line block ×4, first 2 shown]
	v_fma_mix_f32 v35, v2, v35, 0 op_sel_hi:[1,0,0]
	v_fma_mix_f32 v35, v3, v36, v35 op_sel_hi:[1,0,0]
	ds_read_u16 v36, v53 offset:26112
	v_mul_lo_u32 v49, v49, v75
	v_mul_lo_u32 v43, v43, v75
	;; [unrolled: 1-line block ×4, first 2 shown]
	s_waitcnt lgkmcnt(0)
	v_and_b32_e32 v78, 0xff, v36
	v_lshrrev_b16_e32 v77, 8, v36
	v_mul_lo_u32 v36, v105, v78
	v_mul_lo_u32 v38, v80, v77
	v_lshrrev_b16_e32 v80, 8, v37
	v_mul_lo_u32 v37, v100, v81
	v_cvt_f32_i32_e32 v36, v36
	v_cvt_f32_i32_e32 v38, v38
	v_mul_lo_u32 v40, v96, v77
	v_cvt_f32_i32_e32 v37, v37
	v_fma_mix_f32 v36, v2, v36, 0 op_sel_hi:[1,0,0]
	v_fma_mix_f32 v36, v3, v38, v36 op_sel_hi:[1,0,0]
	v_mul_lo_u32 v38, v84, v80
	v_fma_mix_f32 v37, v2, v37, 0 op_sel_hi:[1,0,0]
	v_cvt_f32_i32_e32 v40, v40
	v_mul_lo_u32 v55, v82, v80
	v_cvt_f32_i32_e32 v38, v38
	ds_read_u16 v82, v50 offset:25096
	ds_read_u16 v100, v51 offset:25608
	;; [unrolled: 1-line block ×4, first 2 shown]
	v_mul_lo_u32 v48, v48, v77
	v_cvt_f32_i32_e32 v55, v55
	v_fma_mix_f32 v37, v3, v38, v37 op_sel_hi:[1,0,0]
	v_mul_lo_u32 v38, v107, v76
	s_waitcnt lgkmcnt(3)
	v_cvt_f32_ubyte0_e32 v50, v82
	v_cvt_f32_ubyte1_e32 v51, v82
	s_waitcnt lgkmcnt(2)
	v_cvt_f32_ubyte0_e32 v53, v100
	v_cvt_f32_i32_e32 v38, v38
	v_fma_mix_f32 v60, v2, v50, 0 op_sel:[1,0,0] op_sel_hi:[1,0,0]
	v_cvt_f32_ubyte1_e32 v54, v100
	s_waitcnt lgkmcnt(0)
	v_cvt_f32_ubyte0_e32 v57, v84
	v_fma_mix_f32 v38, v38, v4, 0 op_sel_hi:[0,1,0]
	v_fma_mix_f32 v38, v39, v5, v38 op_sel_hi:[0,1,0]
	v_mul_lo_u32 v39, v103, v78
	v_fma_mix_f32 v107, v3, v51, v60 op_sel:[1,0,0] op_sel_hi:[1,0,0]
	v_fma_mix_f32 v60, v2, v53, 0 op_sel:[1,0,0] op_sel_hi:[1,0,0]
	v_cvt_f32_ubyte1_e32 v112, v84
	v_cvt_f32_i32_e32 v39, v39
	v_fma_mix_f32 v82, v3, v54, v60 op_sel:[1,0,0] op_sel_hi:[1,0,0]
	v_cvt_f32_ubyte1_e32 v56, v96
	v_cvt_f32_i32_e32 v48, v48
	v_fma_mix_f32 v39, v39, v4, 0 op_sel_hi:[0,1,0]
	v_fma_mix_f32 v39, v40, v5, v39 op_sel_hi:[0,1,0]
	v_mul_lo_u32 v40, v101, v81
	v_mul_lo_u32 v46, v46, v80
	v_cvt_f32_i32_e32 v49, v49
	v_mul_lo_u32 v47, v47, v77
	v_cvt_f32_i32_e32 v40, v40
	v_cvt_f32_i32_e32 v46, v46
	v_mul_lo_u32 v45, v45, v80
	v_cvt_f32_i32_e32 v47, v47
	v_fma_mix_f32 v40, v40, v4, 0 op_sel_hi:[0,1,0]
	v_fma_mix_f32 v40, v55, v5, v40 op_sel_hi:[0,1,0]
	v_cvt_f32_ubyte0_e32 v55, v96
	v_fma_mix_f32 v60, v2, v55, 0 op_sel:[1,0,0] op_sel_hi:[1,0,0]
	v_fma_mix_f32 v2, v2, v57, 0 op_sel:[1,0,0] op_sel_hi:[1,0,0]
	;; [unrolled: 1-line block ×12, first 2 shown]
	v_mul_lo_u32 v2, v94, v74
	v_mul_lo_u32 v3, v58, v73
	v_cvt_f32_i32_e32 v45, v45
	buffer_load_dword v11, off, s[20:23], 0 offset:116 ; 4-byte Folded Reload
	buffer_load_dword v12, off, s[20:23], 0 offset:120 ; 4-byte Folded Reload
	;; [unrolled: 1-line block ×4, first 2 shown]
	v_cvt_f32_i32_e32 v58, v2
	v_cvt_f32_i32_e32 v60, v3
	ds_read2_b64 v[2:5], v26 offset0:32 offset1:48
	v_cvt_f32_i32_e32 v43, v43
	v_mul_lo_u32 v42, v42, v77
	v_mul_lo_u32 v31, v31, v80
	v_cvt_f32_i32_e32 v33, v33
	s_waitcnt lgkmcnt(0)
	v_fma_mix_f32 v58, v58, v2, 0 op_sel_hi:[0,1,0]
	v_fma_mix_f32 v110, v60, v3, v58 op_sel_hi:[0,1,0]
	v_mul_lo_u32 v58, v95, v74
	v_cvt_f32_i32_e32 v42, v42
	v_cvt_f32_i32_e32 v31, v31
	v_mul_lo_u32 v32, v32, v77
	v_cvt_f32_i32_e32 v58, v58
	v_mul_lo_u32 v30, v30, v80
	v_mul_lo_u32 v19, v19, v76
	v_cvt_f32_i32_e32 v32, v32
	v_fma_mix_f32 v58, v58, v4, 0 op_sel_hi:[0,1,0]
	v_fma_mix_f32 v111, v59, v5, v58 op_sel_hi:[0,1,0]
	v_mul_lo_u32 v58, v91, v76
	v_fma_mix_f32 v59, v55, v2, 0 op_sel:[0,1,0] op_sel_hi:[0,1,0]
	v_fma_mix_f32 v59, v56, v3, v59 op_sel:[0,1,0] op_sel_hi:[0,1,0]
	v_cvt_f32_i32_e32 v30, v30
	v_cvt_f32_i32_e32 v58, v58
	v_mul_lo_u32 v1, v1, v78
	v_mul_lo_u32 v9, v9, v78
	;; [unrolled: 1-line block ×3, first 2 shown]
	v_fma_mix_f32 v58, v58, v2, 0 op_sel_hi:[0,1,0]
	v_fma_mix_f32 v52, v52, v3, v58 op_sel_hi:[0,1,0]
	v_mul_lo_u32 v58, v89, v78
	v_mul_lo_u32 v28, v28, v75
	;; [unrolled: 1-line block ×4, first 2 shown]
	v_cvt_f32_i32_e32 v58, v58
	v_mul_lo_u32 v20, v20, v80
	v_mul_lo_u32 v41, v41, v80
	v_cvt_f32_i32_e32 v7, v7
	v_fma_mix_f32 v58, v58, v2, 0 op_sel_hi:[0,1,0]
	v_fma_mix_f32 v48, v48, v3, v58 op_sel_hi:[0,1,0]
	v_mul_lo_u32 v58, v86, v81
	v_cvt_f32_i32_e32 v1, v1
	v_cvt_f32_i32_e32 v0, v0
	;; [unrolled: 1-line block ×7, first 2 shown]
	v_fma_mix_f32 v58, v58, v2, 0 op_sel_hi:[0,1,0]
	v_fma_mix_f32 v46, v46, v3, v58 op_sel_hi:[0,1,0]
	v_mul_lo_u32 v58, v90, v76
	v_cvt_f32_i32_e32 v21, v21
	v_cvt_f32_i32_e32 v20, v20
	v_cvt_f32_i32_e32 v28, v28
	v_cvt_f32_i32_e32 v58, v58
	v_cvt_f32_i32_e32 v24, v24
	v_cvt_f32_i32_e32 v41, v41
	s_add_i32 s17, s16, 8
	v_fma_mix_f32 v58, v58, v4, 0 op_sel_hi:[0,1,0]
	v_fma_mix_f32 v49, v49, v5, v58 op_sel_hi:[0,1,0]
	v_mul_lo_u32 v58, v87, v78
	s_mov_b32 s16, s17
	s_cmp_lt_u32 s18, 24
	v_cvt_f32_i32_e32 v58, v58
	v_fma_mix_f32 v58, v58, v4, 0 op_sel_hi:[0,1,0]
	v_fma_mix_f32 v47, v47, v5, v58 op_sel_hi:[0,1,0]
	v_mul_lo_u32 v58, v85, v81
	v_cvt_f32_i32_e32 v58, v58
	v_fma_mix_f32 v58, v58, v4, 0 op_sel_hi:[0,1,0]
	v_fma_mix_f32 v45, v45, v5, v58 op_sel_hi:[0,1,0]
	v_fma_mix_f32 v58, v50, v2, 0 op_sel:[0,1,0] op_sel_hi:[0,1,0]
	v_fma_mix_f32 v113, v51, v3, v58 op_sel:[0,1,0] op_sel_hi:[0,1,0]
	;; [unrolled: 1-line block ×14, first 2 shown]
	v_mul_lo_u32 v2, v69, v74
	v_mul_lo_u32 v3, v44, v73
	s_waitcnt vmcnt(2)
	v_mul_f32_e32 v58, v58, v12
	s_waitcnt vmcnt(1)
	v_mul_f32_e32 v59, v59, v13
	v_cvt_f32_i32_e32 v44, v2
	v_cvt_f32_i32_e32 v60, v3
	ds_read2_b64 v[2:5], v26 offset0:64 offset1:80
	v_mul_f32_e32 v72, v86, v12
	v_mul_f32_e32 v73, v87, v13
	s_waitcnt lgkmcnt(0)
	v_fma_mix_f32 v44, v44, v2, 0 op_sel_hi:[0,1,0]
	v_fma_mix_f32 v115, v60, v3, v44 op_sel_hi:[0,1,0]
	v_mul_lo_u32 v44, v71, v74
	v_mul_f32_e32 v74, v89, v16
	v_cvt_f32_i32_e32 v44, v44
	v_fma_mix_f32 v44, v44, v4, 0 op_sel_hi:[0,1,0]
	v_fma_mix_f32 v44, v34, v5, v44 op_sel_hi:[0,1,0]
	v_mul_lo_u32 v34, v68, v76
	v_cvt_f32_i32_e32 v34, v34
	v_fma_mix_f32 v34, v34, v2, 0 op_sel_hi:[0,1,0]
	v_fma_mix_f32 v34, v43, v3, v34 op_sel_hi:[0,1,0]
	v_mul_lo_u32 v43, v65, v78
	;; [unrolled: 4-line block ×6, first 2 shown]
	v_fma_mix_f32 v62, v55, v2, 0 op_sel:[0,1,0] op_sel_hi:[0,1,0]
	v_fma_mix_f32 v62, v56, v3, v62 op_sel:[0,1,0] op_sel_hi:[0,1,0]
	v_mul_f32_e32 v62, v62, v13
	v_cvt_f32_i32_e32 v43, v43
	v_fma_mix_f32 v43, v43, v4, 0 op_sel_hi:[0,1,0]
	v_fma_mix_f32 v30, v30, v5, v43 op_sel_hi:[0,1,0]
	v_fma_mix_f32 v43, v50, v2, 0 op_sel:[0,1,0] op_sel_hi:[0,1,0]
	v_fma_mix_f32 v60, v51, v3, v43 op_sel:[0,1,0] op_sel_hi:[0,1,0]
	;; [unrolled: 1-line block ×14, first 2 shown]
	ds_read2_b64 v[2:5], v26 offset0:96 offset1:112
	v_mul_f32_e32 v64, v64, v11
	v_mul_f32_e32 v43, v43, v12
	;; [unrolled: 1-line block ×4, first 2 shown]
	s_waitcnt lgkmcnt(0)
	v_fma_mix_f32 v6, v6, v2, 0 op_sel_hi:[0,1,0]
	v_fma_mix_f32 v66, v50, v2, 0 op_sel:[0,1,0] op_sel_hi:[0,1,0]
	v_fma_mix_f32 v50, v50, v4, 0 op_sel:[0,1,0] op_sel_hi:[0,1,0]
	v_fma_mix_f32 v6, v23, v3, v6 op_sel_hi:[0,1,0]
	v_cvt_f32_i32_e32 v23, v29
	v_fma_mix_f32 v71, v51, v3, v66 op_sel:[0,1,0] op_sel_hi:[0,1,0]
	v_fma_mix_f32 v69, v51, v5, v50 op_sel:[0,1,0] op_sel_hi:[0,1,0]
	;; [unrolled: 1-line block ×12, first 2 shown]
	v_fma_mix_f32 v18, v18, v4, 0 op_sel_hi:[0,1,0]
	v_fma_mix_f32 v105, v112, v3, v50 op_sel:[0,1,0] op_sel_hi:[0,1,0]
	v_fma_mix_f32 v50, v112, v5, v51 op_sel:[0,1,0] op_sel_hi:[0,1,0]
	v_fma_mix_f32 v18, v23, v5, v18 op_sel_hi:[0,1,0]
	v_mul_f32_e32 v23, v107, v11
	v_mul_f32_e32 v29, v109, v11
	;; [unrolled: 1-line block ×7, first 2 shown]
	buffer_load_dword v11, off, s[20:23], 0 offset:124 ; 4-byte Folded Reload
	v_mul_f32_e32 v55, v82, v12
	v_mul_f32_e32 v56, v84, v13
	;; [unrolled: 1-line block ×3, first 2 shown]
	v_fma_mix_f32 v7, v7, v2, 0 op_sel_hi:[0,1,0]
	v_fma_mix_f32 v1, v1, v2, 0 op_sel_hi:[0,1,0]
	;; [unrolled: 1-line block ×6, first 2 shown]
	s_waitcnt vmcnt(1)
	v_fma_f32 v23, v61, v10, -v23
	v_fma_f32 v29, v70, v10, -v29
	;; [unrolled: 1-line block ×7, first 2 shown]
	v_fma_mix_f32 v7, v22, v3, v7 op_sel_hi:[0,1,0]
	v_fma_mix_f32 v1, v21, v3, v1 op_sel_hi:[0,1,0]
	;; [unrolled: 1-line block ×3, first 2 shown]
	v_fma_f32 v3, v18, v10, -v69
	v_fma_mix_f32 v2, v28, v5, v2 op_sel_hi:[0,1,0]
	v_fma_mix_f32 v9, v24, v5, v9 op_sel_hi:[0,1,0]
	v_fma_mix_f32 v4, v41, v5, v4 op_sel_hi:[0,1,0]
	v_fma_f32 v18, v36, v15, -v56
	buffer_load_dword v56, off, s[20:23], 0 offset:80 ; 4-byte Folded Reload
	v_fma_f32 v19, v37, v17, -v57
	v_mul_f32_e32 v60, v100, v12
	v_mul_f32_e32 v66, v103, v16
	v_fma_f32 v22, v40, v17, -v66
	v_mul_f32_e32 v70, v85, v16
	v_fma_f32 v28, v46, v17, -v70
	;; [unrolled: 2-line block ×3, first 2 shown]
	v_add_f32_e32 v99, v99, v23
	v_fma_f32 v24, v48, v15, -v59
	v_mul_f32_e32 v79, v94, v13
	v_add_f32_e32 v106, v106, v54
	v_mul_f32_e32 v67, v67, v13
	v_mul_f32_e32 v68, v68, v16
	;; [unrolled: 1-line block ×7, first 2 shown]
	v_fma_f32 v36, v45, v17, -v74
	v_fma_f32 v37, v42, v15, -v62
	;; [unrolled: 1-line block ×3, first 2 shown]
	v_add_f32_e32 v97, v97, v8
	v_fma_f32 v32, v32, v15, -v67
	v_fma_f32 v30, v30, v17, -v68
	v_add_f32_e32 v83, v83, v6
	v_fma_f32 v1, v1, v15, -v76
	v_fma_f32 v0, v0, v17, -v77
	;; [unrolled: 1-line block ×3, first 2 shown]
	v_add_u32_e32 v26, 8, v26
	v_add_f32_e32 v102, v102, v37
	v_add_f32_e32 v98, v98, v31
	;; [unrolled: 1-line block ×3, first 2 shown]
	s_waitcnt vmcnt(1)
	v_fma_f32 v5, v35, v11, -v55
	buffer_load_dword v55, off, s[20:23], 0 offset:76 ; 4-byte Folded Reload
	buffer_load_dword v57, off, s[20:23], 0 offset:84 ; 4-byte Folded Reload
	;; [unrolled: 1-line block ×3, first 2 shown]
	v_fma_f32 v20, v38, v11, -v60
	buffer_load_dword v60, off, s[20:23], 0 offset:88 ; 4-byte Folded Reload
	v_fma_f32 v23, v52, v11, -v58
	v_fma_f32 v35, v47, v15, -v73
	;; [unrolled: 1-line block ×6, first 2 shown]
	v_add_f32_e32 v104, v104, v34
	v_add_f32_e32 v93, v93, v8
	s_waitcnt vmcnt(4)
	v_add_f32_e32 v56, v56, v2
	s_waitcnt vmcnt(2)
	;; [unrolled: 2-line block ×3, first 2 shown]
	v_add_f32_e32 v10, v10, v29
	buffer_store_dword v10, off, s[20:23], 0 offset:44 ; 4-byte Folded Spill
	buffer_load_dword v40, off, s[20:23], 0 offset:108 ; 4-byte Folded Reload
	buffer_load_dword v66, off, s[20:23], 0 offset:92 ; 4-byte Folded Reload
	s_nop 0
	buffer_load_dword v10, off, s[20:23], 0 offset:28 ; 4-byte Folded Reload
	buffer_load_dword v108, off, s[20:23], 0 offset:104 ; 4-byte Folded Reload
	v_fma_f32 v3, v9, v15, -v79
	v_fma_f32 v29, v49, v11, -v72
	s_waitcnt vmcnt(5)
	v_add_f32_e32 v60, v60, v0
	v_add_f32_e32 v55, v55, v3
	s_waitcnt vmcnt(3)
	v_add_f32_e32 v40, v40, v5
	s_waitcnt vmcnt(2)
	;; [unrolled: 2-line block ×3, first 2 shown]
	v_add_f32_e32 v10, v10, v51
	buffer_store_dword v10, off, s[20:23], 0 offset:28 ; 4-byte Folded Spill
	buffer_load_dword v46, off, s[20:23], 0 offset:48 ; 4-byte Folded Reload
	s_nop 0
	buffer_load_dword v10, off, s[20:23], 0 offset:12 ; 4-byte Folded Reload
	buffer_load_dword v5, off, s[20:23], 0 offset:40 ; 4-byte Folded Reload
	;; [unrolled: 1-line block ×5, first 2 shown]
	s_waitcnt vmcnt(7)
	v_add_f32_e32 v108, v108, v19
	s_waitcnt vmcnt(5)
	v_add_f32_e32 v46, v46, v18
	;; [unrolled: 2-line block ×4, first 2 shown]
	buffer_store_dword v5, off, s[20:23], 0 offset:40 ; 4-byte Folded Spill
	buffer_load_dword v5, off, s[20:23], 0 offset:36 ; 4-byte Folded Reload
	s_waitcnt vmcnt(0)
	v_add_f32_e32 v5, v5, v21
	buffer_store_dword v5, off, s[20:23], 0 offset:36 ; 4-byte Folded Spill
	buffer_load_dword v5, off, s[20:23], 0 offset:32 ; 4-byte Folded Reload
	s_waitcnt vmcnt(0)
	v_add_f32_e32 v5, v5, v22
	;; [unrolled: 4-line block ×5, first 2 shown]
	buffer_store_dword v5, off, s[20:23], 0 offset:16 ; 4-byte Folded Spill
	buffer_load_dword v5, off, s[20:23], 0 offset:8 ; 4-byte Folded Reload
	v_add_f32_e32 v79, v79, v30
	buffer_store_dword v10, off, s[20:23], 0 offset:12 ; 4-byte Folded Spill
	s_waitcnt vmcnt(1)
	v_add_f32_e32 v5, v5, v29
	buffer_store_dword v5, off, s[20:23], 0 offset:8 ; 4-byte Folded Spill
	buffer_load_dword v5, off, s[20:23], 0 offset:4 ; 4-byte Folded Reload
	v_add_f32_e32 v72, v72, v6
	s_waitcnt vmcnt(0)
	v_add_f32_e32 v5, v5, v35
	buffer_store_dword v5, off, s[20:23], 0 offset:4 ; 4-byte Folded Spill
	buffer_load_dword v5, off, s[20:23], 0  ; 4-byte Folded Reload
	v_add_f32_e32 v54, v54, v4
	s_waitcnt vmcnt(0)
	v_add_f32_e32 v5, v5, v36
	buffer_store_dword v5, off, s[20:23], 0 ; 4-byte Folded Spill
	s_cbranch_scc1 .LBB172_8
; %bb.9:                                ;   in Loop: Header=BB172_5 Depth=1
	buffer_load_dword v21, off, s[20:23], 0 offset:44 ; 4-byte Folded Reload
	buffer_load_dword v20, off, s[20:23], 0 offset:40 ; 4-byte Folded Reload
	;; [unrolled: 1-line block ×11, first 2 shown]
	buffer_load_dword v10, off, s[20:23], 0 ; 4-byte Folded Reload
	s_add_i32 s9, s9, 1
	s_cmp_eq_u32 s9, s4
	s_waitcnt vmcnt(0)
	s_barrier
	s_cbranch_scc0 .LBB172_5
; %bb.10:
	buffer_load_dword v0, off, s[20:23], 0 offset:560 ; 4-byte Folded Reload
	buffer_load_dword v1, off, s[20:23], 0 offset:556 ; 4-byte Folded Reload
.LBB172_11:
	s_waitcnt vmcnt(1)
	v_cmp_gt_u32_e32 vcc, s10, v0
	s_and_saveexec_b64 s[0:1], vcc
	s_cbranch_execz .LBB172_62
; %bb.12:
	v_mul_lo_u32 v4, v0, s14
	buffer_load_dword v0, off, s[20:23], 0 offset:56 ; 4-byte Folded Reload
	s_waitcnt vmcnt(0)
	v_add_u32_e32 v0, s6, v0
	v_cmp_gt_u32_e64 s[0:1], s14, v0
	s_and_saveexec_b64 s[2:3], s[0:1]
	s_cbranch_execz .LBB172_14
; %bb.13:
	v_add_u32_e32 v5, v0, v4
	v_mov_b32_e32 v6, 0
	v_bfe_u32 v2, v99, 16, 1
	s_movk_i32 s4, 0x7fff
	v_lshlrev_b64 v[6:7], 1, v[5:6]
	v_add3_u32 v3, v99, v2, s4
	v_cmp_o_f32_e32 vcc, v99, v99
	v_mov_b32_e32 v2, 0x7fc0
	v_cndmask_b32_sdwa v3, v2, v3, vcc dst_sel:DWORD dst_unused:UNUSED_PAD src0_sel:DWORD src1_sel:WORD_1
	s_waitcnt lgkmcnt(0)
	v_mov_b32_e32 v5, s13
	v_add_co_u32_e32 v6, vcc, s12, v6
	v_addc_co_u32_e32 v7, vcc, v5, v7, vcc
	global_store_short v[6:7], v3, off
.LBB172_14:
	s_or_b64 exec, exec, s[2:3]
	v_add_u32_e32 v9, 32, v0
	v_cmp_gt_u32_e64 s[2:3], s14, v9
	s_and_saveexec_b64 s[4:5], s[2:3]
	s_cbranch_execz .LBB172_16
; %bb.15:
	v_bfe_u32 v2, v40, 16, 1
	s_movk_i32 s6, 0x7fff
	v_add3_u32 v2, v40, v2, s6
	v_cmp_o_f32_e32 vcc, v40, v40
	v_mov_b32_e32 v3, 0x7fc0
	v_cndmask_b32_sdwa v5, v3, v2, vcc dst_sel:DWORD dst_unused:UNUSED_PAD src0_sel:DWORD src1_sel:WORD_1
	v_add_u32_e32 v2, v9, v4
	v_mov_b32_e32 v3, 0
	v_lshlrev_b64 v[2:3], 1, v[2:3]
	s_waitcnt lgkmcnt(0)
	v_mov_b32_e32 v6, s13
	v_add_co_u32_e32 v2, vcc, s12, v2
	v_addc_co_u32_e32 v3, vcc, v6, v3, vcc
	global_store_short v[2:3], v5, off
.LBB172_16:
	s_or_b64 exec, exec, s[4:5]
	v_add_u32_e32 v2, 64, v0
	v_cmp_gt_u32_e64 s[4:5], s14, v2
	s_and_saveexec_b64 s[6:7], s[4:5]
	s_cbranch_execz .LBB172_18
; %bb.17:
	v_bfe_u32 v3, v46, 16, 1
	s_movk_i32 s8, 0x7fff
	v_add3_u32 v3, v46, v3, s8
	v_cmp_o_f32_e32 vcc, v46, v46
	v_mov_b32_e32 v5, 0x7fc0
	v_cndmask_b32_sdwa v3, v5, v3, vcc dst_sel:DWORD dst_unused:UNUSED_PAD src0_sel:DWORD src1_sel:WORD_1
	v_add_u32_e32 v5, v2, v4
	v_mov_b32_e32 v6, 0
	v_lshlrev_b64 v[5:6], 1, v[5:6]
	s_waitcnt lgkmcnt(0)
	v_mov_b32_e32 v7, s13
	v_add_co_u32_e32 v5, vcc, s12, v5
	v_addc_co_u32_e32 v6, vcc, v7, v6, vcc
	global_store_short v[5:6], v3, off
.LBB172_18:
	;; [unrolled: 21-line block ×3, first 2 shown]
	s_or_b64 exec, exec, s[8:9]
	v_add3_u32 v4, v1, s15, 8
	v_cmp_gt_u32_e32 vcc, s10, v4
	s_and_b64 exec, exec, vcc
	s_cbranch_execz .LBB172_62
; %bb.21:
	v_mul_lo_u32 v4, v4, s14
	s_and_saveexec_b64 s[8:9], s[0:1]
	s_cbranch_execnz .LBB172_63
; %bb.22:
	s_or_b64 exec, exec, s[8:9]
	s_and_saveexec_b64 s[8:9], s[2:3]
	s_cbranch_execnz .LBB172_64
.LBB172_23:
	s_or_b64 exec, exec, s[8:9]
	s_and_saveexec_b64 s[8:9], s[4:5]
	s_cbranch_execnz .LBB172_65
.LBB172_24:
	s_or_b64 exec, exec, s[8:9]
	s_and_saveexec_b64 s[8:9], s[6:7]
	s_cbranch_execz .LBB172_26
.LBB172_25:
	v_bfe_u32 v5, v18, 16, 1
	s_movk_i32 s11, 0x7fff
	v_add3_u32 v5, v18, v5, s11
	v_cmp_o_f32_e32 vcc, v18, v18
	v_mov_b32_e32 v6, 0x7fc0
	v_cndmask_b32_sdwa v6, v6, v5, vcc dst_sel:DWORD dst_unused:UNUSED_PAD src0_sel:DWORD src1_sel:WORD_1
	v_add_u32_e32 v4, v4, v3
	v_mov_b32_e32 v5, 0
	v_lshlrev_b64 v[4:5], 1, v[4:5]
	s_waitcnt lgkmcnt(0)
	v_mov_b32_e32 v7, s13
	v_add_co_u32_e32 v4, vcc, s12, v4
	v_addc_co_u32_e32 v5, vcc, v7, v5, vcc
	global_store_short v[4:5], v6, off
.LBB172_26:
	s_or_b64 exec, exec, s[8:9]
	v_add3_u32 v4, v1, s15, 16
	v_cmp_gt_u32_e32 vcc, s10, v4
	s_and_b64 exec, exec, vcc
	s_cbranch_execz .LBB172_62
; %bb.27:
	v_mul_lo_u32 v4, v4, s14
	s_and_saveexec_b64 s[8:9], s[0:1]
	s_cbranch_execnz .LBB172_66
; %bb.28:
	s_or_b64 exec, exec, s[8:9]
	s_and_saveexec_b64 s[8:9], s[2:3]
	s_cbranch_execnz .LBB172_67
.LBB172_29:
	s_or_b64 exec, exec, s[8:9]
	s_and_saveexec_b64 s[8:9], s[4:5]
	s_cbranch_execnz .LBB172_68
.LBB172_30:
	s_or_b64 exec, exec, s[8:9]
	s_and_saveexec_b64 s[8:9], s[6:7]
	s_cbranch_execz .LBB172_32
.LBB172_31:
	v_bfe_u32 v5, v14, 16, 1
	s_movk_i32 s11, 0x7fff
	v_add3_u32 v5, v14, v5, s11
	v_cmp_o_f32_e32 vcc, v14, v14
	v_mov_b32_e32 v6, 0x7fc0
	v_cndmask_b32_sdwa v6, v6, v5, vcc dst_sel:DWORD dst_unused:UNUSED_PAD src0_sel:DWORD src1_sel:WORD_1
	v_add_u32_e32 v4, v4, v3
	v_mov_b32_e32 v5, 0
	v_lshlrev_b64 v[4:5], 1, v[4:5]
	s_waitcnt lgkmcnt(0)
	v_mov_b32_e32 v7, s13
	v_add_co_u32_e32 v4, vcc, s12, v4
	v_addc_co_u32_e32 v5, vcc, v7, v5, vcc
	global_store_short v[4:5], v6, off
.LBB172_32:
	s_or_b64 exec, exec, s[8:9]
	v_add3_u32 v4, v1, s15, 24
	v_cmp_gt_u32_e32 vcc, s10, v4
	s_and_b64 exec, exec, vcc
	s_cbranch_execz .LBB172_62
; %bb.33:
	v_mul_lo_u32 v4, v4, s14
	s_and_saveexec_b64 s[8:9], s[0:1]
	s_cbranch_execnz .LBB172_69
; %bb.34:
	s_or_b64 exec, exec, s[8:9]
	s_and_saveexec_b64 s[8:9], s[2:3]
	s_cbranch_execnz .LBB172_70
.LBB172_35:
	s_or_b64 exec, exec, s[8:9]
	s_and_saveexec_b64 s[8:9], s[4:5]
	s_cbranch_execnz .LBB172_71
.LBB172_36:
	s_or_b64 exec, exec, s[8:9]
	s_and_saveexec_b64 s[8:9], s[6:7]
	s_cbranch_execz .LBB172_38
.LBB172_37:
	v_bfe_u32 v5, v10, 16, 1
	s_movk_i32 s11, 0x7fff
	v_add3_u32 v5, v10, v5, s11
	v_cmp_o_f32_e32 vcc, v10, v10
	v_mov_b32_e32 v6, 0x7fc0
	v_cndmask_b32_sdwa v6, v6, v5, vcc dst_sel:DWORD dst_unused:UNUSED_PAD src0_sel:DWORD src1_sel:WORD_1
	v_add_u32_e32 v4, v4, v3
	v_mov_b32_e32 v5, 0
	v_lshlrev_b64 v[4:5], 1, v[4:5]
	s_waitcnt lgkmcnt(0)
	v_mov_b32_e32 v7, s13
	v_add_co_u32_e32 v4, vcc, s12, v4
	v_addc_co_u32_e32 v5, vcc, v7, v5, vcc
	global_store_short v[4:5], v6, off
.LBB172_38:
	s_or_b64 exec, exec, s[8:9]
	v_add3_u32 v4, v1, s15, 32
	v_cmp_gt_u32_e32 vcc, s10, v4
	s_and_b64 exec, exec, vcc
	s_cbranch_execz .LBB172_62
; %bb.39:
	v_mul_lo_u32 v4, v4, s14
	s_and_saveexec_b64 s[8:9], s[0:1]
	s_cbranch_execnz .LBB172_72
; %bb.40:
	s_or_b64 exec, exec, s[8:9]
	s_and_saveexec_b64 s[8:9], s[2:3]
	s_cbranch_execnz .LBB172_73
.LBB172_41:
	s_or_b64 exec, exec, s[8:9]
	s_and_saveexec_b64 s[8:9], s[4:5]
	s_cbranch_execnz .LBB172_74
.LBB172_42:
	s_or_b64 exec, exec, s[8:9]
	s_and_saveexec_b64 s[8:9], s[6:7]
	s_cbranch_execz .LBB172_44
.LBB172_43:
	v_bfe_u32 v5, v98, 16, 1
	s_movk_i32 s11, 0x7fff
	v_add3_u32 v5, v98, v5, s11
	v_cmp_o_f32_e32 vcc, v98, v98
	v_mov_b32_e32 v6, 0x7fc0
	v_cndmask_b32_sdwa v6, v6, v5, vcc dst_sel:DWORD dst_unused:UNUSED_PAD src0_sel:DWORD src1_sel:WORD_1
	v_add_u32_e32 v4, v4, v3
	v_mov_b32_e32 v5, 0
	v_lshlrev_b64 v[4:5], 1, v[4:5]
	s_waitcnt lgkmcnt(0)
	v_mov_b32_e32 v7, s13
	v_add_co_u32_e32 v4, vcc, s12, v4
	v_addc_co_u32_e32 v5, vcc, v7, v5, vcc
	global_store_short v[4:5], v6, off
.LBB172_44:
	s_or_b64 exec, exec, s[8:9]
	v_add3_u32 v4, v1, s15, 40
	v_cmp_gt_u32_e32 vcc, s10, v4
	s_and_b64 exec, exec, vcc
	s_cbranch_execz .LBB172_62
; %bb.45:
	v_mul_lo_u32 v4, v4, s14
	s_and_saveexec_b64 s[8:9], s[0:1]
	s_cbranch_execnz .LBB172_75
; %bb.46:
	s_or_b64 exec, exec, s[8:9]
	s_and_saveexec_b64 s[8:9], s[2:3]
	s_cbranch_execnz .LBB172_76
.LBB172_47:
	s_or_b64 exec, exec, s[8:9]
	s_and_saveexec_b64 s[8:9], s[4:5]
	s_cbranch_execnz .LBB172_77
.LBB172_48:
	s_or_b64 exec, exec, s[8:9]
	s_and_saveexec_b64 s[8:9], s[6:7]
	s_cbranch_execz .LBB172_50
.LBB172_49:
	v_bfe_u32 v5, v79, 16, 1
	s_movk_i32 s11, 0x7fff
	v_add3_u32 v5, v79, v5, s11
	v_cmp_o_f32_e32 vcc, v79, v79
	v_mov_b32_e32 v6, 0x7fc0
	v_cndmask_b32_sdwa v6, v6, v5, vcc dst_sel:DWORD dst_unused:UNUSED_PAD src0_sel:DWORD src1_sel:WORD_1
	v_add_u32_e32 v4, v4, v3
	v_mov_b32_e32 v5, 0
	v_lshlrev_b64 v[4:5], 1, v[4:5]
	s_waitcnt lgkmcnt(0)
	v_mov_b32_e32 v7, s13
	v_add_co_u32_e32 v4, vcc, s12, v4
	v_addc_co_u32_e32 v5, vcc, v7, v5, vcc
	global_store_short v[4:5], v6, off
.LBB172_50:
	s_or_b64 exec, exec, s[8:9]
	v_add3_u32 v4, v1, s15, 48
	v_cmp_gt_u32_e32 vcc, s10, v4
	s_and_b64 exec, exec, vcc
	s_cbranch_execz .LBB172_62
; %bb.51:
	v_mul_lo_u32 v4, v4, s14
	s_and_saveexec_b64 s[8:9], s[0:1]
	s_cbranch_execnz .LBB172_78
; %bb.52:
	s_or_b64 exec, exec, s[8:9]
	s_and_saveexec_b64 s[8:9], s[2:3]
	s_cbranch_execnz .LBB172_79
.LBB172_53:
	s_or_b64 exec, exec, s[8:9]
	s_and_saveexec_b64 s[8:9], s[4:5]
	s_cbranch_execnz .LBB172_80
.LBB172_54:
	s_or_b64 exec, exec, s[8:9]
	s_and_saveexec_b64 s[8:9], s[6:7]
	s_cbranch_execz .LBB172_56
.LBB172_55:
	v_bfe_u32 v5, v60, 16, 1
	s_movk_i32 s11, 0x7fff
	v_add3_u32 v5, v60, v5, s11
	v_cmp_o_f32_e32 vcc, v60, v60
	v_mov_b32_e32 v6, 0x7fc0
	v_cndmask_b32_sdwa v6, v6, v5, vcc dst_sel:DWORD dst_unused:UNUSED_PAD src0_sel:DWORD src1_sel:WORD_1
	v_add_u32_e32 v4, v4, v3
	v_mov_b32_e32 v5, 0
	v_lshlrev_b64 v[4:5], 1, v[4:5]
	s_waitcnt lgkmcnt(0)
	v_mov_b32_e32 v7, s13
	v_add_co_u32_e32 v4, vcc, s12, v4
	v_addc_co_u32_e32 v5, vcc, v7, v5, vcc
	global_store_short v[4:5], v6, off
.LBB172_56:
	s_or_b64 exec, exec, s[8:9]
	v_add3_u32 v4, v1, s15, 56
	v_cmp_gt_u32_e32 vcc, s10, v4
	s_and_b64 exec, exec, vcc
	s_cbranch_execz .LBB172_62
; %bb.57:
	v_mul_lo_u32 v4, v4, s14
	s_and_saveexec_b64 s[8:9], s[0:1]
	s_cbranch_execnz .LBB172_81
; %bb.58:
	s_or_b64 exec, exec, s[8:9]
	s_and_saveexec_b64 s[0:1], s[2:3]
	s_cbranch_execnz .LBB172_82
.LBB172_59:
	s_or_b64 exec, exec, s[0:1]
	s_and_saveexec_b64 s[0:1], s[4:5]
	s_cbranch_execnz .LBB172_83
.LBB172_60:
	s_or_b64 exec, exec, s[0:1]
	s_and_b64 exec, exec, s[6:7]
	s_cbranch_execz .LBB172_62
.LBB172_61:
	v_bfe_u32 v0, v54, 16, 1
	s_movk_i32 s0, 0x7fff
	v_add3_u32 v0, v54, v0, s0
	v_cmp_o_f32_e32 vcc, v54, v54
	v_mov_b32_e32 v1, 0x7fc0
	v_cndmask_b32_sdwa v2, v1, v0, vcc dst_sel:DWORD dst_unused:UNUSED_PAD src0_sel:DWORD src1_sel:WORD_1
	v_add_u32_e32 v0, v4, v3
	v_mov_b32_e32 v1, 0
	v_lshlrev_b64 v[0:1], 1, v[0:1]
	s_waitcnt lgkmcnt(0)
	v_mov_b32_e32 v3, s13
	v_add_co_u32_e32 v0, vcc, s12, v0
	v_addc_co_u32_e32 v1, vcc, v3, v1, vcc
	global_store_short v[0:1], v2, off
.LBB172_62:
	s_endpgm
.LBB172_63:
	v_bfe_u32 v5, v21, 16, 1
	s_movk_i32 s11, 0x7fff
	v_add3_u32 v5, v21, v5, s11
	v_cmp_o_f32_e32 vcc, v21, v21
	v_mov_b32_e32 v6, 0x7fc0
	v_cndmask_b32_sdwa v7, v6, v5, vcc dst_sel:DWORD dst_unused:UNUSED_PAD src0_sel:DWORD src1_sel:WORD_1
	v_add_u32_e32 v5, v4, v0
	v_mov_b32_e32 v6, 0
	v_lshlrev_b64 v[5:6], 1, v[5:6]
	s_waitcnt lgkmcnt(0)
	v_mov_b32_e32 v8, s13
	v_add_co_u32_e32 v5, vcc, s12, v5
	v_addc_co_u32_e32 v6, vcc, v8, v6, vcc
	global_store_short v[5:6], v7, off
	s_or_b64 exec, exec, s[8:9]
	s_and_saveexec_b64 s[8:9], s[2:3]
	s_cbranch_execz .LBB172_23
.LBB172_64:
	v_bfe_u32 v5, v20, 16, 1
	s_movk_i32 s11, 0x7fff
	v_add3_u32 v5, v20, v5, s11
	v_cmp_o_f32_e32 vcc, v20, v20
	v_mov_b32_e32 v6, 0x7fc0
	v_cndmask_b32_sdwa v7, v6, v5, vcc dst_sel:DWORD dst_unused:UNUSED_PAD src0_sel:DWORD src1_sel:WORD_1
	v_add_u32_e32 v5, v4, v9
	v_mov_b32_e32 v6, 0
	v_lshlrev_b64 v[5:6], 1, v[5:6]
	s_waitcnt lgkmcnt(0)
	v_mov_b32_e32 v8, s13
	v_add_co_u32_e32 v5, vcc, s12, v5
	v_addc_co_u32_e32 v6, vcc, v8, v6, vcc
	global_store_short v[5:6], v7, off
	s_or_b64 exec, exec, s[8:9]
	s_and_saveexec_b64 s[8:9], s[4:5]
	s_cbranch_execz .LBB172_24
.LBB172_65:
	v_bfe_u32 v5, v19, 16, 1
	s_movk_i32 s11, 0x7fff
	v_add3_u32 v5, v19, v5, s11
	v_cmp_o_f32_e32 vcc, v19, v19
	v_mov_b32_e32 v6, 0x7fc0
	v_cndmask_b32_sdwa v7, v6, v5, vcc dst_sel:DWORD dst_unused:UNUSED_PAD src0_sel:DWORD src1_sel:WORD_1
	v_add_u32_e32 v5, v4, v2
	v_mov_b32_e32 v6, 0
	v_lshlrev_b64 v[5:6], 1, v[5:6]
	s_waitcnt lgkmcnt(0)
	v_mov_b32_e32 v8, s13
	v_add_co_u32_e32 v5, vcc, s12, v5
	v_addc_co_u32_e32 v6, vcc, v8, v6, vcc
	global_store_short v[5:6], v7, off
	s_or_b64 exec, exec, s[8:9]
	s_and_saveexec_b64 s[8:9], s[6:7]
	s_cbranch_execnz .LBB172_25
	s_branch .LBB172_26
.LBB172_66:
	v_bfe_u32 v5, v17, 16, 1
	s_movk_i32 s11, 0x7fff
	v_add3_u32 v5, v17, v5, s11
	v_cmp_o_f32_e32 vcc, v17, v17
	v_mov_b32_e32 v6, 0x7fc0
	v_cndmask_b32_sdwa v7, v6, v5, vcc dst_sel:DWORD dst_unused:UNUSED_PAD src0_sel:DWORD src1_sel:WORD_1
	v_add_u32_e32 v5, v4, v0
	v_mov_b32_e32 v6, 0
	v_lshlrev_b64 v[5:6], 1, v[5:6]
	s_waitcnt lgkmcnt(0)
	v_mov_b32_e32 v8, s13
	v_add_co_u32_e32 v5, vcc, s12, v5
	v_addc_co_u32_e32 v6, vcc, v8, v6, vcc
	global_store_short v[5:6], v7, off
	s_or_b64 exec, exec, s[8:9]
	s_and_saveexec_b64 s[8:9], s[2:3]
	s_cbranch_execz .LBB172_29
.LBB172_67:
	v_bfe_u32 v5, v16, 16, 1
	s_movk_i32 s11, 0x7fff
	v_add3_u32 v5, v16, v5, s11
	v_cmp_o_f32_e32 vcc, v16, v16
	v_mov_b32_e32 v6, 0x7fc0
	v_cndmask_b32_sdwa v7, v6, v5, vcc dst_sel:DWORD dst_unused:UNUSED_PAD src0_sel:DWORD src1_sel:WORD_1
	v_add_u32_e32 v5, v4, v9
	v_mov_b32_e32 v6, 0
	v_lshlrev_b64 v[5:6], 1, v[5:6]
	s_waitcnt lgkmcnt(0)
	v_mov_b32_e32 v8, s13
	v_add_co_u32_e32 v5, vcc, s12, v5
	v_addc_co_u32_e32 v6, vcc, v8, v6, vcc
	global_store_short v[5:6], v7, off
	s_or_b64 exec, exec, s[8:9]
	s_and_saveexec_b64 s[8:9], s[4:5]
	s_cbranch_execz .LBB172_30
.LBB172_68:
	v_bfe_u32 v5, v15, 16, 1
	s_movk_i32 s11, 0x7fff
	v_add3_u32 v5, v15, v5, s11
	v_cmp_o_f32_e32 vcc, v15, v15
	v_mov_b32_e32 v6, 0x7fc0
	v_cndmask_b32_sdwa v7, v6, v5, vcc dst_sel:DWORD dst_unused:UNUSED_PAD src0_sel:DWORD src1_sel:WORD_1
	v_add_u32_e32 v5, v4, v2
	v_mov_b32_e32 v6, 0
	v_lshlrev_b64 v[5:6], 1, v[5:6]
	s_waitcnt lgkmcnt(0)
	v_mov_b32_e32 v8, s13
	v_add_co_u32_e32 v5, vcc, s12, v5
	v_addc_co_u32_e32 v6, vcc, v8, v6, vcc
	global_store_short v[5:6], v7, off
	s_or_b64 exec, exec, s[8:9]
	s_and_saveexec_b64 s[8:9], s[6:7]
	s_cbranch_execnz .LBB172_31
	s_branch .LBB172_32
.LBB172_69:
	v_bfe_u32 v5, v13, 16, 1
	s_movk_i32 s11, 0x7fff
	v_add3_u32 v5, v13, v5, s11
	v_cmp_o_f32_e32 vcc, v13, v13
	v_mov_b32_e32 v6, 0x7fc0
	v_cndmask_b32_sdwa v7, v6, v5, vcc dst_sel:DWORD dst_unused:UNUSED_PAD src0_sel:DWORD src1_sel:WORD_1
	v_add_u32_e32 v5, v4, v0
	v_mov_b32_e32 v6, 0
	v_lshlrev_b64 v[5:6], 1, v[5:6]
	s_waitcnt lgkmcnt(0)
	v_mov_b32_e32 v8, s13
	v_add_co_u32_e32 v5, vcc, s12, v5
	v_addc_co_u32_e32 v6, vcc, v8, v6, vcc
	global_store_short v[5:6], v7, off
	s_or_b64 exec, exec, s[8:9]
	s_and_saveexec_b64 s[8:9], s[2:3]
	s_cbranch_execz .LBB172_35
.LBB172_70:
	v_bfe_u32 v5, v12, 16, 1
	s_movk_i32 s11, 0x7fff
	v_add3_u32 v5, v12, v5, s11
	v_cmp_o_f32_e32 vcc, v12, v12
	v_mov_b32_e32 v6, 0x7fc0
	v_cndmask_b32_sdwa v7, v6, v5, vcc dst_sel:DWORD dst_unused:UNUSED_PAD src0_sel:DWORD src1_sel:WORD_1
	v_add_u32_e32 v5, v4, v9
	v_mov_b32_e32 v6, 0
	v_lshlrev_b64 v[5:6], 1, v[5:6]
	s_waitcnt lgkmcnt(0)
	v_mov_b32_e32 v8, s13
	v_add_co_u32_e32 v5, vcc, s12, v5
	v_addc_co_u32_e32 v6, vcc, v8, v6, vcc
	global_store_short v[5:6], v7, off
	s_or_b64 exec, exec, s[8:9]
	s_and_saveexec_b64 s[8:9], s[4:5]
	s_cbranch_execz .LBB172_36
.LBB172_71:
	v_bfe_u32 v5, v11, 16, 1
	s_movk_i32 s11, 0x7fff
	v_add3_u32 v5, v11, v5, s11
	v_cmp_o_f32_e32 vcc, v11, v11
	v_mov_b32_e32 v6, 0x7fc0
	v_cndmask_b32_sdwa v7, v6, v5, vcc dst_sel:DWORD dst_unused:UNUSED_PAD src0_sel:DWORD src1_sel:WORD_1
	v_add_u32_e32 v5, v4, v2
	v_mov_b32_e32 v6, 0
	v_lshlrev_b64 v[5:6], 1, v[5:6]
	s_waitcnt lgkmcnt(0)
	v_mov_b32_e32 v8, s13
	v_add_co_u32_e32 v5, vcc, s12, v5
	v_addc_co_u32_e32 v6, vcc, v8, v6, vcc
	global_store_short v[5:6], v7, off
	s_or_b64 exec, exec, s[8:9]
	s_and_saveexec_b64 s[8:9], s[6:7]
	s_cbranch_execnz .LBB172_37
	s_branch .LBB172_38
.LBB172_72:
	v_bfe_u32 v5, v106, 16, 1
	s_movk_i32 s11, 0x7fff
	v_add3_u32 v5, v106, v5, s11
	v_cmp_o_f32_e32 vcc, v106, v106
	v_mov_b32_e32 v6, 0x7fc0
	v_cndmask_b32_sdwa v7, v6, v5, vcc dst_sel:DWORD dst_unused:UNUSED_PAD src0_sel:DWORD src1_sel:WORD_1
	v_add_u32_e32 v5, v4, v0
	v_mov_b32_e32 v6, 0
	v_lshlrev_b64 v[5:6], 1, v[5:6]
	s_waitcnt lgkmcnt(0)
	v_mov_b32_e32 v8, s13
	v_add_co_u32_e32 v5, vcc, s12, v5
	v_addc_co_u32_e32 v6, vcc, v8, v6, vcc
	global_store_short v[5:6], v7, off
	s_or_b64 exec, exec, s[8:9]
	s_and_saveexec_b64 s[8:9], s[2:3]
	s_cbranch_execz .LBB172_41
.LBB172_73:
	v_bfe_u32 v5, v104, 16, 1
	s_movk_i32 s11, 0x7fff
	v_add3_u32 v5, v104, v5, s11
	v_cmp_o_f32_e32 vcc, v104, v104
	v_mov_b32_e32 v6, 0x7fc0
	v_cndmask_b32_sdwa v7, v6, v5, vcc dst_sel:DWORD dst_unused:UNUSED_PAD src0_sel:DWORD src1_sel:WORD_1
	v_add_u32_e32 v5, v4, v9
	v_mov_b32_e32 v6, 0
	v_lshlrev_b64 v[5:6], 1, v[5:6]
	s_waitcnt lgkmcnt(0)
	v_mov_b32_e32 v8, s13
	v_add_co_u32_e32 v5, vcc, s12, v5
	v_addc_co_u32_e32 v6, vcc, v8, v6, vcc
	global_store_short v[5:6], v7, off
	s_or_b64 exec, exec, s[8:9]
	s_and_saveexec_b64 s[8:9], s[4:5]
	s_cbranch_execz .LBB172_42
.LBB172_74:
	v_bfe_u32 v5, v102, 16, 1
	s_movk_i32 s11, 0x7fff
	v_add3_u32 v5, v102, v5, s11
	v_cmp_o_f32_e32 vcc, v102, v102
	v_mov_b32_e32 v6, 0x7fc0
	v_cndmask_b32_sdwa v7, v6, v5, vcc dst_sel:DWORD dst_unused:UNUSED_PAD src0_sel:DWORD src1_sel:WORD_1
	v_add_u32_e32 v5, v4, v2
	v_mov_b32_e32 v6, 0
	v_lshlrev_b64 v[5:6], 1, v[5:6]
	s_waitcnt lgkmcnt(0)
	v_mov_b32_e32 v8, s13
	v_add_co_u32_e32 v5, vcc, s12, v5
	v_addc_co_u32_e32 v6, vcc, v8, v6, vcc
	global_store_short v[5:6], v7, off
	s_or_b64 exec, exec, s[8:9]
	s_and_saveexec_b64 s[8:9], s[6:7]
	s_cbranch_execnz .LBB172_43
	s_branch .LBB172_44
.LBB172_75:
	v_bfe_u32 v5, v97, 16, 1
	s_movk_i32 s11, 0x7fff
	v_add3_u32 v5, v97, v5, s11
	v_cmp_o_f32_e32 vcc, v97, v97
	v_mov_b32_e32 v6, 0x7fc0
	v_cndmask_b32_sdwa v7, v6, v5, vcc dst_sel:DWORD dst_unused:UNUSED_PAD src0_sel:DWORD src1_sel:WORD_1
	v_add_u32_e32 v5, v4, v0
	v_mov_b32_e32 v6, 0
	v_lshlrev_b64 v[5:6], 1, v[5:6]
	s_waitcnt lgkmcnt(0)
	v_mov_b32_e32 v8, s13
	v_add_co_u32_e32 v5, vcc, s12, v5
	v_addc_co_u32_e32 v6, vcc, v8, v6, vcc
	global_store_short v[5:6], v7, off
	s_or_b64 exec, exec, s[8:9]
	s_and_saveexec_b64 s[8:9], s[2:3]
	s_cbranch_execz .LBB172_47
.LBB172_76:
	v_bfe_u32 v5, v93, 16, 1
	s_movk_i32 s11, 0x7fff
	v_add3_u32 v5, v93, v5, s11
	v_cmp_o_f32_e32 vcc, v93, v93
	v_mov_b32_e32 v6, 0x7fc0
	v_cndmask_b32_sdwa v7, v6, v5, vcc dst_sel:DWORD dst_unused:UNUSED_PAD src0_sel:DWORD src1_sel:WORD_1
	v_add_u32_e32 v5, v4, v9
	v_mov_b32_e32 v6, 0
	v_lshlrev_b64 v[5:6], 1, v[5:6]
	s_waitcnt lgkmcnt(0)
	v_mov_b32_e32 v8, s13
	v_add_co_u32_e32 v5, vcc, s12, v5
	v_addc_co_u32_e32 v6, vcc, v8, v6, vcc
	global_store_short v[5:6], v7, off
	s_or_b64 exec, exec, s[8:9]
	s_and_saveexec_b64 s[8:9], s[4:5]
	s_cbranch_execz .LBB172_48
.LBB172_77:
	v_bfe_u32 v5, v88, 16, 1
	s_movk_i32 s11, 0x7fff
	v_add3_u32 v5, v88, v5, s11
	v_cmp_o_f32_e32 vcc, v88, v88
	v_mov_b32_e32 v6, 0x7fc0
	v_cndmask_b32_sdwa v7, v6, v5, vcc dst_sel:DWORD dst_unused:UNUSED_PAD src0_sel:DWORD src1_sel:WORD_1
	v_add_u32_e32 v5, v4, v2
	v_mov_b32_e32 v6, 0
	v_lshlrev_b64 v[5:6], 1, v[5:6]
	s_waitcnt lgkmcnt(0)
	v_mov_b32_e32 v8, s13
	v_add_co_u32_e32 v5, vcc, s12, v5
	v_addc_co_u32_e32 v6, vcc, v8, v6, vcc
	global_store_short v[5:6], v7, off
	s_or_b64 exec, exec, s[8:9]
	s_and_saveexec_b64 s[8:9], s[6:7]
	s_cbranch_execnz .LBB172_49
	s_branch .LBB172_50
.LBB172_78:
	v_bfe_u32 v5, v83, 16, 1
	s_movk_i32 s11, 0x7fff
	v_add3_u32 v5, v83, v5, s11
	v_cmp_o_f32_e32 vcc, v83, v83
	v_mov_b32_e32 v6, 0x7fc0
	v_cndmask_b32_sdwa v7, v6, v5, vcc dst_sel:DWORD dst_unused:UNUSED_PAD src0_sel:DWORD src1_sel:WORD_1
	v_add_u32_e32 v5, v4, v0
	v_mov_b32_e32 v6, 0
	v_lshlrev_b64 v[5:6], 1, v[5:6]
	s_waitcnt lgkmcnt(0)
	v_mov_b32_e32 v8, s13
	v_add_co_u32_e32 v5, vcc, s12, v5
	v_addc_co_u32_e32 v6, vcc, v8, v6, vcc
	global_store_short v[5:6], v7, off
	s_or_b64 exec, exec, s[8:9]
	s_and_saveexec_b64 s[8:9], s[2:3]
	s_cbranch_execz .LBB172_53
.LBB172_79:
	v_bfe_u32 v5, v72, 16, 1
	s_movk_i32 s11, 0x7fff
	v_add3_u32 v5, v72, v5, s11
	v_cmp_o_f32_e32 vcc, v72, v72
	v_mov_b32_e32 v6, 0x7fc0
	v_cndmask_b32_sdwa v7, v6, v5, vcc dst_sel:DWORD dst_unused:UNUSED_PAD src0_sel:DWORD src1_sel:WORD_1
	v_add_u32_e32 v5, v4, v9
	v_mov_b32_e32 v6, 0
	v_lshlrev_b64 v[5:6], 1, v[5:6]
	s_waitcnt lgkmcnt(0)
	v_mov_b32_e32 v8, s13
	v_add_co_u32_e32 v5, vcc, s12, v5
	v_addc_co_u32_e32 v6, vcc, v8, v6, vcc
	global_store_short v[5:6], v7, off
	s_or_b64 exec, exec, s[8:9]
	s_and_saveexec_b64 s[8:9], s[4:5]
	s_cbranch_execz .LBB172_54
.LBB172_80:
	v_bfe_u32 v5, v66, 16, 1
	s_movk_i32 s11, 0x7fff
	v_add3_u32 v5, v66, v5, s11
	v_cmp_o_f32_e32 vcc, v66, v66
	v_mov_b32_e32 v6, 0x7fc0
	v_cndmask_b32_sdwa v7, v6, v5, vcc dst_sel:DWORD dst_unused:UNUSED_PAD src0_sel:DWORD src1_sel:WORD_1
	v_add_u32_e32 v5, v4, v2
	v_mov_b32_e32 v6, 0
	v_lshlrev_b64 v[5:6], 1, v[5:6]
	s_waitcnt lgkmcnt(0)
	v_mov_b32_e32 v8, s13
	v_add_co_u32_e32 v5, vcc, s12, v5
	v_addc_co_u32_e32 v6, vcc, v8, v6, vcc
	global_store_short v[5:6], v7, off
	s_or_b64 exec, exec, s[8:9]
	s_and_saveexec_b64 s[8:9], s[6:7]
	s_cbranch_execnz .LBB172_55
	s_branch .LBB172_56
.LBB172_81:
	v_bfe_u32 v5, v57, 16, 1
	s_movk_i32 s0, 0x7fff
	v_add3_u32 v5, v57, v5, s0
	v_cmp_o_f32_e32 vcc, v57, v57
	v_mov_b32_e32 v6, 0x7fc0
	v_cndmask_b32_sdwa v7, v6, v5, vcc dst_sel:DWORD dst_unused:UNUSED_PAD src0_sel:DWORD src1_sel:WORD_1
	v_add_u32_e32 v5, v4, v0
	v_mov_b32_e32 v6, 0
	v_lshlrev_b64 v[5:6], 1, v[5:6]
	s_waitcnt lgkmcnt(0)
	v_mov_b32_e32 v0, s13
	v_add_co_u32_e32 v5, vcc, s12, v5
	v_addc_co_u32_e32 v6, vcc, v0, v6, vcc
	global_store_short v[5:6], v7, off
	s_or_b64 exec, exec, s[8:9]
	s_and_saveexec_b64 s[0:1], s[2:3]
	s_cbranch_execz .LBB172_59
.LBB172_82:
	v_bfe_u32 v0, v56, 16, 1
	s_movk_i32 s2, 0x7fff
	v_add3_u32 v0, v56, v0, s2
	v_cmp_o_f32_e32 vcc, v56, v56
	v_mov_b32_e32 v5, 0x7fc0
	v_cndmask_b32_sdwa v5, v5, v0, vcc dst_sel:DWORD dst_unused:UNUSED_PAD src0_sel:DWORD src1_sel:WORD_1
	v_add_u32_e32 v0, v4, v9
	v_mov_b32_e32 v1, 0
	v_lshlrev_b64 v[0:1], 1, v[0:1]
	s_waitcnt lgkmcnt(0)
	v_mov_b32_e32 v6, s13
	v_add_co_u32_e32 v0, vcc, s12, v0
	v_addc_co_u32_e32 v1, vcc, v6, v1, vcc
	global_store_short v[0:1], v5, off
	s_or_b64 exec, exec, s[0:1]
	s_and_saveexec_b64 s[0:1], s[4:5]
	s_cbranch_execz .LBB172_60
.LBB172_83:
	v_bfe_u32 v0, v55, 16, 1
	s_movk_i32 s2, 0x7fff
	v_add3_u32 v0, v55, v0, s2
	v_cmp_o_f32_e32 vcc, v55, v55
	v_mov_b32_e32 v1, 0x7fc0
	v_cndmask_b32_sdwa v5, v1, v0, vcc dst_sel:DWORD dst_unused:UNUSED_PAD src0_sel:DWORD src1_sel:WORD_1
	v_add_u32_e32 v0, v4, v2
	v_mov_b32_e32 v1, 0
	v_lshlrev_b64 v[0:1], 1, v[0:1]
	s_waitcnt lgkmcnt(0)
	v_mov_b32_e32 v2, s13
	v_add_co_u32_e32 v0, vcc, s12, v0
	v_addc_co_u32_e32 v1, vcc, v2, v1, vcc
	global_store_short v[0:1], v5, off
	s_or_b64 exec, exec, s[0:1]
	s_and_b64 exec, exec, s[6:7]
	s_cbranch_execnz .LBB172_61
	s_branch .LBB172_62
	.section	.rodata,"a",@progbits
	.p2align	6, 0x0
	.amdhsa_kernel _ZL12mul_mat_q4_KIN3c108BFloat16ELb1EEvPKvS3_PT_iiiii
		.amdhsa_group_segment_fixed_size 28752
		.amdhsa_private_segment_fixed_size 568
		.amdhsa_kernarg_size 44
		.amdhsa_user_sgpr_count 6
		.amdhsa_user_sgpr_private_segment_buffer 1
		.amdhsa_user_sgpr_dispatch_ptr 0
		.amdhsa_user_sgpr_queue_ptr 0
		.amdhsa_user_sgpr_kernarg_segment_ptr 1
		.amdhsa_user_sgpr_dispatch_id 0
		.amdhsa_user_sgpr_flat_scratch_init 0
		.amdhsa_user_sgpr_private_segment_size 0
		.amdhsa_uses_dynamic_stack 0
		.amdhsa_system_sgpr_private_segment_wavefront_offset 1
		.amdhsa_system_sgpr_workgroup_id_x 1
		.amdhsa_system_sgpr_workgroup_id_y 1
		.amdhsa_system_sgpr_workgroup_id_z 0
		.amdhsa_system_sgpr_workgroup_info 0
		.amdhsa_system_vgpr_workitem_id 1
		.amdhsa_next_free_vgpr 128
		.amdhsa_next_free_sgpr 98
		.amdhsa_reserve_vcc 1
		.amdhsa_reserve_flat_scratch 0
		.amdhsa_float_round_mode_32 0
		.amdhsa_float_round_mode_16_64 0
		.amdhsa_float_denorm_mode_32 3
		.amdhsa_float_denorm_mode_16_64 3
		.amdhsa_dx10_clamp 1
		.amdhsa_ieee_mode 1
		.amdhsa_fp16_overflow 0
		.amdhsa_exception_fp_ieee_invalid_op 0
		.amdhsa_exception_fp_denorm_src 0
		.amdhsa_exception_fp_ieee_div_zero 0
		.amdhsa_exception_fp_ieee_overflow 0
		.amdhsa_exception_fp_ieee_underflow 0
		.amdhsa_exception_fp_ieee_inexact 0
		.amdhsa_exception_int_div_zero 0
	.end_amdhsa_kernel
	.section	.text._ZL12mul_mat_q4_KIN3c108BFloat16ELb1EEvPKvS3_PT_iiiii,"axG",@progbits,_ZL12mul_mat_q4_KIN3c108BFloat16ELb1EEvPKvS3_PT_iiiii,comdat
.Lfunc_end172:
	.size	_ZL12mul_mat_q4_KIN3c108BFloat16ELb1EEvPKvS3_PT_iiiii, .Lfunc_end172-_ZL12mul_mat_q4_KIN3c108BFloat16ELb1EEvPKvS3_PT_iiiii
                                        ; -- End function
	.set _ZL12mul_mat_q4_KIN3c108BFloat16ELb1EEvPKvS3_PT_iiiii.num_vgpr, 128
	.set _ZL12mul_mat_q4_KIN3c108BFloat16ELb1EEvPKvS3_PT_iiiii.num_agpr, 0
	.set _ZL12mul_mat_q4_KIN3c108BFloat16ELb1EEvPKvS3_PT_iiiii.numbered_sgpr, 24
	.set _ZL12mul_mat_q4_KIN3c108BFloat16ELb1EEvPKvS3_PT_iiiii.num_named_barrier, 0
	.set _ZL12mul_mat_q4_KIN3c108BFloat16ELb1EEvPKvS3_PT_iiiii.private_seg_size, 568
	.set _ZL12mul_mat_q4_KIN3c108BFloat16ELb1EEvPKvS3_PT_iiiii.uses_vcc, 1
	.set _ZL12mul_mat_q4_KIN3c108BFloat16ELb1EEvPKvS3_PT_iiiii.uses_flat_scratch, 0
	.set _ZL12mul_mat_q4_KIN3c108BFloat16ELb1EEvPKvS3_PT_iiiii.has_dyn_sized_stack, 0
	.set _ZL12mul_mat_q4_KIN3c108BFloat16ELb1EEvPKvS3_PT_iiiii.has_recursion, 0
	.set _ZL12mul_mat_q4_KIN3c108BFloat16ELb1EEvPKvS3_PT_iiiii.has_indirect_call, 0
	.section	.AMDGPU.csdata,"",@progbits
; Kernel info:
; codeLenInByte = 26568
; TotalNumSgprs: 28
; NumVgprs: 128
; ScratchSize: 568
; MemoryBound: 0
; FloatMode: 240
; IeeeMode: 1
; LDSByteSize: 28752 bytes/workgroup (compile time only)
; SGPRBlocks: 12
; VGPRBlocks: 31
; NumSGPRsForWavesPerEU: 102
; NumVGPRsForWavesPerEU: 128
; Occupancy: 2
; WaveLimiterHint : 0
; COMPUTE_PGM_RSRC2:SCRATCH_EN: 1
; COMPUTE_PGM_RSRC2:USER_SGPR: 6
; COMPUTE_PGM_RSRC2:TRAP_HANDLER: 0
; COMPUTE_PGM_RSRC2:TGID_X_EN: 1
; COMPUTE_PGM_RSRC2:TGID_Y_EN: 1
; COMPUTE_PGM_RSRC2:TGID_Z_EN: 0
; COMPUTE_PGM_RSRC2:TIDIG_COMP_CNT: 1
	.section	.text._ZL12mul_mat_q5_KIN3c108BFloat16ELb0EEvPKvS3_PT_iiiii,"axG",@progbits,_ZL12mul_mat_q5_KIN3c108BFloat16ELb0EEvPKvS3_PT_iiiii,comdat
	.globl	_ZL12mul_mat_q5_KIN3c108BFloat16ELb0EEvPKvS3_PT_iiiii ; -- Begin function _ZL12mul_mat_q5_KIN3c108BFloat16ELb0EEvPKvS3_PT_iiiii
	.p2align	8
	.type	_ZL12mul_mat_q5_KIN3c108BFloat16ELb0EEvPKvS3_PT_iiiii,@function
_ZL12mul_mat_q5_KIN3c108BFloat16ELb0EEvPKvS3_PT_iiiii: ; @_ZL12mul_mat_q5_KIN3c108BFloat16ELb0EEvPKvS3_PT_iiiii
; %bb.0:
	s_load_dword s14, s[4:5], 0x18
	s_load_dwordx4 s[8:11], s[4:5], 0x20
	s_waitcnt lgkmcnt(0)
	s_lshl_b32 s11, s7, 6
	v_add_u32_e32 v91, s11, v1
	s_cmpk_gt_i32 s14, 0xff
	s_cbranch_scc1 .LBB173_2
; %bb.1:
	v_add_u32_e32 v2, s11, v1
	s_mov_b64 s[0:1], 0
	s_branch .LBB173_3
.LBB173_2:
	s_mov_b64 s[0:1], -1
                                        ; implicit-def: $vgpr2
.LBB173_3:
	s_load_dwordx2 s[12:13], s[4:5], 0x10
	s_lshl_b32 s6, s6, 7
	v_mov_b32_e32 v69, 0
	s_andn2_b64 vcc, exec, s[0:1]
	v_mov_b32_e32 v73, 0
	v_mov_b32_e32 v77, 0
	;; [unrolled: 1-line block ×31, first 2 shown]
	s_cbranch_vccnz .LBB173_11
; %bb.4:
	s_load_dwordx4 s[0:3], s[4:5], 0x0
	s_ashr_i32 s4, s14, 31
	s_lshr_b32 s4, s4, 24
	s_add_i32 s14, s14, s4
	s_ashr_i32 s5, s9, 31
	s_ashr_i32 s4, s14, 8
	s_lshr_b32 s5, s5, 27
	s_add_i32 s5, s9, s5
	s_mul_i32 s7, s4, s6
	s_ashr_i32 s15, s5, 5
	s_mul_hi_i32 s9, s7, 0xb0
	s_mulk_i32 s7, 0xb0
	v_and_b32_e32 v2, 7, v0
	s_waitcnt lgkmcnt(0)
	s_add_u32 s7, s0, s7
	v_lshlrev_b32_e32 v5, 3, v0
	v_lshlrev_b32_e32 v2, 2, v2
	s_movk_i32 s0, 0xc0
	s_addc_u32 s9, s1, s9
	v_mul_u32_u24_e32 v4, 0x41, v1
	v_and_or_b32 v2, v5, s0, v2
	s_lshl_b32 s0, s4, 3
	v_lshl_add_u32 v105, v4, 2, v2
	v_mov_b32_e32 v2, s0
	v_mad_i32_i24 v106, s4, v1, v2
	v_add_u32_e32 v107, s0, v106
	v_add_u32_e32 v108, s0, v107
	;; [unrolled: 1-line block ×4, first 2 shown]
	v_lshlrev_b32_e32 v122, 5, v1
	v_add_u32_e32 v111, s0, v110
	v_add_u32_e32 v2, v122, v0
	;; [unrolled: 1-line block ×3, first 2 shown]
	v_and_b32_e32 v4, 0x7f, v2
	v_lshrrev_b32_e32 v2, 3, v2
	v_add_u32_e32 v114, s0, v113
	v_mul_i32_i24_e32 v123, s4, v4
	v_and_b32_e32 v2, 12, v2
	v_lshlrev_b32_e32 v4, 2, v4
	s_mov_b32 s16, 0xae40
	v_add_u32_e32 v115, s0, v114
	v_add3_u32 v124, v4, v2, s16
	v_and_b32_e32 v2, 3, v0
	v_add_u32_e32 v116, s0, v115
	v_add_u32_e32 v5, 0xfe, v2
	;; [unrolled: 1-line block ×3, first 2 shown]
	v_and_b32_e32 v5, 0xff, v5
	v_cmp_gt_u32_e32 vcc, 2, v2
	v_lshrrev_b32_e32 v3, 2, v0
	v_add_u32_e32 v118, s0, v117
	v_lshlrev_b32_e32 v4, 3, v1
	v_cndmask_b32_e32 v5, v5, v2, vcc
	v_cmp_ne_u32_e32 vcc, 0, v2
	v_lshlrev_b32_e32 v98, 2, v0
	v_and_b32_e32 v101, 6, v3
	v_add_u32_e32 v119, s0, v118
	v_add_u32_e32 v8, v3, v4
	v_addc_co_u32_e32 v23, vcc, 0, v5, vcc
	v_add_u16_e32 v3, v3, v4
	v_add_u32_e32 v120, s0, v119
	v_and_b32_e32 v6, 4, v98
	v_cmp_lt_u32_e32 vcc, 1, v2
	v_lshlrev_b32_e32 v127, 1, v5
	v_and_b32_e32 v5, 0x7f, v8
	v_lshlrev_b32_e32 v12, 2, v2
	v_lshrrev_b16_e32 v3, 1, v3
	v_add_u32_e32 v121, s0, v120
	v_cndmask_b32_e32 v126, 0, v6, vcc
	v_lshl_or_b32 v6, v5, 4, v12
	v_and_b32_e32 v3, 60, v3
	s_mov_b32 s0, 0xa200
	v_add3_u32 v129, v6, v3, s0
	v_xor_b32_e32 v3, 64, v5
	v_mul_i32_i24_e32 v130, s4, v3
	v_lshl_or_b32 v4, v3, 4, v12
	v_lshrrev_b32_e32 v3, 1, v3
	v_and_b32_e32 v3, 60, v3
	v_add3_u32 v131, v4, v3, s0
	s_add_i32 s0, s8, -1
	v_mul_i32_i24_e32 v128, s4, v5
	v_cvt_f64_i32_e32 v[4:5], s0
	v_cvt_f64_u32_e32 v[6:7], v91
	v_and_b32_e32 v3, 31, v0
	v_mov_b32_e32 v9, 0x8200
	v_and_b32_e32 v13, 63, v8
	v_add_u32_e32 v8, 8, v91
	v_lshl_or_b32 v25, v3, 2, v9
	v_cvt_f64_u32_e32 v[8:9], v8
	v_add_u32_e32 v10, 16, v91
	v_min_f64 v[6:7], v[6:7], v[4:5]
	v_cvt_f64_u32_e32 v[10:11], v10
	v_min_f64 v[8:9], v[8:9], v[4:5]
	v_or_b32_e32 v3, s11, v13
	v_min_i32_e32 v3, s0, v3
	v_min_f64 v[10:11], v[10:11], v[4:5]
	v_mad_u64_u32 v[2:3], s[0:1], v3, s15, v[2:3]
	v_cvt_i32_f64_e32 v6, v[6:7]
	v_lshl_or_b32 v3, v13, 4, v12
	v_add_u32_e32 v134, 0xaa40, v3
	v_cvt_i32_f64_e32 v3, v[8:9]
	v_mul_lo_u32 v136, s15, v6
	v_cvt_i32_f64_e32 v6, v[10:11]
	v_lshrrev_b32_e32 v97, 5, v0
	v_mul_lo_u32 v137, s15, v3
	v_add_u32_e32 v3, 24, v91
	v_mul_lo_u32 v138, s15, v6
	v_cvt_f64_u32_e32 v[6:7], v3
	v_add_u32_e32 v3, 32, v91
	v_cvt_f64_u32_e32 v[8:9], v3
	v_add_u32_e32 v3, 40, v91
	v_min_f64 v[6:7], v[6:7], v[4:5]
	v_cvt_f64_u32_e32 v[10:11], v3
	v_add_u32_e32 v3, 48, v91
	v_cvt_f64_u32_e32 v[12:13], v3
	v_add_u32_e32 v3, 56, v91
	v_cvt_f64_u32_e32 v[14:15], v3
	v_min_f64 v[8:9], v[8:9], v[4:5]
	v_min_f64 v[10:11], v[10:11], v[4:5]
	v_cvt_i32_f64_e32 v29, v[6:7]
	v_min_f64 v[6:7], v[12:13], v[4:5]
	v_min_f64 v[3:4], v[14:15], v[4:5]
	s_movk_i32 s0, 0x104
	v_mul_lo_u32 v139, s15, v29
	v_and_b32_e32 v100, 28, v98
	v_cvt_i32_f64_e32 v8, v[8:9]
	v_cvt_i32_f64_e32 v9, v[10:11]
	v_add_u32_e32 v16, 8, v1
	v_cvt_i32_f64_e32 v6, v[6:7]
	v_cvt_i32_f64_e32 v3, v[3:4]
	v_mul_lo_u32 v140, s15, v8
	v_mul_lo_u32 v141, s15, v9
	;; [unrolled: 1-line block ×4, first 2 shown]
	v_lshlrev_b32_e32 v3, 2, v97
	v_add3_u32 v144, v98, v3, s16
	v_add_u32_e32 v3, 32, v0
	v_lshrrev_b32_e32 v145, 3, v3
	v_lshlrev_b32_e32 v10, 2, v3
	v_and_b32_e32 v3, 60, v145
	v_add3_u32 v146, v98, v3, s16
	v_add_u32_e32 v3, 64, v0
	v_lshrrev_b32_e32 v147, 3, v3
	v_lshlrev_b32_e32 v11, 2, v3
	v_and_b32_e32 v3, 60, v147
	;; [unrolled: 5-line block ×3, first 2 shown]
	v_add3_u32 v150, v98, v3, s16
	v_mov_b32_e32 v3, 0x2080
	v_mad_u32_u24 v159, v0, s0, v3
	v_mov_b32_e32 v3, 0x4100
	v_add_u32_e32 v17, 16, v1
	v_add_u32_e32 v18, 24, v1
	v_add_u32_e32 v19, 32, v1
	v_add_u32_e32 v20, 40, v1
	v_add_u32_e32 v21, 48, v1
	v_add_u32_e32 v22, 56, v1
	v_mad_u32_u24 v160, v0, s0, v3
	v_mov_b32_e32 v3, 0x6180
	v_cndmask_b32_e64 v24, 0, 1, vcc
	v_lshlrev_b32_e32 v26, 7, v1
	v_lshlrev_b32_e32 v27, 7, v16
	v_lshlrev_b32_e32 v28, 7, v17
	v_lshlrev_b32_e32 v5, 7, v18
	v_lshlrev_b32_e32 v8, 7, v19
	v_lshlrev_b32_e32 v7, 7, v20
	v_lshlrev_b32_e32 v6, 7, v21
	v_lshlrev_b32_e32 v9, 7, v22
	v_mad_u32_u24 v161, v0, s0, v3
	v_mov_b32_e32 v4, s3
	v_add_co_u32_e32 v3, vcc, s2, v100
	s_movk_i32 s5, 0xb0
	s_mov_b32 s14, 0
	v_mov_b32_e32 v93, 0
	v_and_b32_e32 v99, 0x7c, v98
	v_or_b32_e32 v102, 1, v101
	v_mul_i32_i24_e32 v104, s4, v1
	v_lshrrev_b32_e32 v135, 3, v0
	v_lshlrev_b32_e32 v151, 5, v16
	v_lshlrev_b32_e32 v152, 5, v17
	v_lshlrev_b32_e32 v153, 5, v18
	v_lshlrev_b32_e32 v154, 5, v19
	v_lshlrev_b32_e32 v155, 5, v20
	v_lshlrev_b32_e32 v156, 5, v21
	v_lshlrev_b32_e32 v157, 5, v22
	v_mul_u32_u24_e32 v158, 0x104, v0
	v_addc_co_u32_e32 v4, vcc, 0, v4, vcc
	s_mov_b32 s15, 0x10101010
	v_lshlrev_b32_e32 v162, 2, v23
	v_lshlrev_b32_e32 v163, 2, v24
	s_mov_b32 s16, 0x30303030
	v_add_u32_e32 v164, v25, v26
	v_add_u32_e32 v165, v25, v27
	;; [unrolled: 1-line block ×23, first 2 shown]
	v_lshlrev_b32_e32 v187, 2, v10
	v_lshlrev_b32_e32 v188, 2, v11
	;; [unrolled: 1-line block ×3, first 2 shown]
	v_mov_b32_e32 v112, 0
	v_mov_b32_e32 v94, 0
	;; [unrolled: 1-line block ×31, first 2 shown]
.LBB173_5:                              ; =>This Loop Header: Depth=1
                                        ;     Child Loop BB173_6 Depth 2
                                        ;     Child Loop BB173_8 Depth 2
	s_mul_i32 s0, s14, 0xb0
	s_mul_hi_u32 s1, s14, 0xb0
	s_add_u32 s0, s7, s0
	s_addc_u32 s1, s9, s1
	v_mov_b32_e32 v6, s1
	v_mov_b32_e32 v5, s0
	v_mad_u64_u32 v[7:8], s[0:1], v97, s5, v[5:6]
	s_lshl_b32 s17, s14, 3
	v_add_u32_e32 v195, s17, v2
	v_mad_u64_u32 v[9:10], s[0:1], v104, s5, v[7:8]
	v_mad_u64_u32 v[13:14], s[0:1], v106, s5, v[7:8]
	v_add_co_u32_e32 v11, vcc, v9, v99
	v_addc_co_u32_e32 v12, vcc, 0, v10, vcc
	v_add_co_u32_e32 v9, vcc, v9, v100
	v_addc_co_u32_e32 v10, vcc, 0, v10, vcc
	;; [unrolled: 2-line block ×3, first 2 shown]
	global_load_dword v19, v[11:12], off offset:48
	global_load_dword v20, v[9:10], off offset:16
	global_load_dword v21, v[15:16], off offset:48
	v_add_co_u32_e32 v9, vcc, v13, v100
	v_addc_co_u32_e32 v10, vcc, 0, v14, vcc
	global_load_dword v22, v[9:10], off offset:16
	v_mad_u64_u32 v[9:10], s[0:1], v107, s5, v[7:8]
	v_mad_u64_u32 v[11:12], s[0:1], v108, s5, v[7:8]
	v_add_co_u32_e32 v15, vcc, v9, v99
	v_addc_co_u32_e32 v16, vcc, 0, v10, vcc
	v_add_co_u32_e32 v9, vcc, v9, v100
	v_addc_co_u32_e32 v10, vcc, 0, v10, vcc
	global_load_dword v23, v[15:16], off offset:48
	global_load_dword v24, v[9:10], off offset:16
	v_add_co_u32_e32 v9, vcc, v11, v99
	v_addc_co_u32_e32 v10, vcc, 0, v12, vcc
	global_load_dword v25, v[9:10], off offset:48
	v_add_co_u32_e32 v9, vcc, v11, v100
	v_addc_co_u32_e32 v10, vcc, 0, v12, vcc
	global_load_dword v26, v[9:10], off offset:16
	v_mad_u64_u32 v[13:14], s[0:1], v109, s5, v[7:8]
	v_mad_u64_u32 v[9:10], s[0:1], v110, s5, v[7:8]
	v_add_co_u32_e32 v15, vcc, v13, v99
	v_addc_co_u32_e32 v16, vcc, 0, v14, vcc
	v_add_co_u32_e32 v13, vcc, v13, v100
	v_addc_co_u32_e32 v14, vcc, 0, v14, vcc
	v_mad_u64_u32 v[11:12], s[0:1], v111, s5, v[7:8]
	v_add_co_u32_e32 v17, vcc, v9, v99
	global_load_dword v15, v[15:16], off offset:48
	s_nop 0
	global_load_dword v13, v[13:14], off offset:16
	v_addc_co_u32_e32 v18, vcc, 0, v10, vcc
	v_add_co_u32_e32 v9, vcc, v9, v100
	v_addc_co_u32_e32 v10, vcc, 0, v10, vcc
	s_mov_b32 s18, 0
	s_waitcnt vmcnt(9)
	v_and_b32_e32 v14, 0xf0f0f0f, v19
	v_lshrrev_b32_e32 v16, 4, v19
	s_waitcnt vmcnt(8)
	v_ashrrev_i32_e32 v19, v101, v20
	v_ashrrev_i32_e32 v20, v102, v20
	v_and_b32_e32 v16, 0xf0f0f0f, v16
	v_lshlrev_b32_e32 v19, 4, v19
	v_lshlrev_b32_e32 v20, 4, v20
	v_and_or_b32 v14, v19, s15, v14
	v_and_or_b32 v16, v20, s15, v16
	ds_write2_b32 v105, v14, v16 offset1:8
	global_load_dword v14, v[17:18], off offset:48
	global_load_dword v16, v[9:10], off offset:16
	v_add_co_u32_e32 v9, vcc, v11, v99
	v_addc_co_u32_e32 v10, vcc, 0, v12, vcc
	v_add_co_u32_e32 v11, vcc, v11, v100
	v_addc_co_u32_e32 v12, vcc, 0, v12, vcc
	global_load_dword v17, v[9:10], off offset:48
	global_load_dword v18, v[11:12], off offset:16
	v_mad_u64_u32 v[9:10], s[0:1], v113, s5, v[7:8]
	s_waitcnt vmcnt(11)
	v_and_b32_e32 v27, 0xf0f0f0f, v21
	v_lshrrev_b32_e32 v21, 4, v21
	v_add_co_u32_e32 v11, vcc, v9, v99
	v_addc_co_u32_e32 v12, vcc, 0, v10, vcc
	s_waitcnt vmcnt(10)
	v_ashrrev_i32_e32 v28, v101, v22
	v_ashrrev_i32_e32 v22, v102, v22
	v_add_co_u32_e32 v9, vcc, v9, v100
	v_and_b32_e32 v21, 0xf0f0f0f, v21
	v_lshlrev_b32_e32 v28, 4, v28
	v_lshlrev_b32_e32 v22, 4, v22
	v_addc_co_u32_e32 v10, vcc, 0, v10, vcc
	v_and_or_b32 v19, v28, s15, v27
	global_load_dword v20, v[11:12], off offset:48
	global_load_dword v27, v[9:10], off offset:16
	v_and_or_b32 v9, v22, s15, v21
	s_waitcnt vmcnt(11)
	v_lshrrev_b32_e32 v10, 4, v23
	s_waitcnt vmcnt(10)
	v_ashrrev_i32_e32 v11, v101, v24
	v_ashrrev_i32_e32 v12, v102, v24
	ds_write2_b32 v172, v19, v9 offset0:8 offset1:16
	v_and_b32_e32 v9, 0xf0f0f0f, v23
	v_and_b32_e32 v10, 0xf0f0f0f, v10
	v_lshlrev_b32_e32 v11, 4, v11
	v_lshlrev_b32_e32 v12, 4, v12
	v_and_or_b32 v9, v11, s15, v9
	v_and_or_b32 v10, v12, s15, v10
	ds_write2_b32 v173, v9, v10 offset0:16 offset1:24
	s_waitcnt vmcnt(9)
	v_lshrrev_b32_e32 v9, 4, v25
	v_and_b32_e32 v19, 0xf0f0f0f, v9
	s_waitcnt vmcnt(8)
	v_ashrrev_i32_e32 v9, v101, v26
	v_lshlrev_b32_e32 v12, 4, v9
	v_mad_u64_u32 v[9:10], s[0:1], v114, s5, v[7:8]
	v_and_b32_e32 v11, 0xf0f0f0f, v25
	v_and_or_b32 v22, v12, s15, v11
	v_add_co_u32_e32 v11, vcc, v9, v99
	v_addc_co_u32_e32 v12, vcc, 0, v10, vcc
	v_add_co_u32_e32 v9, vcc, v9, v100
	v_addc_co_u32_e32 v10, vcc, 0, v10, vcc
	global_load_dword v23, v[11:12], off offset:48
	global_load_dword v24, v[9:10], off offset:16
	v_mad_u64_u32 v[11:12], s[0:1], v115, s5, v[7:8]
	v_ashrrev_i32_e32 v21, v102, v26
	v_lshlrev_b32_e32 v21, 4, v21
	v_add_co_u32_e32 v9, vcc, v11, v99
	v_addc_co_u32_e32 v10, vcc, 0, v12, vcc
	global_load_dword v25, v[9:10], off offset:48
	v_add_co_u32_e32 v9, vcc, v11, v100
	v_addc_co_u32_e32 v10, vcc, 0, v12, vcc
	global_load_dword v26, v[9:10], off offset:16
	v_and_or_b32 v9, v21, s15, v19
	s_waitcnt vmcnt(11)
	v_lshrrev_b32_e32 v10, 4, v15
	s_waitcnt vmcnt(10)
	v_ashrrev_i32_e32 v11, v101, v13
	v_ashrrev_i32_e32 v12, v102, v13
	ds_write2_b32 v174, v22, v9 offset0:24 offset1:32
	v_and_b32_e32 v9, 0xf0f0f0f, v15
	v_and_b32_e32 v10, 0xf0f0f0f, v10
	v_lshlrev_b32_e32 v11, 4, v11
	v_lshlrev_b32_e32 v12, 4, v12
	v_and_or_b32 v9, v11, s15, v9
	v_and_or_b32 v10, v12, s15, v10
	ds_write2_b32 v175, v9, v10 offset0:32 offset1:40
	s_waitcnt vmcnt(9)
	v_lshrrev_b32_e32 v10, 4, v14
	s_waitcnt vmcnt(8)
	v_ashrrev_i32_e32 v11, v101, v16
	v_ashrrev_i32_e32 v12, v102, v16
	v_and_b32_e32 v9, 0xf0f0f0f, v14
	v_and_b32_e32 v10, 0xf0f0f0f, v10
	v_lshlrev_b32_e32 v11, 4, v11
	v_lshlrev_b32_e32 v12, 4, v12
	v_and_or_b32 v9, v11, s15, v9
	v_and_or_b32 v10, v12, s15, v10
	ds_write2_b32 v176, v9, v10 offset0:40 offset1:48
	s_waitcnt vmcnt(7)
	v_lshrrev_b32_e32 v10, 4, v17
	s_waitcnt vmcnt(6)
	v_ashrrev_i32_e32 v11, v101, v18
	v_ashrrev_i32_e32 v12, v102, v18
	v_and_b32_e32 v9, 0xf0f0f0f, v17
	v_and_b32_e32 v10, 0xf0f0f0f, v10
	v_lshlrev_b32_e32 v11, 4, v11
	v_lshlrev_b32_e32 v12, 4, v12
	v_and_or_b32 v9, v11, s15, v9
	v_and_or_b32 v10, v12, s15, v10
	ds_write2_b32 v177, v9, v10 offset0:48 offset1:56
	v_mad_u64_u32 v[17:18], s[0:1], v120, s5, v[7:8]
	s_waitcnt vmcnt(5)
	v_lshrrev_b32_e32 v10, 4, v20
	v_and_b32_e32 v11, 0xf0f0f0f, v10
	s_waitcnt vmcnt(4)
	v_ashrrev_i32_e32 v10, v101, v27
	v_and_b32_e32 v9, 0xf0f0f0f, v20
	v_lshlrev_b32_e32 v10, 4, v10
	v_and_or_b32 v13, v10, s15, v9
	v_mad_u64_u32 v[9:10], s[0:1], v116, s5, v[7:8]
	v_ashrrev_i32_e32 v12, v102, v27
	v_lshlrev_b32_e32 v12, 4, v12
	v_and_or_b32 v11, v12, s15, v11
	ds_write2_b32 v178, v13, v11 offset0:56 offset1:64
	v_add_co_u32_e32 v11, vcc, v9, v99
	v_mad_u64_u32 v[13:14], s[0:1], v117, s5, v[7:8]
	v_addc_co_u32_e32 v12, vcc, 0, v10, vcc
	v_add_co_u32_e32 v9, vcc, v9, v100
	v_addc_co_u32_e32 v10, vcc, 0, v10, vcc
	v_add_co_u32_e32 v15, vcc, v13, v99
	;; [unrolled: 2-line block ×3, first 2 shown]
	v_addc_co_u32_e32 v14, vcc, 0, v14, vcc
	global_load_dword v27, v[11:12], off offset:48
	global_load_dword v28, v[9:10], off offset:16
	;; [unrolled: 1-line block ×4, first 2 shown]
	s_waitcnt vmcnt(7)
	v_lshrrev_b32_e32 v10, 4, v23
	s_waitcnt vmcnt(6)
	v_ashrrev_i32_e32 v11, v101, v24
	v_ashrrev_i32_e32 v12, v102, v24
	v_and_b32_e32 v9, 0xf0f0f0f, v23
	v_and_b32_e32 v10, 0xf0f0f0f, v10
	v_lshlrev_b32_e32 v11, 4, v11
	v_lshlrev_b32_e32 v12, 4, v12
	v_and_or_b32 v9, v11, s15, v9
	v_and_or_b32 v10, v12, s15, v10
	ds_write2_b32 v179, v9, v10 offset0:64 offset1:72
	s_waitcnt vmcnt(5)
	v_lshrrev_b32_e32 v10, 4, v25
	v_and_b32_e32 v11, 0xf0f0f0f, v10
	v_and_b32_e32 v9, 0xf0f0f0f, v25
	s_waitcnt vmcnt(4)
	v_ashrrev_i32_e32 v10, v101, v26
	v_lshlrev_b32_e32 v10, 4, v10
	v_and_or_b32 v13, v10, s15, v9
	v_mad_u64_u32 v[9:10], s[0:1], v118, s5, v[7:8]
	v_ashrrev_i32_e32 v12, v102, v26
	v_lshlrev_b32_e32 v12, 4, v12
	v_and_or_b32 v11, v12, s15, v11
	ds_write2_b32 v180, v13, v11 offset0:72 offset1:80
	v_add_co_u32_e32 v11, vcc, v9, v99
	v_mad_u64_u32 v[13:14], s[0:1], v119, s5, v[7:8]
	v_addc_co_u32_e32 v12, vcc, 0, v10, vcc
	v_add_co_u32_e32 v9, vcc, v9, v100
	v_addc_co_u32_e32 v10, vcc, 0, v10, vcc
	v_add_co_u32_e32 v15, vcc, v13, v99
	;; [unrolled: 2-line block ×4, first 2 shown]
	v_mad_u64_u32 v[7:8], s[0:1], v121, s5, v[7:8]
	v_addc_co_u32_e32 v20, vcc, 0, v18, vcc
	v_add_co_u32_e32 v17, vcc, v17, v100
	v_addc_co_u32_e32 v18, vcc, 0, v18, vcc
	v_add_co_u32_e32 v21, vcc, v7, v99
	;; [unrolled: 2-line block ×3, first 2 shown]
	v_addc_co_u32_e32 v8, vcc, 0, v8, vcc
	global_load_dword v23, v[11:12], off offset:48
	global_load_dword v24, v[9:10], off offset:16
	;; [unrolled: 1-line block ×8, first 2 shown]
	v_mad_u64_u32 v[7:8], s[0:1], v128, s5, v[5:6]
	v_mad_u64_u32 v[9:10], s[0:1], v123, s5, v[5:6]
	v_add_co_u32_e32 v11, vcc, v7, v162
	v_mad_u64_u32 v[5:6], s[0:1], v130, s5, v[5:6]
	v_addc_co_u32_e32 v12, vcc, 0, v8, vcc
	v_add_co_u32_e32 v7, vcc, v7, v163
	v_addc_co_u32_e32 v8, vcc, 0, v8, vcc
	v_add_co_u32_e32 v13, vcc, v5, v162
	;; [unrolled: 2-line block ×3, first 2 shown]
	v_add_u32_e32 v19, s17, v135
	v_addc_co_u32_e32 v6, vcc, 0, v6, vcc
	global_load_dword v35, v[9:10], off
	global_load_dword v36, v[11:12], off offset:4
	global_load_dword v37, v[7:8], off offset:4
	global_load_dword v38, v[13:14], off offset:4
	global_load_dword v39, v[5:6], off offset:4
	v_add_u32_e32 v5, v19, v136
	v_mad_i64_i32 v[5:6], s[0:1], v5, 36, v[3:4]
	v_add_u32_e32 v7, v19, v137
	v_mad_i64_i32 v[7:8], s[0:1], v7, 36, v[3:4]
	;; [unrolled: 2-line block ×3, first 2 shown]
	v_add_u32_e32 v11, v19, v139
	v_add_u32_e32 v13, v19, v140
	v_mad_i64_i32 v[11:12], s[0:1], v11, 36, v[3:4]
	v_mad_i64_i32 v[13:14], s[0:1], v13, 36, v[3:4]
	v_add_u32_e32 v15, v19, v141
	v_add_u32_e32 v17, v19, v142
	;; [unrolled: 1-line block ×3, first 2 shown]
	v_mad_i64_i32 v[15:16], s[0:1], v15, 36, v[3:4]
	v_mad_i64_i32 v[17:18], s[0:1], v17, 36, v[3:4]
	;; [unrolled: 1-line block ×3, first 2 shown]
	v_mad_u64_u32 v[21:22], s[0:1], v195, 36, s[2:3]
	global_load_dword v5, v[5:6], off offset:4
	s_nop 0
	global_load_dword v6, v[7:8], off offset:4
	s_nop 0
	global_load_dword v7, v[9:10], off offset:4
	global_load_dword v8, v[11:12], off offset:4
	s_nop 0
	global_load_dword v9, v[13:14], off offset:4
	global_load_dword v10, v[15:16], off offset:4
	;; [unrolled: 1-line block ×4, first 2 shown]
	s_nop 0
	global_load_dword v13, v[21:22], off
	s_waitcnt vmcnt(25)
	v_lshrrev_b32_e32 v15, 4, v27
	s_waitcnt vmcnt(24)
	v_ashrrev_i32_e32 v16, v101, v28
	v_ashrrev_i32_e32 v17, v102, v28
	v_and_b32_e32 v14, 0xf0f0f0f, v27
	v_and_b32_e32 v15, 0xf0f0f0f, v15
	v_lshlrev_b32_e32 v16, 4, v16
	v_lshlrev_b32_e32 v17, 4, v17
	v_and_or_b32 v14, v16, s15, v14
	v_and_or_b32 v15, v17, s15, v15
	ds_write2_b32 v181, v14, v15 offset0:80 offset1:88
	s_waitcnt vmcnt(23)
	v_lshrrev_b32_e32 v15, 4, v29
	s_waitcnt vmcnt(22)
	v_ashrrev_i32_e32 v16, v101, v30
	v_ashrrev_i32_e32 v17, v102, v30
	v_and_b32_e32 v14, 0xf0f0f0f, v29
	v_and_b32_e32 v15, 0xf0f0f0f, v15
	v_lshlrev_b32_e32 v16, 4, v16
	v_lshlrev_b32_e32 v17, 4, v17
	v_and_or_b32 v14, v16, s15, v14
	v_and_or_b32 v15, v17, s15, v15
	ds_write2_b32 v182, v14, v15 offset0:88 offset1:96
	s_mov_b64 s[0:1], -1
	s_waitcnt vmcnt(21)
	v_lshrrev_b32_e32 v15, 4, v23
	s_waitcnt vmcnt(20)
	v_ashrrev_i32_e32 v16, v101, v24
	v_ashrrev_i32_e32 v17, v102, v24
	v_and_b32_e32 v14, 0xf0f0f0f, v23
	v_and_b32_e32 v15, 0xf0f0f0f, v15
	v_lshlrev_b32_e32 v16, 4, v16
	v_lshlrev_b32_e32 v17, 4, v17
	v_and_or_b32 v14, v16, s15, v14
	v_and_or_b32 v15, v17, s15, v15
	ds_write2_b32 v183, v14, v15 offset0:96 offset1:104
	s_waitcnt vmcnt(19)
	v_lshrrev_b32_e32 v15, 4, v25
	s_waitcnt vmcnt(18)
	v_ashrrev_i32_e32 v16, v101, v26
	v_ashrrev_i32_e32 v17, v102, v26
	v_and_b32_e32 v14, 0xf0f0f0f, v25
	v_and_b32_e32 v15, 0xf0f0f0f, v15
	v_lshlrev_b32_e32 v16, 4, v16
	v_lshlrev_b32_e32 v17, 4, v17
	v_and_or_b32 v14, v16, s15, v14
	v_and_or_b32 v15, v17, s15, v15
	ds_write2_b32 v184, v14, v15 offset0:104 offset1:112
	;; [unrolled: 12-line block ×4, first 2 shown]
	s_waitcnt vmcnt(13)
	ds_write_b32 v124, v35
	s_waitcnt vmcnt(12)
	v_ashrrev_i32_e32 v14, v126, v36
	v_and_b32_e32 v14, 0xf0f0f0f, v14
	s_waitcnt vmcnt(11)
	v_ashrrev_i32_e32 v15, v127, v37
	v_and_or_b32 v14, v15, s16, v14
	ds_write_b32 v129, v14
	s_waitcnt vmcnt(10)
	v_ashrrev_i32_e32 v14, v126, v38
	v_and_b32_e32 v14, 0xf0f0f0f, v14
	s_waitcnt vmcnt(9)
	v_ashrrev_i32_e32 v15, v127, v39
	v_and_or_b32 v14, v15, s16, v14
	ds_write_b32 v131, v14
	s_waitcnt vmcnt(8)
	ds_write_b32 v164, v5
	s_waitcnt vmcnt(7)
	;; [unrolled: 2-line block ×9, first 2 shown]
	ds_write_b32 v134, v13
	s_waitcnt lgkmcnt(0)
	s_barrier
	ds_read_b32 v5, v144
	ds_read_b32 v6, v146 offset:128
	ds_read_b32 v7, v148 offset:256
	;; [unrolled: 1-line block ×3, first 2 shown]
	s_waitcnt lgkmcnt(3)
	v_cvt_f32_f16_e32 v196, v5
	v_cvt_f32_f16_sdwa v197, v5 dst_sel:DWORD dst_unused:UNUSED_PAD src0_sel:WORD_1
	s_waitcnt lgkmcnt(2)
	v_cvt_f32_f16_sdwa v198, v6 dst_sel:DWORD dst_unused:UNUSED_PAD src0_sel:WORD_1
	v_cvt_f32_f16_e32 v199, v6
	s_waitcnt lgkmcnt(1)
	v_cvt_f32_f16_sdwa v200, v7 dst_sel:DWORD dst_unused:UNUSED_PAD src0_sel:WORD_1
	v_cvt_f32_f16_e32 v201, v7
	;; [unrolled: 3-line block ×3, first 2 shown]
.LBB173_6:                              ;   Parent Loop BB173_5 Depth=1
                                        ; =>  This Inner Loop Header: Depth=2
	s_lshl_b32 s19, s18, 1
	s_lshr_b32 s20, s18, 2
	v_or_b32_e32 v5, s19, v122
	s_lshl_b32 s18, s18, 3
	v_lshlrev_b32_e32 v6, 2, v5
	v_add_u32_e32 v19, s18, v158
	v_lshrrev_b32_e32 v21, 1, v5
	ds_read_b128 v[55:58], v6 offset:33280
	ds_read_b128 v[59:62], v6 offset:33296
	;; [unrolled: 1-line block ×4, first 2 shown]
	ds_read2_b32 v[5:6], v19 offset1:1
	s_add_i32 s20, s20, 0xa200
	v_lshlrev_b32_e32 v190, 2, v135
	v_lshlrev_b32_e32 v191, 2, v98
	v_add3_u32 v13, s20, v190, v191
	s_waitcnt lgkmcnt(0)
	v_dot4_i32_i8 v7, v5, v55, 0
	v_dot4_i32_i8 v9, v6, v56, v7
	ds_read2_b32 v[7:8], v19 offset0:2 offset1:3
	v_add_u32_e32 v35, s18, v159
	v_lshlrev_b32_e32 v192, 2, v145
	v_add3_u32 v29, s20, v192, v187
	v_add_u32_e32 v51, s18, v160
	s_waitcnt lgkmcnt(0)
	v_dot4_i32_i8 v9, v7, v57, v9
	v_dot4_i32_i8 v11, v8, v58, v9
	ds_read2_b32 v[9:10], v19 offset0:4 offset1:5
	v_lshlrev_b32_e32 v193, 2, v147
	v_add3_u32 v45, s20, v193, v188
	v_lshlrev_b32_e32 v194, 2, v149
	s_and_b64 vcc, exec, s[0:1]
	s_waitcnt lgkmcnt(0)
	v_dot4_i32_i8 v11, v9, v59, v11
	v_dot4_i32_i8 v14, v10, v60, v11
	ds_read2_b32 v[11:12], v19 offset0:6 offset1:7
	s_mov_b64 s[0:1], 0
	s_waitcnt lgkmcnt(0)
	v_dot4_i32_i8 v14, v11, v61, v14
	v_dot4_i32_i8 v22, v12, v62, v14
	ds_read_u16 v23, v13
	ds_read_u8 v14, v13 offset:8
	ds_read_u8 v24, v13 offset:9
	ds_read_b64 v[222:223], v21 offset:43584
	s_waitcnt lgkmcnt(3)
	v_and_b32_e32 v207, 0xff, v23
	s_waitcnt lgkmcnt(2)
	v_cvt_f32_ubyte0_e32 v204, v14
	ds_read2_b32 v[13:14], v19 offset0:8 offset1:9
	v_lshrrev_b16_e32 v205, 8, v23
	v_mul_lo_u32 v21, v22, v207
	s_waitcnt lgkmcnt(1)
	v_fma_mix_f32 v23, v222, v204, 0 op_sel:[1,0,0] op_sel_hi:[1,0,0]
	v_cvt_f32_ubyte0_e32 v206, v24
	s_waitcnt lgkmcnt(0)
	v_dot4_i32_i8 v15, v13, v63, 0
	v_dot4_i32_i8 v17, v14, v64, v15
	ds_read2_b32 v[15:16], v19 offset0:10 offset1:11
	v_cvt_f32_i32_e32 v21, v21
	s_waitcnt lgkmcnt(0)
	v_dot4_i32_i8 v17, v15, v65, v17
	v_dot4_i32_i8 v20, v16, v66, v17
	ds_read2_b32 v[17:18], v19 offset0:12 offset1:13
	v_fma_mix_f32 v21, v222, v21, 0 op_sel_hi:[1,0,0]
	s_waitcnt lgkmcnt(0)
	v_dot4_i32_i8 v20, v17, v218, v20
	v_dot4_i32_i8 v25, v18, v219, v20
	ds_read2_b32 v[19:20], v19 offset0:14 offset1:15
	s_waitcnt lgkmcnt(0)
	v_dot4_i32_i8 v25, v19, v220, v25
	v_dot4_i32_i8 v25, v20, v221, v25
	v_mul_lo_u32 v22, v25, v205
	v_cvt_f32_i32_e32 v22, v22
	v_fma_mix_f32 v21, v223, v22, v21 op_sel_hi:[1,0,0]
	v_fma_mix_f32 v22, v223, v206, v23 op_sel:[1,0,0] op_sel_hi:[1,0,0]
	v_mul_f32_e32 v22, v22, v197
	v_fma_f32 v21, v21, v196, -v22
	v_add_f32_e32 v93, v93, v21
	ds_read2_b32 v[21:22], v35 offset1:1
	s_waitcnt lgkmcnt(0)
	v_dot4_i32_i8 v23, v21, v55, 0
	v_dot4_i32_i8 v25, v22, v56, v23
	ds_read2_b32 v[23:24], v35 offset0:2 offset1:3
	s_waitcnt lgkmcnt(0)
	v_dot4_i32_i8 v25, v23, v57, v25
	v_dot4_i32_i8 v27, v24, v58, v25
	ds_read2_b32 v[25:26], v35 offset0:4 offset1:5
	;; [unrolled: 4-line block ×3, first 2 shown]
	ds_read_u16 v37, v29
	ds_read_u16 v38, v29 offset:8
	s_waitcnt lgkmcnt(2)
	v_dot4_i32_i8 v30, v27, v61, v30
	v_dot4_i32_i8 v30, v28, v62, v30
	s_waitcnt lgkmcnt(1)
	v_and_b32_e32 v208, 0xff, v37
	v_mul_lo_u32 v29, v30, v208
	v_lshrrev_b16_e32 v210, 8, v37
	s_waitcnt lgkmcnt(0)
	v_cvt_f32_ubyte0_e32 v209, v38
	v_cvt_f32_ubyte1_e32 v211, v38
	v_cvt_f32_i32_e32 v39, v29
	ds_read2_b32 v[29:30], v35 offset0:8 offset1:9
	v_fma_mix_f32 v38, v222, v209, 0 op_sel:[1,0,0] op_sel_hi:[1,0,0]
	v_fma_mix_f32 v38, v223, v211, v38 op_sel:[1,0,0] op_sel_hi:[1,0,0]
	v_fma_mix_f32 v39, v222, v39, 0 op_sel_hi:[1,0,0]
	v_mul_f32_e32 v38, v38, v198
	s_waitcnt lgkmcnt(0)
	v_dot4_i32_i8 v31, v29, v63, 0
	v_dot4_i32_i8 v33, v30, v64, v31
	ds_read2_b32 v[31:32], v35 offset0:10 offset1:11
	s_waitcnt lgkmcnt(0)
	v_dot4_i32_i8 v33, v31, v65, v33
	v_dot4_i32_i8 v36, v32, v66, v33
	ds_read2_b32 v[33:34], v35 offset0:12 offset1:13
	;; [unrolled: 4-line block ×3, first 2 shown]
	s_waitcnt lgkmcnt(0)
	v_dot4_i32_i8 v40, v35, v220, v40
	v_dot4_i32_i8 v40, v36, v221, v40
	v_mul_lo_u32 v37, v40, v210
	v_cvt_f32_i32_e32 v37, v37
	v_fma_mix_f32 v37, v223, v37, v39 op_sel_hi:[1,0,0]
	v_fma_f32 v37, v37, v199, -v38
	v_add_f32_e32 v133, v133, v37
	ds_read2_b32 v[37:38], v51 offset1:1
	s_waitcnt lgkmcnt(0)
	v_dot4_i32_i8 v39, v37, v55, 0
	v_dot4_i32_i8 v41, v38, v56, v39
	ds_read2_b32 v[39:40], v51 offset0:2 offset1:3
	s_waitcnt lgkmcnt(0)
	v_dot4_i32_i8 v41, v39, v57, v41
	v_dot4_i32_i8 v43, v40, v58, v41
	ds_read2_b32 v[41:42], v51 offset0:4 offset1:5
	;; [unrolled: 4-line block ×3, first 2 shown]
	ds_read_u16 v53, v45
	ds_read_u16 v54, v45 offset:8
	s_waitcnt lgkmcnt(2)
	v_dot4_i32_i8 v46, v43, v61, v46
	v_dot4_i32_i8 v46, v44, v62, v46
	s_waitcnt lgkmcnt(1)
	v_and_b32_e32 v212, 0xff, v53
	v_mul_lo_u32 v45, v46, v212
	v_lshrrev_b16_e32 v214, 8, v53
	s_waitcnt lgkmcnt(0)
	v_cvt_f32_ubyte0_e32 v213, v54
	v_cvt_f32_ubyte1_e32 v215, v54
	v_cvt_f32_i32_e32 v67, v45
	ds_read2_b32 v[45:46], v51 offset0:8 offset1:9
	v_fma_mix_f32 v54, v222, v213, 0 op_sel:[1,0,0] op_sel_hi:[1,0,0]
	v_fma_mix_f32 v54, v223, v215, v54 op_sel:[1,0,0] op_sel_hi:[1,0,0]
	v_fma_mix_f32 v67, v222, v67, 0 op_sel_hi:[1,0,0]
	v_mul_f32_e32 v54, v54, v200
	s_waitcnt lgkmcnt(0)
	v_dot4_i32_i8 v47, v45, v63, 0
	v_dot4_i32_i8 v49, v46, v64, v47
	ds_read2_b32 v[47:48], v51 offset0:10 offset1:11
	s_waitcnt lgkmcnt(0)
	v_dot4_i32_i8 v49, v47, v65, v49
	v_dot4_i32_i8 v52, v48, v66, v49
	ds_read2_b32 v[49:50], v51 offset0:12 offset1:13
	;; [unrolled: 4-line block ×3, first 2 shown]
	s_waitcnt lgkmcnt(0)
	v_dot4_i32_i8 v68, v51, v220, v68
	v_dot4_i32_i8 v68, v52, v221, v68
	v_mul_lo_u32 v53, v68, v214
	v_add_u32_e32 v68, s18, v161
	s_mov_b32 s18, 8
	v_cvt_f32_i32_e32 v53, v53
	v_fma_mix_f32 v53, v223, v53, v67 op_sel_hi:[1,0,0]
	v_fma_f32 v53, v53, v201, -v54
	v_add_f32_e32 v132, v132, v53
	ds_read2_b32 v[53:54], v68 offset1:1
	v_add3_u32 v67, s20, v194, v189
	s_waitcnt lgkmcnt(0)
	v_dot4_i32_i8 v55, v53, v55, 0
	v_dot4_i32_i8 v216, v54, v56, v55
	ds_read2_b32 v[55:56], v68 offset0:2 offset1:3
	s_waitcnt lgkmcnt(0)
	v_dot4_i32_i8 v57, v55, v57, v216
	v_dot4_i32_i8 v216, v56, v58, v57
	ds_read2_b32 v[57:58], v68 offset0:4 offset1:5
	;; [unrolled: 4-line block ×3, first 2 shown]
	ds_read_u16 v224, v67
	ds_read_u16 v225, v67 offset:8
	s_waitcnt lgkmcnt(2)
	v_dot4_i32_i8 v61, v59, v61, v216
	v_dot4_i32_i8 v61, v60, v62, v61
	s_waitcnt lgkmcnt(1)
	v_and_b32_e32 v216, 0xff, v224
	v_mul_lo_u32 v61, v61, v216
	s_waitcnt lgkmcnt(0)
	v_cvt_f32_ubyte0_e32 v217, v225
	v_cvt_f32_i32_e32 v226, v61
	ds_read2_b32 v[61:62], v68 offset0:8 offset1:9
	s_waitcnt lgkmcnt(0)
	v_dot4_i32_i8 v63, v61, v63, 0
	v_dot4_i32_i8 v67, v62, v64, v63
	ds_read2_b32 v[63:64], v68 offset0:10 offset1:11
	s_waitcnt lgkmcnt(0)
	v_dot4_i32_i8 v65, v63, v65, v67
	v_dot4_i32_i8 v67, v64, v66, v65
	;; [unrolled: 4-line block ×4, first 2 shown]
	v_lshrrev_b16_e32 v218, 8, v224
	v_mul_lo_u32 v219, v219, v218
	v_fma_mix_f32 v221, v222, v217, 0 op_sel:[1,0,0] op_sel_hi:[1,0,0]
	v_fma_mix_f32 v222, v222, v226, 0 op_sel_hi:[1,0,0]
	v_cvt_f32_i32_e32 v220, v219
	v_cvt_f32_ubyte1_e32 v219, v225
	v_fma_mix_f32 v221, v223, v219, v221 op_sel:[1,0,0] op_sel_hi:[1,0,0]
	v_mul_f32_e32 v221, v221, v202
	v_fma_mix_f32 v220, v223, v220, v222 op_sel_hi:[1,0,0]
	v_fma_f32 v220, v220, v203, -v221
	v_add_f32_e32 v125, v125, v220
	v_or_b32_e32 v220, s19, v151
	v_lshlrev_b32_e32 v232, 2, v220
	v_lshrrev_b32_e32 v236, 1, v220
	ds_read_b128 v[220:223], v232 offset:33280
	ds_read_b128 v[224:227], v232 offset:33296
	;; [unrolled: 1-line block ×4, first 2 shown]
	ds_read_b64 v[236:237], v236 offset:43584
	s_waitcnt lgkmcnt(4)
	v_dot4_i32_i8 v238, v5, v220, 0
	v_dot4_i32_i8 v238, v6, v221, v238
	s_waitcnt lgkmcnt(2)
	v_dot4_i32_i8 v240, v13, v228, 0
	v_dot4_i32_i8 v238, v7, v222, v238
	;; [unrolled: 1-line block ×8, first 2 shown]
	s_waitcnt lgkmcnt(1)
	v_dot4_i32_i8 v240, v17, v232, v240
	v_dot4_i32_i8 v238, v11, v226, v238
	;; [unrolled: 1-line block ×5, first 2 shown]
	v_mul_lo_u32 v238, v238, v207
	v_dot4_i32_i8 v240, v20, v235, v240
	v_mul_lo_u32 v240, v240, v205
	s_waitcnt lgkmcnt(0)
	v_fma_mix_f32 v239, v204, v236, 0 op_sel:[0,1,0] op_sel_hi:[0,1,0]
	v_cvt_f32_i32_e32 v238, v238
	v_fma_mix_f32 v239, v206, v237, v239 op_sel:[0,1,0] op_sel_hi:[0,1,0]
	v_cvt_f32_i32_e32 v240, v240
	v_mul_f32_e32 v239, v239, v197
	v_fma_mix_f32 v238, v238, v236, 0 op_sel_hi:[0,1,0]
	v_fma_mix_f32 v238, v240, v237, v238 op_sel_hi:[0,1,0]
	v_fma_f32 v238, v238, v196, -v239
	v_add_f32_e32 v112, v112, v238
	v_dot4_i32_i8 v238, v21, v220, 0
	v_dot4_i32_i8 v238, v22, v221, v238
	;; [unrolled: 1-line block ×15, first 2 shown]
	v_mul_lo_u32 v238, v238, v208
	v_dot4_i32_i8 v240, v36, v235, v240
	v_mul_lo_u32 v240, v240, v210
	v_fma_mix_f32 v239, v209, v236, 0 op_sel:[0,1,0] op_sel_hi:[0,1,0]
	v_cvt_f32_i32_e32 v238, v238
	v_fma_mix_f32 v239, v211, v237, v239 op_sel:[0,1,0] op_sel_hi:[0,1,0]
	v_cvt_f32_i32_e32 v240, v240
	v_mul_f32_e32 v239, v239, v198
	v_fma_mix_f32 v238, v238, v236, 0 op_sel_hi:[0,1,0]
	v_fma_mix_f32 v238, v240, v237, v238 op_sel_hi:[0,1,0]
	v_fma_f32 v238, v238, v199, -v239
	v_add_f32_e32 v103, v103, v238
	v_dot4_i32_i8 v238, v37, v220, 0
	v_dot4_i32_i8 v220, v53, v220, 0
	;; [unrolled: 1-line block ×24, first 2 shown]
	v_mul_lo_u32 v220, v220, v216
	v_dot4_i32_i8 v222, v68, v235, v222
	v_dot4_i32_i8 v238, v42, v225, v238
	;; [unrolled: 1-line block ×3, first 2 shown]
	v_mul_lo_u32 v222, v222, v218
	v_dot4_i32_i8 v238, v43, v226, v238
	v_dot4_i32_i8 v240, v50, v233, v240
	;; [unrolled: 1-line block ×4, first 2 shown]
	v_mul_lo_u32 v238, v238, v212
	v_dot4_i32_i8 v240, v52, v235, v240
	v_cvt_f32_i32_e32 v220, v220
	v_mul_lo_u32 v240, v240, v214
	v_cvt_f32_i32_e32 v222, v222
	v_fma_mix_f32 v221, v217, v236, 0 op_sel:[0,1,0] op_sel_hi:[0,1,0]
	v_cvt_f32_i32_e32 v238, v238
	v_fma_mix_f32 v220, v220, v236, 0 op_sel_hi:[0,1,0]
	v_fma_mix_f32 v221, v219, v237, v221 op_sel:[0,1,0] op_sel_hi:[0,1,0]
	v_cvt_f32_i32_e32 v240, v240
	v_fma_mix_f32 v220, v222, v237, v220 op_sel_hi:[0,1,0]
	v_mul_f32_e32 v221, v221, v202
	v_fma_f32 v220, v220, v203, -v221
	v_fma_mix_f32 v239, v213, v236, 0 op_sel:[0,1,0] op_sel_hi:[0,1,0]
	v_add_f32_e32 v95, v95, v220
	v_or_b32_e32 v220, s19, v152
	v_fma_mix_f32 v238, v238, v236, 0 op_sel_hi:[0,1,0]
	v_fma_mix_f32 v239, v215, v237, v239 op_sel:[0,1,0] op_sel_hi:[0,1,0]
	v_lshlrev_b32_e32 v232, 2, v220
	v_lshrrev_b32_e32 v236, 1, v220
	v_fma_mix_f32 v238, v240, v237, v238 op_sel_hi:[0,1,0]
	v_mul_f32_e32 v239, v239, v200
	ds_read_b128 v[220:223], v232 offset:33280
	ds_read_b128 v[224:227], v232 offset:33296
	;; [unrolled: 1-line block ×4, first 2 shown]
	ds_read_b64 v[236:237], v236 offset:43584
	v_fma_f32 v238, v238, v201, -v239
	v_add_f32_e32 v96, v96, v238
	s_waitcnt lgkmcnt(4)
	v_dot4_i32_i8 v238, v5, v220, 0
	v_dot4_i32_i8 v238, v6, v221, v238
	s_waitcnt lgkmcnt(2)
	v_dot4_i32_i8 v240, v13, v228, 0
	v_dot4_i32_i8 v238, v7, v222, v238
	;; [unrolled: 1-line block ×8, first 2 shown]
	s_waitcnt lgkmcnt(1)
	v_dot4_i32_i8 v240, v17, v232, v240
	v_dot4_i32_i8 v238, v11, v226, v238
	;; [unrolled: 1-line block ×5, first 2 shown]
	v_mul_lo_u32 v238, v238, v207
	v_dot4_i32_i8 v240, v20, v235, v240
	v_mul_lo_u32 v240, v240, v205
	s_waitcnt lgkmcnt(0)
	v_fma_mix_f32 v239, v204, v236, 0 op_sel:[0,1,0] op_sel_hi:[0,1,0]
	v_cvt_f32_i32_e32 v238, v238
	v_fma_mix_f32 v239, v206, v237, v239 op_sel:[0,1,0] op_sel_hi:[0,1,0]
	v_cvt_f32_i32_e32 v240, v240
	v_mul_f32_e32 v239, v239, v197
	v_fma_mix_f32 v238, v238, v236, 0 op_sel_hi:[0,1,0]
	v_fma_mix_f32 v238, v240, v237, v238 op_sel_hi:[0,1,0]
	v_fma_f32 v238, v238, v196, -v239
	v_add_f32_e32 v94, v94, v238
	v_dot4_i32_i8 v238, v21, v220, 0
	v_dot4_i32_i8 v238, v22, v221, v238
	;; [unrolled: 1-line block ×15, first 2 shown]
	v_mul_lo_u32 v238, v238, v208
	v_dot4_i32_i8 v240, v36, v235, v240
	v_mul_lo_u32 v240, v240, v210
	v_fma_mix_f32 v239, v209, v236, 0 op_sel:[0,1,0] op_sel_hi:[0,1,0]
	v_cvt_f32_i32_e32 v238, v238
	v_fma_mix_f32 v239, v211, v237, v239 op_sel:[0,1,0] op_sel_hi:[0,1,0]
	v_cvt_f32_i32_e32 v240, v240
	v_mul_f32_e32 v239, v239, v198
	v_fma_mix_f32 v238, v238, v236, 0 op_sel_hi:[0,1,0]
	v_fma_mix_f32 v238, v240, v237, v238 op_sel_hi:[0,1,0]
	v_fma_f32 v238, v238, v199, -v239
	v_add_f32_e32 v92, v92, v238
	v_dot4_i32_i8 v238, v37, v220, 0
	v_dot4_i32_i8 v220, v53, v220, 0
	;; [unrolled: 1-line block ×24, first 2 shown]
	v_mul_lo_u32 v220, v220, v216
	v_dot4_i32_i8 v222, v68, v235, v222
	v_dot4_i32_i8 v238, v42, v225, v238
	;; [unrolled: 1-line block ×3, first 2 shown]
	v_mul_lo_u32 v222, v222, v218
	v_dot4_i32_i8 v238, v43, v226, v238
	v_dot4_i32_i8 v240, v50, v233, v240
	;; [unrolled: 1-line block ×4, first 2 shown]
	v_mul_lo_u32 v238, v238, v212
	v_dot4_i32_i8 v240, v52, v235, v240
	v_cvt_f32_i32_e32 v220, v220
	v_mul_lo_u32 v240, v240, v214
	v_cvt_f32_i32_e32 v222, v222
	v_fma_mix_f32 v221, v217, v236, 0 op_sel:[0,1,0] op_sel_hi:[0,1,0]
	v_cvt_f32_i32_e32 v238, v238
	v_fma_mix_f32 v220, v220, v236, 0 op_sel_hi:[0,1,0]
	v_fma_mix_f32 v221, v219, v237, v221 op_sel:[0,1,0] op_sel_hi:[0,1,0]
	v_cvt_f32_i32_e32 v240, v240
	v_fma_mix_f32 v220, v222, v237, v220 op_sel_hi:[0,1,0]
	v_mul_f32_e32 v221, v221, v202
	v_fma_f32 v220, v220, v203, -v221
	v_fma_mix_f32 v239, v213, v236, 0 op_sel:[0,1,0] op_sel_hi:[0,1,0]
	v_add_f32_e32 v89, v89, v220
	v_or_b32_e32 v220, s19, v153
	v_fma_mix_f32 v238, v238, v236, 0 op_sel_hi:[0,1,0]
	v_fma_mix_f32 v239, v215, v237, v239 op_sel:[0,1,0] op_sel_hi:[0,1,0]
	v_lshlrev_b32_e32 v232, 2, v220
	v_lshrrev_b32_e32 v236, 1, v220
	v_fma_mix_f32 v238, v240, v237, v238 op_sel_hi:[0,1,0]
	v_mul_f32_e32 v239, v239, v200
	ds_read_b128 v[220:223], v232 offset:33280
	ds_read_b128 v[224:227], v232 offset:33296
	;; [unrolled: 1-line block ×4, first 2 shown]
	ds_read_b64 v[236:237], v236 offset:43584
	v_fma_f32 v238, v238, v201, -v239
	v_add_f32_e32 v90, v90, v238
	s_waitcnt lgkmcnt(4)
	v_dot4_i32_i8 v238, v5, v220, 0
	v_dot4_i32_i8 v238, v6, v221, v238
	s_waitcnt lgkmcnt(2)
	v_dot4_i32_i8 v240, v13, v228, 0
	v_dot4_i32_i8 v238, v7, v222, v238
	v_dot4_i32_i8 v240, v14, v229, v240
	v_dot4_i32_i8 v238, v8, v223, v238
	v_dot4_i32_i8 v240, v15, v230, v240
	v_dot4_i32_i8 v238, v9, v224, v238
	v_dot4_i32_i8 v240, v16, v231, v240
	v_dot4_i32_i8 v238, v10, v225, v238
	s_waitcnt lgkmcnt(1)
	v_dot4_i32_i8 v240, v17, v232, v240
	v_dot4_i32_i8 v238, v11, v226, v238
	;; [unrolled: 1-line block ×5, first 2 shown]
	v_mul_lo_u32 v238, v238, v207
	v_dot4_i32_i8 v240, v20, v235, v240
	v_mul_lo_u32 v240, v240, v205
	s_waitcnt lgkmcnt(0)
	v_fma_mix_f32 v239, v204, v236, 0 op_sel:[0,1,0] op_sel_hi:[0,1,0]
	v_cvt_f32_i32_e32 v238, v238
	v_fma_mix_f32 v239, v206, v237, v239 op_sel:[0,1,0] op_sel_hi:[0,1,0]
	v_cvt_f32_i32_e32 v240, v240
	v_mul_f32_e32 v239, v239, v197
	v_fma_mix_f32 v238, v238, v236, 0 op_sel_hi:[0,1,0]
	v_fma_mix_f32 v238, v240, v237, v238 op_sel_hi:[0,1,0]
	v_fma_f32 v238, v238, v196, -v239
	v_add_f32_e32 v88, v88, v238
	v_dot4_i32_i8 v238, v21, v220, 0
	v_dot4_i32_i8 v238, v22, v221, v238
	;; [unrolled: 1-line block ×15, first 2 shown]
	v_mul_lo_u32 v238, v238, v208
	v_dot4_i32_i8 v240, v36, v235, v240
	v_mul_lo_u32 v240, v240, v210
	v_fma_mix_f32 v239, v209, v236, 0 op_sel:[0,1,0] op_sel_hi:[0,1,0]
	v_cvt_f32_i32_e32 v238, v238
	v_fma_mix_f32 v239, v211, v237, v239 op_sel:[0,1,0] op_sel_hi:[0,1,0]
	v_cvt_f32_i32_e32 v240, v240
	v_mul_f32_e32 v239, v239, v198
	v_fma_mix_f32 v238, v238, v236, 0 op_sel_hi:[0,1,0]
	v_fma_mix_f32 v238, v240, v237, v238 op_sel_hi:[0,1,0]
	v_fma_f32 v238, v238, v199, -v239
	v_add_f32_e32 v87, v87, v238
	v_dot4_i32_i8 v238, v37, v220, 0
	v_dot4_i32_i8 v220, v53, v220, 0
	;; [unrolled: 1-line block ×24, first 2 shown]
	v_mul_lo_u32 v220, v220, v216
	v_dot4_i32_i8 v222, v68, v235, v222
	v_dot4_i32_i8 v238, v42, v225, v238
	;; [unrolled: 1-line block ×3, first 2 shown]
	v_mul_lo_u32 v222, v222, v218
	v_dot4_i32_i8 v238, v43, v226, v238
	v_dot4_i32_i8 v240, v50, v233, v240
	;; [unrolled: 1-line block ×4, first 2 shown]
	v_mul_lo_u32 v238, v238, v212
	v_dot4_i32_i8 v240, v52, v235, v240
	v_cvt_f32_i32_e32 v220, v220
	v_mul_lo_u32 v240, v240, v214
	v_cvt_f32_i32_e32 v222, v222
	v_fma_mix_f32 v221, v217, v236, 0 op_sel:[0,1,0] op_sel_hi:[0,1,0]
	v_cvt_f32_i32_e32 v238, v238
	v_fma_mix_f32 v220, v220, v236, 0 op_sel_hi:[0,1,0]
	v_fma_mix_f32 v221, v219, v237, v221 op_sel:[0,1,0] op_sel_hi:[0,1,0]
	v_cvt_f32_i32_e32 v240, v240
	v_fma_mix_f32 v220, v222, v237, v220 op_sel_hi:[0,1,0]
	v_mul_f32_e32 v221, v221, v202
	v_fma_f32 v220, v220, v203, -v221
	v_fma_mix_f32 v239, v213, v236, 0 op_sel:[0,1,0] op_sel_hi:[0,1,0]
	v_add_f32_e32 v85, v85, v220
	v_or_b32_e32 v220, s19, v154
	v_fma_mix_f32 v238, v238, v236, 0 op_sel_hi:[0,1,0]
	v_fma_mix_f32 v239, v215, v237, v239 op_sel:[0,1,0] op_sel_hi:[0,1,0]
	v_lshlrev_b32_e32 v232, 2, v220
	v_lshrrev_b32_e32 v236, 1, v220
	v_fma_mix_f32 v238, v240, v237, v238 op_sel_hi:[0,1,0]
	v_mul_f32_e32 v239, v239, v200
	ds_read_b128 v[220:223], v232 offset:33280
	ds_read_b128 v[224:227], v232 offset:33296
	;; [unrolled: 1-line block ×4, first 2 shown]
	ds_read_b64 v[236:237], v236 offset:43584
	v_fma_f32 v238, v238, v201, -v239
	v_add_f32_e32 v86, v86, v238
	s_waitcnt lgkmcnt(4)
	v_dot4_i32_i8 v238, v5, v220, 0
	v_dot4_i32_i8 v238, v6, v221, v238
	s_waitcnt lgkmcnt(2)
	v_dot4_i32_i8 v240, v13, v228, 0
	v_dot4_i32_i8 v238, v7, v222, v238
	;; [unrolled: 1-line block ×8, first 2 shown]
	s_waitcnt lgkmcnt(1)
	v_dot4_i32_i8 v240, v17, v232, v240
	v_dot4_i32_i8 v238, v11, v226, v238
	;; [unrolled: 1-line block ×5, first 2 shown]
	v_mul_lo_u32 v238, v238, v207
	v_dot4_i32_i8 v240, v20, v235, v240
	v_mul_lo_u32 v240, v240, v205
	s_waitcnt lgkmcnt(0)
	v_fma_mix_f32 v239, v204, v236, 0 op_sel:[0,1,0] op_sel_hi:[0,1,0]
	v_cvt_f32_i32_e32 v238, v238
	v_fma_mix_f32 v239, v206, v237, v239 op_sel:[0,1,0] op_sel_hi:[0,1,0]
	v_cvt_f32_i32_e32 v240, v240
	v_mul_f32_e32 v239, v239, v197
	v_fma_mix_f32 v238, v238, v236, 0 op_sel_hi:[0,1,0]
	v_fma_mix_f32 v238, v240, v237, v238 op_sel_hi:[0,1,0]
	v_fma_f32 v238, v238, v196, -v239
	v_add_f32_e32 v84, v84, v238
	v_dot4_i32_i8 v238, v21, v220, 0
	v_dot4_i32_i8 v238, v22, v221, v238
	;; [unrolled: 1-line block ×15, first 2 shown]
	v_mul_lo_u32 v238, v238, v208
	v_dot4_i32_i8 v240, v36, v235, v240
	v_mul_lo_u32 v240, v240, v210
	v_fma_mix_f32 v239, v209, v236, 0 op_sel:[0,1,0] op_sel_hi:[0,1,0]
	v_cvt_f32_i32_e32 v238, v238
	v_fma_mix_f32 v239, v211, v237, v239 op_sel:[0,1,0] op_sel_hi:[0,1,0]
	v_cvt_f32_i32_e32 v240, v240
	v_mul_f32_e32 v239, v239, v198
	v_fma_mix_f32 v238, v238, v236, 0 op_sel_hi:[0,1,0]
	v_fma_mix_f32 v238, v240, v237, v238 op_sel_hi:[0,1,0]
	v_fma_f32 v238, v238, v199, -v239
	v_add_f32_e32 v83, v83, v238
	v_dot4_i32_i8 v238, v37, v220, 0
	v_dot4_i32_i8 v220, v53, v220, 0
	v_dot4_i32_i8 v238, v38, v221, v238
	v_dot4_i32_i8 v220, v54, v221, v220
	v_dot4_i32_i8 v238, v39, v222, v238
	v_dot4_i32_i8 v220, v55, v222, v220
	v_dot4_i32_i8 v222, v61, v228, 0
	v_dot4_i32_i8 v222, v62, v229, v222
	v_dot4_i32_i8 v220, v56, v223, v220
	v_dot4_i32_i8 v222, v63, v230, v222
	v_dot4_i32_i8 v220, v57, v224, v220
	v_dot4_i32_i8 v222, v64, v231, v222
	v_dot4_i32_i8 v240, v45, v228, 0
	v_dot4_i32_i8 v220, v58, v225, v220
	v_dot4_i32_i8 v222, v65, v232, v222
	v_dot4_i32_i8 v240, v46, v229, v240
	v_dot4_i32_i8 v220, v59, v226, v220
	v_dot4_i32_i8 v222, v66, v233, v222
	v_dot4_i32_i8 v238, v40, v223, v238
	v_dot4_i32_i8 v240, v47, v230, v240
	v_dot4_i32_i8 v220, v60, v227, v220
	v_dot4_i32_i8 v222, v67, v234, v222
	v_dot4_i32_i8 v238, v41, v224, v238
	v_dot4_i32_i8 v240, v48, v231, v240
	v_mul_lo_u32 v220, v220, v216
	v_dot4_i32_i8 v222, v68, v235, v222
	v_dot4_i32_i8 v238, v42, v225, v238
	;; [unrolled: 1-line block ×3, first 2 shown]
	v_mul_lo_u32 v222, v222, v218
	v_dot4_i32_i8 v238, v43, v226, v238
	v_dot4_i32_i8 v240, v50, v233, v240
	;; [unrolled: 1-line block ×4, first 2 shown]
	v_mul_lo_u32 v238, v238, v212
	v_dot4_i32_i8 v240, v52, v235, v240
	v_cvt_f32_i32_e32 v220, v220
	v_mul_lo_u32 v240, v240, v214
	v_cvt_f32_i32_e32 v222, v222
	v_fma_mix_f32 v221, v217, v236, 0 op_sel:[0,1,0] op_sel_hi:[0,1,0]
	v_cvt_f32_i32_e32 v238, v238
	v_fma_mix_f32 v220, v220, v236, 0 op_sel_hi:[0,1,0]
	v_fma_mix_f32 v221, v219, v237, v221 op_sel:[0,1,0] op_sel_hi:[0,1,0]
	v_cvt_f32_i32_e32 v240, v240
	v_fma_mix_f32 v220, v222, v237, v220 op_sel_hi:[0,1,0]
	v_mul_f32_e32 v221, v221, v202
	v_fma_f32 v220, v220, v203, -v221
	v_fma_mix_f32 v239, v213, v236, 0 op_sel:[0,1,0] op_sel_hi:[0,1,0]
	v_add_f32_e32 v81, v81, v220
	v_or_b32_e32 v220, s19, v155
	v_fma_mix_f32 v238, v238, v236, 0 op_sel_hi:[0,1,0]
	v_fma_mix_f32 v239, v215, v237, v239 op_sel:[0,1,0] op_sel_hi:[0,1,0]
	v_lshlrev_b32_e32 v232, 2, v220
	v_lshrrev_b32_e32 v236, 1, v220
	v_fma_mix_f32 v238, v240, v237, v238 op_sel_hi:[0,1,0]
	v_mul_f32_e32 v239, v239, v200
	ds_read_b128 v[220:223], v232 offset:33280
	ds_read_b128 v[224:227], v232 offset:33296
	;; [unrolled: 1-line block ×4, first 2 shown]
	ds_read_b64 v[236:237], v236 offset:43584
	v_fma_f32 v238, v238, v201, -v239
	v_add_f32_e32 v82, v82, v238
	s_waitcnt lgkmcnt(4)
	v_dot4_i32_i8 v238, v5, v220, 0
	v_dot4_i32_i8 v238, v6, v221, v238
	s_waitcnt lgkmcnt(2)
	v_dot4_i32_i8 v240, v13, v228, 0
	v_dot4_i32_i8 v238, v7, v222, v238
	v_dot4_i32_i8 v240, v14, v229, v240
	v_dot4_i32_i8 v238, v8, v223, v238
	v_dot4_i32_i8 v240, v15, v230, v240
	v_dot4_i32_i8 v238, v9, v224, v238
	v_dot4_i32_i8 v240, v16, v231, v240
	v_dot4_i32_i8 v238, v10, v225, v238
	s_waitcnt lgkmcnt(1)
	v_dot4_i32_i8 v240, v17, v232, v240
	v_dot4_i32_i8 v238, v11, v226, v238
	;; [unrolled: 1-line block ×5, first 2 shown]
	v_mul_lo_u32 v238, v238, v207
	v_dot4_i32_i8 v240, v20, v235, v240
	v_mul_lo_u32 v240, v240, v205
	s_waitcnt lgkmcnt(0)
	v_fma_mix_f32 v239, v204, v236, 0 op_sel:[0,1,0] op_sel_hi:[0,1,0]
	v_cvt_f32_i32_e32 v238, v238
	v_fma_mix_f32 v239, v206, v237, v239 op_sel:[0,1,0] op_sel_hi:[0,1,0]
	v_cvt_f32_i32_e32 v240, v240
	v_mul_f32_e32 v239, v239, v197
	v_fma_mix_f32 v238, v238, v236, 0 op_sel_hi:[0,1,0]
	v_fma_mix_f32 v238, v240, v237, v238 op_sel_hi:[0,1,0]
	v_fma_f32 v238, v238, v196, -v239
	v_add_f32_e32 v80, v80, v238
	v_dot4_i32_i8 v238, v21, v220, 0
	v_dot4_i32_i8 v238, v22, v221, v238
	;; [unrolled: 1-line block ×15, first 2 shown]
	v_mul_lo_u32 v238, v238, v208
	v_dot4_i32_i8 v240, v36, v235, v240
	v_mul_lo_u32 v240, v240, v210
	v_fma_mix_f32 v239, v209, v236, 0 op_sel:[0,1,0] op_sel_hi:[0,1,0]
	v_cvt_f32_i32_e32 v238, v238
	v_fma_mix_f32 v239, v211, v237, v239 op_sel:[0,1,0] op_sel_hi:[0,1,0]
	v_cvt_f32_i32_e32 v240, v240
	v_mul_f32_e32 v239, v239, v198
	v_fma_mix_f32 v238, v238, v236, 0 op_sel_hi:[0,1,0]
	v_fma_mix_f32 v238, v240, v237, v238 op_sel_hi:[0,1,0]
	v_fma_f32 v238, v238, v199, -v239
	v_add_f32_e32 v79, v79, v238
	v_dot4_i32_i8 v238, v37, v220, 0
	v_dot4_i32_i8 v220, v53, v220, 0
	;; [unrolled: 1-line block ×24, first 2 shown]
	v_mul_lo_u32 v220, v220, v216
	v_dot4_i32_i8 v222, v68, v235, v222
	v_dot4_i32_i8 v238, v42, v225, v238
	;; [unrolled: 1-line block ×3, first 2 shown]
	v_mul_lo_u32 v222, v222, v218
	v_dot4_i32_i8 v238, v43, v226, v238
	v_dot4_i32_i8 v240, v50, v233, v240
	;; [unrolled: 1-line block ×4, first 2 shown]
	v_mul_lo_u32 v238, v238, v212
	v_dot4_i32_i8 v240, v52, v235, v240
	v_cvt_f32_i32_e32 v220, v220
	v_mul_lo_u32 v240, v240, v214
	v_cvt_f32_i32_e32 v222, v222
	v_fma_mix_f32 v221, v217, v236, 0 op_sel:[0,1,0] op_sel_hi:[0,1,0]
	v_cvt_f32_i32_e32 v238, v238
	v_fma_mix_f32 v220, v220, v236, 0 op_sel_hi:[0,1,0]
	v_fma_mix_f32 v221, v219, v237, v221 op_sel:[0,1,0] op_sel_hi:[0,1,0]
	v_cvt_f32_i32_e32 v240, v240
	v_fma_mix_f32 v220, v222, v237, v220 op_sel_hi:[0,1,0]
	v_mul_f32_e32 v221, v221, v202
	v_fma_f32 v220, v220, v203, -v221
	v_fma_mix_f32 v239, v213, v236, 0 op_sel:[0,1,0] op_sel_hi:[0,1,0]
	v_add_f32_e32 v77, v77, v220
	v_or_b32_e32 v220, s19, v156
	v_fma_mix_f32 v238, v238, v236, 0 op_sel_hi:[0,1,0]
	v_fma_mix_f32 v239, v215, v237, v239 op_sel:[0,1,0] op_sel_hi:[0,1,0]
	v_lshlrev_b32_e32 v232, 2, v220
	v_lshrrev_b32_e32 v236, 1, v220
	v_fma_mix_f32 v238, v240, v237, v238 op_sel_hi:[0,1,0]
	v_mul_f32_e32 v239, v239, v200
	ds_read_b128 v[220:223], v232 offset:33280
	ds_read_b128 v[224:227], v232 offset:33296
	;; [unrolled: 1-line block ×4, first 2 shown]
	ds_read_b64 v[236:237], v236 offset:43584
	v_fma_f32 v238, v238, v201, -v239
	v_add_f32_e32 v78, v78, v238
	s_waitcnt lgkmcnt(4)
	v_dot4_i32_i8 v238, v5, v220, 0
	v_dot4_i32_i8 v238, v6, v221, v238
	s_waitcnt lgkmcnt(2)
	v_dot4_i32_i8 v240, v13, v228, 0
	v_dot4_i32_i8 v238, v7, v222, v238
	;; [unrolled: 1-line block ×8, first 2 shown]
	s_waitcnt lgkmcnt(1)
	v_dot4_i32_i8 v240, v17, v232, v240
	v_dot4_i32_i8 v238, v11, v226, v238
	;; [unrolled: 1-line block ×5, first 2 shown]
	v_mul_lo_u32 v238, v238, v207
	v_dot4_i32_i8 v240, v20, v235, v240
	v_mul_lo_u32 v240, v240, v205
	s_waitcnt lgkmcnt(0)
	v_fma_mix_f32 v239, v204, v236, 0 op_sel:[0,1,0] op_sel_hi:[0,1,0]
	v_cvt_f32_i32_e32 v238, v238
	v_fma_mix_f32 v239, v206, v237, v239 op_sel:[0,1,0] op_sel_hi:[0,1,0]
	v_cvt_f32_i32_e32 v240, v240
	v_mul_f32_e32 v239, v239, v197
	v_fma_mix_f32 v238, v238, v236, 0 op_sel_hi:[0,1,0]
	v_fma_mix_f32 v238, v240, v237, v238 op_sel_hi:[0,1,0]
	v_fma_f32 v238, v238, v196, -v239
	v_add_f32_e32 v76, v76, v238
	v_dot4_i32_i8 v238, v21, v220, 0
	v_dot4_i32_i8 v238, v22, v221, v238
	v_dot4_i32_i8 v240, v29, v228, 0
	v_dot4_i32_i8 v238, v23, v222, v238
	v_dot4_i32_i8 v240, v30, v229, v240
	v_dot4_i32_i8 v238, v24, v223, v238
	v_dot4_i32_i8 v240, v31, v230, v240
	v_dot4_i32_i8 v238, v25, v224, v238
	v_dot4_i32_i8 v240, v32, v231, v240
	v_dot4_i32_i8 v238, v26, v225, v238
	v_dot4_i32_i8 v240, v33, v232, v240
	v_dot4_i32_i8 v238, v27, v226, v238
	v_dot4_i32_i8 v240, v34, v233, v240
	v_dot4_i32_i8 v238, v28, v227, v238
	v_dot4_i32_i8 v240, v35, v234, v240
	v_mul_lo_u32 v238, v238, v208
	v_dot4_i32_i8 v240, v36, v235, v240
	v_mul_lo_u32 v240, v240, v210
	v_fma_mix_f32 v239, v209, v236, 0 op_sel:[0,1,0] op_sel_hi:[0,1,0]
	v_cvt_f32_i32_e32 v238, v238
	v_fma_mix_f32 v239, v211, v237, v239 op_sel:[0,1,0] op_sel_hi:[0,1,0]
	v_cvt_f32_i32_e32 v240, v240
	v_mul_f32_e32 v239, v239, v198
	v_fma_mix_f32 v238, v238, v236, 0 op_sel_hi:[0,1,0]
	v_fma_mix_f32 v238, v240, v237, v238 op_sel_hi:[0,1,0]
	v_fma_f32 v238, v238, v199, -v239
	v_add_f32_e32 v75, v75, v238
	v_dot4_i32_i8 v238, v37, v220, 0
	v_dot4_i32_i8 v220, v53, v220, 0
	;; [unrolled: 1-line block ×24, first 2 shown]
	v_mul_lo_u32 v220, v220, v216
	v_dot4_i32_i8 v222, v68, v235, v222
	v_dot4_i32_i8 v238, v42, v225, v238
	;; [unrolled: 1-line block ×3, first 2 shown]
	v_mul_lo_u32 v222, v222, v218
	v_dot4_i32_i8 v238, v43, v226, v238
	v_dot4_i32_i8 v240, v50, v233, v240
	;; [unrolled: 1-line block ×4, first 2 shown]
	v_mul_lo_u32 v238, v238, v212
	v_dot4_i32_i8 v240, v52, v235, v240
	v_cvt_f32_i32_e32 v220, v220
	v_mul_lo_u32 v240, v240, v214
	v_cvt_f32_i32_e32 v222, v222
	v_fma_mix_f32 v221, v217, v236, 0 op_sel:[0,1,0] op_sel_hi:[0,1,0]
	v_cvt_f32_i32_e32 v238, v238
	v_fma_mix_f32 v220, v220, v236, 0 op_sel_hi:[0,1,0]
	v_fma_mix_f32 v221, v219, v237, v221 op_sel:[0,1,0] op_sel_hi:[0,1,0]
	v_cvt_f32_i32_e32 v240, v240
	v_fma_mix_f32 v220, v222, v237, v220 op_sel_hi:[0,1,0]
	v_mul_f32_e32 v221, v221, v202
	v_fma_f32 v220, v220, v203, -v221
	v_add_f32_e32 v73, v73, v220
	v_or_b32_e32 v220, s19, v157
	v_fma_mix_f32 v238, v238, v236, 0 op_sel_hi:[0,1,0]
	v_fma_mix_f32 v239, v213, v236, 0 op_sel:[0,1,0] op_sel_hi:[0,1,0]
	v_lshlrev_b32_e32 v232, 2, v220
	v_lshrrev_b32_e32 v236, 1, v220
	v_fma_mix_f32 v238, v240, v237, v238 op_sel_hi:[0,1,0]
	v_fma_mix_f32 v239, v215, v237, v239 op_sel:[0,1,0] op_sel_hi:[0,1,0]
	ds_read_b128 v[220:223], v232 offset:33280
	ds_read_b128 v[224:227], v232 offset:33296
	;; [unrolled: 1-line block ×4, first 2 shown]
	ds_read_b64 v[236:237], v236 offset:43584
	s_waitcnt lgkmcnt(4)
	v_dot4_i32_i8 v5, v5, v220, 0
	v_dot4_i32_i8 v5, v6, v221, v5
	;; [unrolled: 1-line block ×3, first 2 shown]
	s_waitcnt lgkmcnt(2)
	v_dot4_i32_i8 v7, v13, v228, 0
	v_dot4_i32_i8 v7, v14, v229, v7
	;; [unrolled: 1-line block ×7, first 2 shown]
	s_waitcnt lgkmcnt(1)
	v_dot4_i32_i8 v7, v17, v232, v7
	v_dot4_i32_i8 v5, v11, v226, v5
	;; [unrolled: 1-line block ×5, first 2 shown]
	v_mul_lo_u32 v5, v5, v207
	v_dot4_i32_i8 v7, v20, v235, v7
	v_mul_lo_u32 v7, v7, v205
	s_waitcnt lgkmcnt(0)
	v_fma_mix_f32 v6, v204, v236, 0 op_sel:[0,1,0] op_sel_hi:[0,1,0]
	v_cvt_f32_i32_e32 v5, v5
	v_fma_mix_f32 v6, v206, v237, v6 op_sel:[0,1,0] op_sel_hi:[0,1,0]
	v_cvt_f32_i32_e32 v7, v7
	v_mul_f32_e32 v6, v6, v197
	v_fma_mix_f32 v5, v5, v236, 0 op_sel_hi:[0,1,0]
	v_mul_f32_e32 v239, v239, v200
	v_fma_mix_f32 v5, v7, v237, v5 op_sel_hi:[0,1,0]
	v_fma_f32 v5, v5, v196, -v6
	v_add_f32_e32 v72, v72, v5
	v_dot4_i32_i8 v5, v21, v220, 0
	v_dot4_i32_i8 v5, v22, v221, v5
	;; [unrolled: 1-line block ×15, first 2 shown]
	v_mul_lo_u32 v5, v5, v208
	v_dot4_i32_i8 v7, v36, v235, v7
	v_mul_lo_u32 v7, v7, v210
	v_fma_mix_f32 v6, v209, v236, 0 op_sel:[0,1,0] op_sel_hi:[0,1,0]
	v_cvt_f32_i32_e32 v5, v5
	v_fma_mix_f32 v6, v211, v237, v6 op_sel:[0,1,0] op_sel_hi:[0,1,0]
	v_cvt_f32_i32_e32 v7, v7
	v_mul_f32_e32 v6, v6, v198
	v_fma_mix_f32 v5, v5, v236, 0 op_sel_hi:[0,1,0]
	v_fma_f32 v238, v238, v201, -v239
	v_fma_mix_f32 v5, v7, v237, v5 op_sel_hi:[0,1,0]
	v_fma_f32 v5, v5, v199, -v6
	v_add_f32_e32 v71, v71, v5
	v_dot4_i32_i8 v5, v37, v220, 0
	v_dot4_i32_i8 v5, v38, v221, v5
	;; [unrolled: 1-line block ×15, first 2 shown]
	v_mul_lo_u32 v5, v5, v212
	v_dot4_i32_i8 v7, v52, v235, v7
	v_mul_lo_u32 v7, v7, v214
	v_fma_mix_f32 v6, v213, v236, 0 op_sel:[0,1,0] op_sel_hi:[0,1,0]
	v_cvt_f32_i32_e32 v5, v5
	v_fma_mix_f32 v6, v215, v237, v6 op_sel:[0,1,0] op_sel_hi:[0,1,0]
	v_cvt_f32_i32_e32 v7, v7
	v_mul_f32_e32 v6, v6, v200
	v_fma_mix_f32 v5, v5, v236, 0 op_sel_hi:[0,1,0]
	v_add_f32_e32 v74, v74, v238
	v_fma_mix_f32 v5, v7, v237, v5 op_sel_hi:[0,1,0]
	v_fma_f32 v5, v5, v201, -v6
	v_add_f32_e32 v70, v70, v5
	v_dot4_i32_i8 v5, v53, v220, 0
	v_dot4_i32_i8 v5, v54, v221, v5
	;; [unrolled: 1-line block ×15, first 2 shown]
	v_mul_lo_u32 v5, v5, v216
	v_dot4_i32_i8 v7, v68, v235, v7
	v_mul_lo_u32 v7, v7, v218
	v_fma_mix_f32 v6, v217, v236, 0 op_sel:[0,1,0] op_sel_hi:[0,1,0]
	v_cvt_f32_i32_e32 v5, v5
	v_fma_mix_f32 v6, v219, v237, v6 op_sel:[0,1,0] op_sel_hi:[0,1,0]
	v_cvt_f32_i32_e32 v7, v7
	v_mul_f32_e32 v6, v6, v202
	v_fma_mix_f32 v5, v5, v236, 0 op_sel_hi:[0,1,0]
	v_fma_mix_f32 v5, v7, v237, v5 op_sel_hi:[0,1,0]
	v_fma_f32 v5, v5, v203, -v6
	v_add_f32_e32 v69, v69, v5
	s_cbranch_vccnz .LBB173_6
; %bb.7:                                ;   in Loop: Header=BB173_5 Depth=1
	v_add_u32_e32 v21, s17, v145
	v_add_u32_e32 v19, 4, v195
	;; [unrolled: 1-line block ×3, first 2 shown]
	v_mad_u64_u32 v[19:20], s[0:1], v19, 36, s[2:3]
	v_mad_i64_i32 v[5:6], s[0:1], v5, 36, v[3:4]
	v_add_u32_e32 v7, v21, v137
	v_mad_i64_i32 v[7:8], s[0:1], v7, 36, v[3:4]
	v_add_u32_e32 v9, v21, v138
	v_add_u32_e32 v11, v21, v139
	v_mad_i64_i32 v[9:10], s[0:1], v9, 36, v[3:4]
	v_mad_i64_i32 v[11:12], s[0:1], v11, 36, v[3:4]
	v_add_u32_e32 v13, v21, v140
	v_add_u32_e32 v15, v21, v141
	;; [unrolled: 1-line block ×4, first 2 shown]
	s_barrier
	v_mad_i64_i32 v[13:14], s[0:1], v13, 36, v[3:4]
	v_mad_i64_i32 v[15:16], s[0:1], v15, 36, v[3:4]
	;; [unrolled: 1-line block ×4, first 2 shown]
	global_load_dword v19, v[19:20], off
	s_nop 0
	global_load_dword v5, v[5:6], off offset:4
	s_nop 0
	global_load_dword v6, v[7:8], off offset:4
	;; [unrolled: 2-line block ×3, first 2 shown]
	global_load_dword v8, v[11:12], off offset:4
	s_nop 0
	global_load_dword v9, v[13:14], off offset:4
	global_load_dword v10, v[15:16], off offset:4
	;; [unrolled: 1-line block ×4, first 2 shown]
	s_mov_b32 s0, 16
	s_waitcnt vmcnt(8)
	ds_write_b32 v134, v19
	s_waitcnt vmcnt(7)
	ds_write_b32 v164, v5
	;; [unrolled: 2-line block ×9, first 2 shown]
	s_waitcnt lgkmcnt(0)
	s_barrier
	ds_read_b32 v5, v144
	ds_read_b32 v6, v146 offset:128
	ds_read_b32 v7, v148 offset:256
	ds_read_b32 v8, v150 offset:384
	s_waitcnt lgkmcnt(3)
	v_cvt_f32_f16_e32 v195, v5
	v_cvt_f32_f16_sdwa v196, v5 dst_sel:DWORD dst_unused:UNUSED_PAD src0_sel:WORD_1
	s_waitcnt lgkmcnt(2)
	v_cvt_f32_f16_sdwa v197, v6 dst_sel:DWORD dst_unused:UNUSED_PAD src0_sel:WORD_1
	v_cvt_f32_f16_e32 v198, v6
	s_waitcnt lgkmcnt(1)
	v_cvt_f32_f16_sdwa v199, v7 dst_sel:DWORD dst_unused:UNUSED_PAD src0_sel:WORD_1
	v_cvt_f32_f16_e32 v200, v7
	;; [unrolled: 3-line block ×3, first 2 shown]
.LBB173_8:                              ;   Parent Loop BB173_5 Depth=1
                                        ; =>  This Inner Loop Header: Depth=2
	s_lshr_b32 s1, s0, 2
	s_and_b32 s17, s1, 0x3ffffffe
	s_lshl_b32 s1, s0, 1
	s_and_b32 s1, s1, 16
	v_or_b32_e32 v5, s1, v122
	s_lshl_b32 s18, s0, 3
	v_lshlrev_b32_e32 v6, 2, v5
	v_add_u32_e32 v19, s18, v158
	v_lshrrev_b32_e32 v21, 1, v5
	ds_read_b128 v[55:58], v6 offset:33280
	ds_read_b128 v[59:62], v6 offset:33296
	;; [unrolled: 1-line block ×4, first 2 shown]
	ds_read2_b32 v[5:6], v19 offset1:1
	s_add_i32 s17, s17, 0xa200
	v_add3_u32 v13, s17, v190, v191
	v_add_u32_e32 v35, s18, v159
	v_add3_u32 v29, s17, v192, v187
	s_waitcnt lgkmcnt(0)
	v_dot4_i32_i8 v7, v5, v55, 0
	v_dot4_i32_i8 v9, v6, v56, v7
	ds_read2_b32 v[7:8], v19 offset0:2 offset1:3
	v_add_u32_e32 v51, s18, v160
	v_add3_u32 v45, s17, v193, v188
	s_waitcnt lgkmcnt(0)
	v_dot4_i32_i8 v9, v7, v57, v9
	v_dot4_i32_i8 v11, v8, v58, v9
	ds_read2_b32 v[9:10], v19 offset0:4 offset1:5
	s_waitcnt lgkmcnt(0)
	v_dot4_i32_i8 v11, v9, v59, v11
	v_dot4_i32_i8 v14, v10, v60, v11
	ds_read2_b32 v[11:12], v19 offset0:6 offset1:7
	ds_read_u16 v23, v13
	ds_read_u16 v24, v13 offset:8
	ds_read_b64 v[221:222], v21 offset:43584
	s_waitcnt lgkmcnt(3)
	v_dot4_i32_i8 v14, v11, v61, v14
	v_dot4_i32_i8 v22, v12, v62, v14
	ds_read2_b32 v[13:14], v19 offset0:8 offset1:9
	s_waitcnt lgkmcnt(3)
	v_and_b32_e32 v206, 0xff, v23
	v_lshrrev_b16_e32 v204, 8, v23
	v_mul_lo_u32 v21, v22, v206
	s_waitcnt lgkmcnt(2)
	v_cvt_f32_ubyte0_e32 v203, v24
	s_waitcnt lgkmcnt(0)
	v_dot4_i32_i8 v15, v13, v63, 0
	v_dot4_i32_i8 v17, v14, v64, v15
	ds_read2_b32 v[15:16], v19 offset0:10 offset1:11
	v_cvt_f32_i32_e32 v21, v21
	v_fma_mix_f32 v23, v221, v203, 0 op_sel:[1,0,0] op_sel_hi:[1,0,0]
	v_cvt_f32_ubyte1_e32 v205, v24
	s_waitcnt lgkmcnt(0)
	v_dot4_i32_i8 v17, v15, v65, v17
	v_dot4_i32_i8 v20, v16, v66, v17
	ds_read2_b32 v[17:18], v19 offset0:12 offset1:13
	v_fma_mix_f32 v21, v221, v21, 0 op_sel_hi:[1,0,0]
	s_waitcnt lgkmcnt(0)
	v_dot4_i32_i8 v20, v17, v217, v20
	v_dot4_i32_i8 v25, v18, v218, v20
	ds_read2_b32 v[19:20], v19 offset0:14 offset1:15
	s_waitcnt lgkmcnt(0)
	v_dot4_i32_i8 v25, v19, v219, v25
	v_dot4_i32_i8 v25, v20, v220, v25
	v_mul_lo_u32 v22, v25, v204
	v_cvt_f32_i32_e32 v22, v22
	v_fma_mix_f32 v21, v222, v22, v21 op_sel_hi:[1,0,0]
	v_fma_mix_f32 v22, v222, v205, v23 op_sel:[1,0,0] op_sel_hi:[1,0,0]
	v_mul_f32_e32 v22, v22, v196
	v_fma_f32 v21, v21, v195, -v22
	v_add_f32_e32 v93, v93, v21
	ds_read2_b32 v[21:22], v35 offset1:1
	s_waitcnt lgkmcnt(0)
	v_dot4_i32_i8 v23, v21, v55, 0
	v_dot4_i32_i8 v25, v22, v56, v23
	ds_read2_b32 v[23:24], v35 offset0:2 offset1:3
	s_waitcnt lgkmcnt(0)
	v_dot4_i32_i8 v25, v23, v57, v25
	v_dot4_i32_i8 v27, v24, v58, v25
	ds_read2_b32 v[25:26], v35 offset0:4 offset1:5
	;; [unrolled: 4-line block ×3, first 2 shown]
	ds_read_u16 v37, v29
	ds_read_u16 v38, v29 offset:8
	s_waitcnt lgkmcnt(2)
	v_dot4_i32_i8 v30, v27, v61, v30
	v_dot4_i32_i8 v30, v28, v62, v30
	s_waitcnt lgkmcnt(1)
	v_and_b32_e32 v207, 0xff, v37
	v_mul_lo_u32 v29, v30, v207
	v_lshrrev_b16_e32 v209, 8, v37
	s_waitcnt lgkmcnt(0)
	v_cvt_f32_ubyte0_e32 v208, v38
	v_cvt_f32_ubyte1_e32 v210, v38
	v_cvt_f32_i32_e32 v39, v29
	ds_read2_b32 v[29:30], v35 offset0:8 offset1:9
	v_fma_mix_f32 v38, v221, v208, 0 op_sel:[1,0,0] op_sel_hi:[1,0,0]
	v_fma_mix_f32 v38, v222, v210, v38 op_sel:[1,0,0] op_sel_hi:[1,0,0]
	v_fma_mix_f32 v39, v221, v39, 0 op_sel_hi:[1,0,0]
	v_mul_f32_e32 v38, v38, v197
	s_waitcnt lgkmcnt(0)
	v_dot4_i32_i8 v31, v29, v63, 0
	v_dot4_i32_i8 v33, v30, v64, v31
	ds_read2_b32 v[31:32], v35 offset0:10 offset1:11
	s_waitcnt lgkmcnt(0)
	v_dot4_i32_i8 v33, v31, v65, v33
	v_dot4_i32_i8 v36, v32, v66, v33
	ds_read2_b32 v[33:34], v35 offset0:12 offset1:13
	;; [unrolled: 4-line block ×3, first 2 shown]
	s_waitcnt lgkmcnt(0)
	v_dot4_i32_i8 v40, v35, v219, v40
	v_dot4_i32_i8 v40, v36, v220, v40
	v_mul_lo_u32 v37, v40, v209
	v_cvt_f32_i32_e32 v37, v37
	v_fma_mix_f32 v37, v222, v37, v39 op_sel_hi:[1,0,0]
	v_fma_f32 v37, v37, v198, -v38
	v_add_f32_e32 v133, v133, v37
	ds_read2_b32 v[37:38], v51 offset1:1
	s_waitcnt lgkmcnt(0)
	v_dot4_i32_i8 v39, v37, v55, 0
	v_dot4_i32_i8 v41, v38, v56, v39
	ds_read2_b32 v[39:40], v51 offset0:2 offset1:3
	s_waitcnt lgkmcnt(0)
	v_dot4_i32_i8 v41, v39, v57, v41
	v_dot4_i32_i8 v43, v40, v58, v41
	ds_read2_b32 v[41:42], v51 offset0:4 offset1:5
	;; [unrolled: 4-line block ×3, first 2 shown]
	ds_read_u16 v53, v45
	ds_read_u16 v54, v45 offset:8
	s_waitcnt lgkmcnt(2)
	v_dot4_i32_i8 v46, v43, v61, v46
	v_dot4_i32_i8 v46, v44, v62, v46
	s_waitcnt lgkmcnt(1)
	v_and_b32_e32 v211, 0xff, v53
	v_mul_lo_u32 v45, v46, v211
	v_lshrrev_b16_e32 v213, 8, v53
	s_waitcnt lgkmcnt(0)
	v_cvt_f32_ubyte0_e32 v212, v54
	v_cvt_f32_ubyte1_e32 v214, v54
	v_cvt_f32_i32_e32 v67, v45
	ds_read2_b32 v[45:46], v51 offset0:8 offset1:9
	v_fma_mix_f32 v54, v221, v212, 0 op_sel:[1,0,0] op_sel_hi:[1,0,0]
	v_fma_mix_f32 v54, v222, v214, v54 op_sel:[1,0,0] op_sel_hi:[1,0,0]
	v_fma_mix_f32 v67, v221, v67, 0 op_sel_hi:[1,0,0]
	v_mul_f32_e32 v54, v54, v199
	s_waitcnt lgkmcnt(0)
	v_dot4_i32_i8 v47, v45, v63, 0
	v_dot4_i32_i8 v49, v46, v64, v47
	ds_read2_b32 v[47:48], v51 offset0:10 offset1:11
	s_waitcnt lgkmcnt(0)
	v_dot4_i32_i8 v49, v47, v65, v49
	v_dot4_i32_i8 v52, v48, v66, v49
	ds_read2_b32 v[49:50], v51 offset0:12 offset1:13
	;; [unrolled: 4-line block ×3, first 2 shown]
	s_waitcnt lgkmcnt(0)
	v_dot4_i32_i8 v68, v51, v219, v68
	v_dot4_i32_i8 v68, v52, v220, v68
	v_mul_lo_u32 v53, v68, v213
	v_add_u32_e32 v68, s18, v161
	v_cvt_f32_i32_e32 v53, v53
	v_fma_mix_f32 v53, v222, v53, v67 op_sel_hi:[1,0,0]
	v_fma_f32 v53, v53, v200, -v54
	v_add_f32_e32 v132, v132, v53
	ds_read2_b32 v[53:54], v68 offset1:1
	v_add3_u32 v67, s17, v194, v189
	s_waitcnt lgkmcnt(0)
	v_dot4_i32_i8 v55, v53, v55, 0
	v_dot4_i32_i8 v215, v54, v56, v55
	ds_read2_b32 v[55:56], v68 offset0:2 offset1:3
	s_waitcnt lgkmcnt(0)
	v_dot4_i32_i8 v57, v55, v57, v215
	v_dot4_i32_i8 v215, v56, v58, v57
	ds_read2_b32 v[57:58], v68 offset0:4 offset1:5
	;; [unrolled: 4-line block ×3, first 2 shown]
	ds_read_u16 v223, v67
	ds_read_u16 v224, v67 offset:8
	s_waitcnt lgkmcnt(2)
	v_dot4_i32_i8 v61, v59, v61, v215
	v_dot4_i32_i8 v61, v60, v62, v61
	s_waitcnt lgkmcnt(1)
	v_and_b32_e32 v215, 0xff, v223
	v_mul_lo_u32 v61, v61, v215
	s_waitcnt lgkmcnt(0)
	v_cvt_f32_ubyte0_e32 v216, v224
	v_cvt_f32_i32_e32 v225, v61
	ds_read2_b32 v[61:62], v68 offset0:8 offset1:9
	s_waitcnt lgkmcnt(0)
	v_dot4_i32_i8 v63, v61, v63, 0
	v_dot4_i32_i8 v67, v62, v64, v63
	ds_read2_b32 v[63:64], v68 offset0:10 offset1:11
	s_waitcnt lgkmcnt(0)
	v_dot4_i32_i8 v65, v63, v65, v67
	v_dot4_i32_i8 v67, v64, v66, v65
	;; [unrolled: 4-line block ×4, first 2 shown]
	v_lshrrev_b16_e32 v217, 8, v223
	v_mul_lo_u32 v218, v218, v217
	v_fma_mix_f32 v220, v221, v216, 0 op_sel:[1,0,0] op_sel_hi:[1,0,0]
	v_fma_mix_f32 v221, v221, v225, 0 op_sel_hi:[1,0,0]
	v_cvt_f32_i32_e32 v219, v218
	v_cvt_f32_ubyte1_e32 v218, v224
	v_fma_mix_f32 v220, v222, v218, v220 op_sel:[1,0,0] op_sel_hi:[1,0,0]
	v_mul_f32_e32 v220, v220, v201
	v_fma_mix_f32 v219, v222, v219, v221 op_sel_hi:[1,0,0]
	v_fma_f32 v219, v219, v202, -v220
	v_add_f32_e32 v125, v125, v219
	v_or_b32_e32 v219, s1, v151
	v_lshlrev_b32_e32 v231, 2, v219
	v_lshrrev_b32_e32 v235, 1, v219
	ds_read_b128 v[219:222], v231 offset:33280
	ds_read_b128 v[223:226], v231 offset:33296
	;; [unrolled: 1-line block ×4, first 2 shown]
	ds_read_b64 v[235:236], v235 offset:43584
	s_waitcnt lgkmcnt(4)
	v_dot4_i32_i8 v237, v5, v219, 0
	v_dot4_i32_i8 v237, v6, v220, v237
	s_waitcnt lgkmcnt(2)
	v_dot4_i32_i8 v239, v13, v227, 0
	v_dot4_i32_i8 v237, v7, v221, v237
	;; [unrolled: 1-line block ×8, first 2 shown]
	s_waitcnt lgkmcnt(1)
	v_dot4_i32_i8 v239, v17, v231, v239
	v_dot4_i32_i8 v237, v11, v225, v237
	;; [unrolled: 1-line block ×5, first 2 shown]
	v_mul_lo_u32 v237, v237, v206
	v_dot4_i32_i8 v239, v20, v234, v239
	v_mul_lo_u32 v239, v239, v204
	s_waitcnt lgkmcnt(0)
	v_fma_mix_f32 v238, v203, v235, 0 op_sel:[0,1,0] op_sel_hi:[0,1,0]
	v_cvt_f32_i32_e32 v237, v237
	v_fma_mix_f32 v238, v205, v236, v238 op_sel:[0,1,0] op_sel_hi:[0,1,0]
	v_cvt_f32_i32_e32 v239, v239
	v_mul_f32_e32 v238, v238, v196
	v_fma_mix_f32 v237, v237, v235, 0 op_sel_hi:[0,1,0]
	v_fma_mix_f32 v237, v239, v236, v237 op_sel_hi:[0,1,0]
	v_fma_f32 v237, v237, v195, -v238
	v_add_f32_e32 v112, v112, v237
	v_dot4_i32_i8 v237, v21, v219, 0
	v_dot4_i32_i8 v237, v22, v220, v237
	;; [unrolled: 1-line block ×15, first 2 shown]
	v_mul_lo_u32 v237, v237, v207
	v_dot4_i32_i8 v239, v36, v234, v239
	v_mul_lo_u32 v239, v239, v209
	v_fma_mix_f32 v238, v208, v235, 0 op_sel:[0,1,0] op_sel_hi:[0,1,0]
	v_cvt_f32_i32_e32 v237, v237
	v_fma_mix_f32 v238, v210, v236, v238 op_sel:[0,1,0] op_sel_hi:[0,1,0]
	v_cvt_f32_i32_e32 v239, v239
	v_mul_f32_e32 v238, v238, v197
	v_fma_mix_f32 v237, v237, v235, 0 op_sel_hi:[0,1,0]
	v_fma_mix_f32 v237, v239, v236, v237 op_sel_hi:[0,1,0]
	v_fma_f32 v237, v237, v198, -v238
	v_add_f32_e32 v103, v103, v237
	v_dot4_i32_i8 v237, v37, v219, 0
	v_dot4_i32_i8 v219, v53, v219, 0
	;; [unrolled: 1-line block ×24, first 2 shown]
	v_mul_lo_u32 v219, v219, v215
	v_dot4_i32_i8 v221, v68, v234, v221
	v_dot4_i32_i8 v237, v42, v224, v237
	;; [unrolled: 1-line block ×3, first 2 shown]
	v_mul_lo_u32 v221, v221, v217
	v_dot4_i32_i8 v237, v43, v225, v237
	v_dot4_i32_i8 v239, v50, v232, v239
	;; [unrolled: 1-line block ×4, first 2 shown]
	v_mul_lo_u32 v237, v237, v211
	v_dot4_i32_i8 v239, v52, v234, v239
	v_cvt_f32_i32_e32 v219, v219
	v_mul_lo_u32 v239, v239, v213
	v_cvt_f32_i32_e32 v221, v221
	v_fma_mix_f32 v220, v216, v235, 0 op_sel:[0,1,0] op_sel_hi:[0,1,0]
	v_cvt_f32_i32_e32 v237, v237
	v_fma_mix_f32 v219, v219, v235, 0 op_sel_hi:[0,1,0]
	v_fma_mix_f32 v220, v218, v236, v220 op_sel:[0,1,0] op_sel_hi:[0,1,0]
	v_cvt_f32_i32_e32 v239, v239
	v_fma_mix_f32 v219, v221, v236, v219 op_sel_hi:[0,1,0]
	v_mul_f32_e32 v220, v220, v201
	v_fma_f32 v219, v219, v202, -v220
	v_fma_mix_f32 v238, v212, v235, 0 op_sel:[0,1,0] op_sel_hi:[0,1,0]
	v_add_f32_e32 v95, v95, v219
	v_or_b32_e32 v219, s1, v152
	v_fma_mix_f32 v237, v237, v235, 0 op_sel_hi:[0,1,0]
	v_fma_mix_f32 v238, v214, v236, v238 op_sel:[0,1,0] op_sel_hi:[0,1,0]
	v_lshlrev_b32_e32 v231, 2, v219
	v_lshrrev_b32_e32 v235, 1, v219
	v_fma_mix_f32 v237, v239, v236, v237 op_sel_hi:[0,1,0]
	v_mul_f32_e32 v238, v238, v199
	ds_read_b128 v[219:222], v231 offset:33280
	ds_read_b128 v[223:226], v231 offset:33296
	;; [unrolled: 1-line block ×4, first 2 shown]
	ds_read_b64 v[235:236], v235 offset:43584
	v_fma_f32 v237, v237, v200, -v238
	v_add_f32_e32 v96, v96, v237
	s_waitcnt lgkmcnt(4)
	v_dot4_i32_i8 v237, v5, v219, 0
	v_dot4_i32_i8 v237, v6, v220, v237
	s_waitcnt lgkmcnt(2)
	v_dot4_i32_i8 v239, v13, v227, 0
	v_dot4_i32_i8 v237, v7, v221, v237
	;; [unrolled: 1-line block ×8, first 2 shown]
	s_waitcnt lgkmcnt(1)
	v_dot4_i32_i8 v239, v17, v231, v239
	v_dot4_i32_i8 v237, v11, v225, v237
	;; [unrolled: 1-line block ×5, first 2 shown]
	v_mul_lo_u32 v237, v237, v206
	v_dot4_i32_i8 v239, v20, v234, v239
	v_mul_lo_u32 v239, v239, v204
	s_waitcnt lgkmcnt(0)
	v_fma_mix_f32 v238, v203, v235, 0 op_sel:[0,1,0] op_sel_hi:[0,1,0]
	v_cvt_f32_i32_e32 v237, v237
	v_fma_mix_f32 v238, v205, v236, v238 op_sel:[0,1,0] op_sel_hi:[0,1,0]
	v_cvt_f32_i32_e32 v239, v239
	v_mul_f32_e32 v238, v238, v196
	v_fma_mix_f32 v237, v237, v235, 0 op_sel_hi:[0,1,0]
	v_fma_mix_f32 v237, v239, v236, v237 op_sel_hi:[0,1,0]
	v_fma_f32 v237, v237, v195, -v238
	v_add_f32_e32 v94, v94, v237
	v_dot4_i32_i8 v237, v21, v219, 0
	v_dot4_i32_i8 v237, v22, v220, v237
	;; [unrolled: 1-line block ×15, first 2 shown]
	v_mul_lo_u32 v237, v237, v207
	v_dot4_i32_i8 v239, v36, v234, v239
	v_mul_lo_u32 v239, v239, v209
	v_fma_mix_f32 v238, v208, v235, 0 op_sel:[0,1,0] op_sel_hi:[0,1,0]
	v_cvt_f32_i32_e32 v237, v237
	v_fma_mix_f32 v238, v210, v236, v238 op_sel:[0,1,0] op_sel_hi:[0,1,0]
	v_cvt_f32_i32_e32 v239, v239
	v_mul_f32_e32 v238, v238, v197
	v_fma_mix_f32 v237, v237, v235, 0 op_sel_hi:[0,1,0]
	v_fma_mix_f32 v237, v239, v236, v237 op_sel_hi:[0,1,0]
	v_fma_f32 v237, v237, v198, -v238
	v_add_f32_e32 v92, v92, v237
	v_dot4_i32_i8 v237, v37, v219, 0
	v_dot4_i32_i8 v219, v53, v219, 0
	;; [unrolled: 1-line block ×24, first 2 shown]
	v_mul_lo_u32 v219, v219, v215
	v_dot4_i32_i8 v221, v68, v234, v221
	v_dot4_i32_i8 v237, v42, v224, v237
	;; [unrolled: 1-line block ×3, first 2 shown]
	v_mul_lo_u32 v221, v221, v217
	v_dot4_i32_i8 v237, v43, v225, v237
	v_dot4_i32_i8 v239, v50, v232, v239
	;; [unrolled: 1-line block ×4, first 2 shown]
	v_mul_lo_u32 v237, v237, v211
	v_dot4_i32_i8 v239, v52, v234, v239
	v_cvt_f32_i32_e32 v219, v219
	v_mul_lo_u32 v239, v239, v213
	v_cvt_f32_i32_e32 v221, v221
	v_fma_mix_f32 v220, v216, v235, 0 op_sel:[0,1,0] op_sel_hi:[0,1,0]
	v_cvt_f32_i32_e32 v237, v237
	v_fma_mix_f32 v219, v219, v235, 0 op_sel_hi:[0,1,0]
	v_fma_mix_f32 v220, v218, v236, v220 op_sel:[0,1,0] op_sel_hi:[0,1,0]
	v_cvt_f32_i32_e32 v239, v239
	v_fma_mix_f32 v219, v221, v236, v219 op_sel_hi:[0,1,0]
	v_mul_f32_e32 v220, v220, v201
	v_fma_f32 v219, v219, v202, -v220
	v_fma_mix_f32 v238, v212, v235, 0 op_sel:[0,1,0] op_sel_hi:[0,1,0]
	v_add_f32_e32 v89, v89, v219
	v_or_b32_e32 v219, s1, v153
	v_fma_mix_f32 v237, v237, v235, 0 op_sel_hi:[0,1,0]
	v_fma_mix_f32 v238, v214, v236, v238 op_sel:[0,1,0] op_sel_hi:[0,1,0]
	v_lshlrev_b32_e32 v231, 2, v219
	v_lshrrev_b32_e32 v235, 1, v219
	v_fma_mix_f32 v237, v239, v236, v237 op_sel_hi:[0,1,0]
	v_mul_f32_e32 v238, v238, v199
	ds_read_b128 v[219:222], v231 offset:33280
	ds_read_b128 v[223:226], v231 offset:33296
	;; [unrolled: 1-line block ×4, first 2 shown]
	ds_read_b64 v[235:236], v235 offset:43584
	v_fma_f32 v237, v237, v200, -v238
	v_add_f32_e32 v90, v90, v237
	s_waitcnt lgkmcnt(4)
	v_dot4_i32_i8 v237, v5, v219, 0
	v_dot4_i32_i8 v237, v6, v220, v237
	s_waitcnt lgkmcnt(2)
	v_dot4_i32_i8 v239, v13, v227, 0
	v_dot4_i32_i8 v237, v7, v221, v237
	;; [unrolled: 1-line block ×8, first 2 shown]
	s_waitcnt lgkmcnt(1)
	v_dot4_i32_i8 v239, v17, v231, v239
	v_dot4_i32_i8 v237, v11, v225, v237
	;; [unrolled: 1-line block ×5, first 2 shown]
	v_mul_lo_u32 v237, v237, v206
	v_dot4_i32_i8 v239, v20, v234, v239
	v_mul_lo_u32 v239, v239, v204
	s_waitcnt lgkmcnt(0)
	v_fma_mix_f32 v238, v203, v235, 0 op_sel:[0,1,0] op_sel_hi:[0,1,0]
	v_cvt_f32_i32_e32 v237, v237
	v_fma_mix_f32 v238, v205, v236, v238 op_sel:[0,1,0] op_sel_hi:[0,1,0]
	v_cvt_f32_i32_e32 v239, v239
	v_mul_f32_e32 v238, v238, v196
	v_fma_mix_f32 v237, v237, v235, 0 op_sel_hi:[0,1,0]
	v_fma_mix_f32 v237, v239, v236, v237 op_sel_hi:[0,1,0]
	v_fma_f32 v237, v237, v195, -v238
	v_add_f32_e32 v88, v88, v237
	v_dot4_i32_i8 v237, v21, v219, 0
	v_dot4_i32_i8 v237, v22, v220, v237
	;; [unrolled: 1-line block ×15, first 2 shown]
	v_mul_lo_u32 v237, v237, v207
	v_dot4_i32_i8 v239, v36, v234, v239
	v_mul_lo_u32 v239, v239, v209
	v_fma_mix_f32 v238, v208, v235, 0 op_sel:[0,1,0] op_sel_hi:[0,1,0]
	v_cvt_f32_i32_e32 v237, v237
	v_fma_mix_f32 v238, v210, v236, v238 op_sel:[0,1,0] op_sel_hi:[0,1,0]
	v_cvt_f32_i32_e32 v239, v239
	v_mul_f32_e32 v238, v238, v197
	v_fma_mix_f32 v237, v237, v235, 0 op_sel_hi:[0,1,0]
	v_fma_mix_f32 v237, v239, v236, v237 op_sel_hi:[0,1,0]
	v_fma_f32 v237, v237, v198, -v238
	v_add_f32_e32 v87, v87, v237
	v_dot4_i32_i8 v237, v37, v219, 0
	v_dot4_i32_i8 v219, v53, v219, 0
	;; [unrolled: 1-line block ×24, first 2 shown]
	v_mul_lo_u32 v219, v219, v215
	v_dot4_i32_i8 v221, v68, v234, v221
	v_dot4_i32_i8 v237, v42, v224, v237
	;; [unrolled: 1-line block ×3, first 2 shown]
	v_mul_lo_u32 v221, v221, v217
	v_dot4_i32_i8 v237, v43, v225, v237
	v_dot4_i32_i8 v239, v50, v232, v239
	;; [unrolled: 1-line block ×4, first 2 shown]
	v_mul_lo_u32 v237, v237, v211
	v_dot4_i32_i8 v239, v52, v234, v239
	v_cvt_f32_i32_e32 v219, v219
	v_mul_lo_u32 v239, v239, v213
	v_cvt_f32_i32_e32 v221, v221
	v_fma_mix_f32 v220, v216, v235, 0 op_sel:[0,1,0] op_sel_hi:[0,1,0]
	v_cvt_f32_i32_e32 v237, v237
	v_fma_mix_f32 v219, v219, v235, 0 op_sel_hi:[0,1,0]
	v_fma_mix_f32 v220, v218, v236, v220 op_sel:[0,1,0] op_sel_hi:[0,1,0]
	v_cvt_f32_i32_e32 v239, v239
	v_fma_mix_f32 v219, v221, v236, v219 op_sel_hi:[0,1,0]
	v_mul_f32_e32 v220, v220, v201
	v_fma_f32 v219, v219, v202, -v220
	v_fma_mix_f32 v238, v212, v235, 0 op_sel:[0,1,0] op_sel_hi:[0,1,0]
	v_add_f32_e32 v85, v85, v219
	v_or_b32_e32 v219, s1, v154
	v_fma_mix_f32 v237, v237, v235, 0 op_sel_hi:[0,1,0]
	v_fma_mix_f32 v238, v214, v236, v238 op_sel:[0,1,0] op_sel_hi:[0,1,0]
	v_lshlrev_b32_e32 v231, 2, v219
	v_lshrrev_b32_e32 v235, 1, v219
	v_fma_mix_f32 v237, v239, v236, v237 op_sel_hi:[0,1,0]
	v_mul_f32_e32 v238, v238, v199
	ds_read_b128 v[219:222], v231 offset:33280
	ds_read_b128 v[223:226], v231 offset:33296
	;; [unrolled: 1-line block ×4, first 2 shown]
	ds_read_b64 v[235:236], v235 offset:43584
	v_fma_f32 v237, v237, v200, -v238
	v_add_f32_e32 v86, v86, v237
	s_waitcnt lgkmcnt(4)
	v_dot4_i32_i8 v237, v5, v219, 0
	v_dot4_i32_i8 v237, v6, v220, v237
	s_waitcnt lgkmcnt(2)
	v_dot4_i32_i8 v239, v13, v227, 0
	v_dot4_i32_i8 v237, v7, v221, v237
	;; [unrolled: 1-line block ×8, first 2 shown]
	s_waitcnt lgkmcnt(1)
	v_dot4_i32_i8 v239, v17, v231, v239
	v_dot4_i32_i8 v237, v11, v225, v237
	;; [unrolled: 1-line block ×5, first 2 shown]
	v_mul_lo_u32 v237, v237, v206
	v_dot4_i32_i8 v239, v20, v234, v239
	v_mul_lo_u32 v239, v239, v204
	s_waitcnt lgkmcnt(0)
	v_fma_mix_f32 v238, v203, v235, 0 op_sel:[0,1,0] op_sel_hi:[0,1,0]
	v_cvt_f32_i32_e32 v237, v237
	v_fma_mix_f32 v238, v205, v236, v238 op_sel:[0,1,0] op_sel_hi:[0,1,0]
	v_cvt_f32_i32_e32 v239, v239
	v_mul_f32_e32 v238, v238, v196
	v_fma_mix_f32 v237, v237, v235, 0 op_sel_hi:[0,1,0]
	v_fma_mix_f32 v237, v239, v236, v237 op_sel_hi:[0,1,0]
	v_fma_f32 v237, v237, v195, -v238
	v_add_f32_e32 v84, v84, v237
	v_dot4_i32_i8 v237, v21, v219, 0
	v_dot4_i32_i8 v237, v22, v220, v237
	v_dot4_i32_i8 v239, v29, v227, 0
	v_dot4_i32_i8 v237, v23, v221, v237
	v_dot4_i32_i8 v239, v30, v228, v239
	v_dot4_i32_i8 v237, v24, v222, v237
	v_dot4_i32_i8 v239, v31, v229, v239
	v_dot4_i32_i8 v237, v25, v223, v237
	v_dot4_i32_i8 v239, v32, v230, v239
	v_dot4_i32_i8 v237, v26, v224, v237
	v_dot4_i32_i8 v239, v33, v231, v239
	v_dot4_i32_i8 v237, v27, v225, v237
	v_dot4_i32_i8 v239, v34, v232, v239
	v_dot4_i32_i8 v237, v28, v226, v237
	v_dot4_i32_i8 v239, v35, v233, v239
	v_mul_lo_u32 v237, v237, v207
	v_dot4_i32_i8 v239, v36, v234, v239
	v_mul_lo_u32 v239, v239, v209
	v_fma_mix_f32 v238, v208, v235, 0 op_sel:[0,1,0] op_sel_hi:[0,1,0]
	v_cvt_f32_i32_e32 v237, v237
	v_fma_mix_f32 v238, v210, v236, v238 op_sel:[0,1,0] op_sel_hi:[0,1,0]
	v_cvt_f32_i32_e32 v239, v239
	v_mul_f32_e32 v238, v238, v197
	v_fma_mix_f32 v237, v237, v235, 0 op_sel_hi:[0,1,0]
	v_fma_mix_f32 v237, v239, v236, v237 op_sel_hi:[0,1,0]
	v_fma_f32 v237, v237, v198, -v238
	v_add_f32_e32 v83, v83, v237
	v_dot4_i32_i8 v237, v37, v219, 0
	v_dot4_i32_i8 v219, v53, v219, 0
	;; [unrolled: 1-line block ×24, first 2 shown]
	v_mul_lo_u32 v219, v219, v215
	v_dot4_i32_i8 v221, v68, v234, v221
	v_dot4_i32_i8 v237, v42, v224, v237
	;; [unrolled: 1-line block ×3, first 2 shown]
	v_mul_lo_u32 v221, v221, v217
	v_dot4_i32_i8 v237, v43, v225, v237
	v_dot4_i32_i8 v239, v50, v232, v239
	;; [unrolled: 1-line block ×4, first 2 shown]
	v_mul_lo_u32 v237, v237, v211
	v_dot4_i32_i8 v239, v52, v234, v239
	v_cvt_f32_i32_e32 v219, v219
	v_mul_lo_u32 v239, v239, v213
	v_cvt_f32_i32_e32 v221, v221
	v_fma_mix_f32 v220, v216, v235, 0 op_sel:[0,1,0] op_sel_hi:[0,1,0]
	v_cvt_f32_i32_e32 v237, v237
	v_fma_mix_f32 v219, v219, v235, 0 op_sel_hi:[0,1,0]
	v_fma_mix_f32 v220, v218, v236, v220 op_sel:[0,1,0] op_sel_hi:[0,1,0]
	v_cvt_f32_i32_e32 v239, v239
	v_fma_mix_f32 v219, v221, v236, v219 op_sel_hi:[0,1,0]
	v_mul_f32_e32 v220, v220, v201
	v_fma_f32 v219, v219, v202, -v220
	v_fma_mix_f32 v238, v212, v235, 0 op_sel:[0,1,0] op_sel_hi:[0,1,0]
	v_add_f32_e32 v81, v81, v219
	v_or_b32_e32 v219, s1, v155
	v_fma_mix_f32 v237, v237, v235, 0 op_sel_hi:[0,1,0]
	v_fma_mix_f32 v238, v214, v236, v238 op_sel:[0,1,0] op_sel_hi:[0,1,0]
	v_lshlrev_b32_e32 v231, 2, v219
	v_lshrrev_b32_e32 v235, 1, v219
	v_fma_mix_f32 v237, v239, v236, v237 op_sel_hi:[0,1,0]
	v_mul_f32_e32 v238, v238, v199
	ds_read_b128 v[219:222], v231 offset:33280
	ds_read_b128 v[223:226], v231 offset:33296
	;; [unrolled: 1-line block ×4, first 2 shown]
	ds_read_b64 v[235:236], v235 offset:43584
	v_fma_f32 v237, v237, v200, -v238
	v_add_f32_e32 v82, v82, v237
	s_waitcnt lgkmcnt(4)
	v_dot4_i32_i8 v237, v5, v219, 0
	v_dot4_i32_i8 v237, v6, v220, v237
	s_waitcnt lgkmcnt(2)
	v_dot4_i32_i8 v239, v13, v227, 0
	v_dot4_i32_i8 v237, v7, v221, v237
	;; [unrolled: 1-line block ×8, first 2 shown]
	s_waitcnt lgkmcnt(1)
	v_dot4_i32_i8 v239, v17, v231, v239
	v_dot4_i32_i8 v237, v11, v225, v237
	;; [unrolled: 1-line block ×5, first 2 shown]
	v_mul_lo_u32 v237, v237, v206
	v_dot4_i32_i8 v239, v20, v234, v239
	v_mul_lo_u32 v239, v239, v204
	s_waitcnt lgkmcnt(0)
	v_fma_mix_f32 v238, v203, v235, 0 op_sel:[0,1,0] op_sel_hi:[0,1,0]
	v_cvt_f32_i32_e32 v237, v237
	v_fma_mix_f32 v238, v205, v236, v238 op_sel:[0,1,0] op_sel_hi:[0,1,0]
	v_cvt_f32_i32_e32 v239, v239
	v_mul_f32_e32 v238, v238, v196
	v_fma_mix_f32 v237, v237, v235, 0 op_sel_hi:[0,1,0]
	v_fma_mix_f32 v237, v239, v236, v237 op_sel_hi:[0,1,0]
	v_fma_f32 v237, v237, v195, -v238
	v_add_f32_e32 v80, v80, v237
	v_dot4_i32_i8 v237, v21, v219, 0
	v_dot4_i32_i8 v237, v22, v220, v237
	;; [unrolled: 1-line block ×15, first 2 shown]
	v_mul_lo_u32 v237, v237, v207
	v_dot4_i32_i8 v239, v36, v234, v239
	v_mul_lo_u32 v239, v239, v209
	v_fma_mix_f32 v238, v208, v235, 0 op_sel:[0,1,0] op_sel_hi:[0,1,0]
	v_cvt_f32_i32_e32 v237, v237
	v_fma_mix_f32 v238, v210, v236, v238 op_sel:[0,1,0] op_sel_hi:[0,1,0]
	v_cvt_f32_i32_e32 v239, v239
	v_mul_f32_e32 v238, v238, v197
	v_fma_mix_f32 v237, v237, v235, 0 op_sel_hi:[0,1,0]
	v_fma_mix_f32 v237, v239, v236, v237 op_sel_hi:[0,1,0]
	v_fma_f32 v237, v237, v198, -v238
	v_add_f32_e32 v79, v79, v237
	v_dot4_i32_i8 v237, v37, v219, 0
	v_dot4_i32_i8 v219, v53, v219, 0
	;; [unrolled: 1-line block ×24, first 2 shown]
	v_mul_lo_u32 v219, v219, v215
	v_dot4_i32_i8 v221, v68, v234, v221
	v_dot4_i32_i8 v237, v42, v224, v237
	;; [unrolled: 1-line block ×3, first 2 shown]
	v_mul_lo_u32 v221, v221, v217
	v_dot4_i32_i8 v237, v43, v225, v237
	v_dot4_i32_i8 v239, v50, v232, v239
	;; [unrolled: 1-line block ×4, first 2 shown]
	v_mul_lo_u32 v237, v237, v211
	v_dot4_i32_i8 v239, v52, v234, v239
	v_cvt_f32_i32_e32 v219, v219
	v_mul_lo_u32 v239, v239, v213
	v_cvt_f32_i32_e32 v221, v221
	v_fma_mix_f32 v220, v216, v235, 0 op_sel:[0,1,0] op_sel_hi:[0,1,0]
	v_cvt_f32_i32_e32 v237, v237
	v_fma_mix_f32 v219, v219, v235, 0 op_sel_hi:[0,1,0]
	v_fma_mix_f32 v220, v218, v236, v220 op_sel:[0,1,0] op_sel_hi:[0,1,0]
	v_cvt_f32_i32_e32 v239, v239
	v_fma_mix_f32 v219, v221, v236, v219 op_sel_hi:[0,1,0]
	v_mul_f32_e32 v220, v220, v201
	v_fma_f32 v219, v219, v202, -v220
	v_fma_mix_f32 v238, v212, v235, 0 op_sel:[0,1,0] op_sel_hi:[0,1,0]
	v_add_f32_e32 v77, v77, v219
	v_or_b32_e32 v219, s1, v156
	v_fma_mix_f32 v237, v237, v235, 0 op_sel_hi:[0,1,0]
	v_fma_mix_f32 v238, v214, v236, v238 op_sel:[0,1,0] op_sel_hi:[0,1,0]
	v_lshlrev_b32_e32 v231, 2, v219
	v_lshrrev_b32_e32 v235, 1, v219
	v_fma_mix_f32 v237, v239, v236, v237 op_sel_hi:[0,1,0]
	v_mul_f32_e32 v238, v238, v199
	ds_read_b128 v[219:222], v231 offset:33280
	ds_read_b128 v[223:226], v231 offset:33296
	;; [unrolled: 1-line block ×4, first 2 shown]
	ds_read_b64 v[235:236], v235 offset:43584
	v_fma_f32 v237, v237, v200, -v238
	v_add_f32_e32 v78, v78, v237
	s_waitcnt lgkmcnt(4)
	v_dot4_i32_i8 v237, v5, v219, 0
	v_dot4_i32_i8 v237, v6, v220, v237
	s_waitcnt lgkmcnt(2)
	v_dot4_i32_i8 v239, v13, v227, 0
	v_dot4_i32_i8 v237, v7, v221, v237
	;; [unrolled: 1-line block ×8, first 2 shown]
	s_waitcnt lgkmcnt(1)
	v_dot4_i32_i8 v239, v17, v231, v239
	v_dot4_i32_i8 v237, v11, v225, v237
	;; [unrolled: 1-line block ×5, first 2 shown]
	v_mul_lo_u32 v237, v237, v206
	v_dot4_i32_i8 v239, v20, v234, v239
	v_mul_lo_u32 v239, v239, v204
	s_waitcnt lgkmcnt(0)
	v_fma_mix_f32 v238, v203, v235, 0 op_sel:[0,1,0] op_sel_hi:[0,1,0]
	v_cvt_f32_i32_e32 v237, v237
	v_fma_mix_f32 v238, v205, v236, v238 op_sel:[0,1,0] op_sel_hi:[0,1,0]
	v_cvt_f32_i32_e32 v239, v239
	v_mul_f32_e32 v238, v238, v196
	v_fma_mix_f32 v237, v237, v235, 0 op_sel_hi:[0,1,0]
	v_fma_mix_f32 v237, v239, v236, v237 op_sel_hi:[0,1,0]
	v_fma_f32 v237, v237, v195, -v238
	v_add_f32_e32 v76, v76, v237
	v_dot4_i32_i8 v237, v21, v219, 0
	v_dot4_i32_i8 v237, v22, v220, v237
	;; [unrolled: 1-line block ×15, first 2 shown]
	v_mul_lo_u32 v237, v237, v207
	v_dot4_i32_i8 v239, v36, v234, v239
	v_mul_lo_u32 v239, v239, v209
	v_fma_mix_f32 v238, v208, v235, 0 op_sel:[0,1,0] op_sel_hi:[0,1,0]
	v_cvt_f32_i32_e32 v237, v237
	v_fma_mix_f32 v238, v210, v236, v238 op_sel:[0,1,0] op_sel_hi:[0,1,0]
	v_cvt_f32_i32_e32 v239, v239
	v_mul_f32_e32 v238, v238, v197
	v_fma_mix_f32 v237, v237, v235, 0 op_sel_hi:[0,1,0]
	v_fma_mix_f32 v237, v239, v236, v237 op_sel_hi:[0,1,0]
	v_fma_f32 v237, v237, v198, -v238
	v_add_f32_e32 v75, v75, v237
	v_dot4_i32_i8 v237, v37, v219, 0
	v_dot4_i32_i8 v219, v53, v219, 0
	;; [unrolled: 1-line block ×24, first 2 shown]
	v_mul_lo_u32 v219, v219, v215
	v_dot4_i32_i8 v221, v68, v234, v221
	v_dot4_i32_i8 v237, v42, v224, v237
	;; [unrolled: 1-line block ×3, first 2 shown]
	v_mul_lo_u32 v221, v221, v217
	v_dot4_i32_i8 v237, v43, v225, v237
	v_dot4_i32_i8 v239, v50, v232, v239
	;; [unrolled: 1-line block ×4, first 2 shown]
	v_mul_lo_u32 v237, v237, v211
	v_dot4_i32_i8 v239, v52, v234, v239
	v_cvt_f32_i32_e32 v219, v219
	v_mul_lo_u32 v239, v239, v213
	v_cvt_f32_i32_e32 v221, v221
	v_fma_mix_f32 v220, v216, v235, 0 op_sel:[0,1,0] op_sel_hi:[0,1,0]
	v_cvt_f32_i32_e32 v237, v237
	v_fma_mix_f32 v219, v219, v235, 0 op_sel_hi:[0,1,0]
	v_fma_mix_f32 v220, v218, v236, v220 op_sel:[0,1,0] op_sel_hi:[0,1,0]
	v_cvt_f32_i32_e32 v239, v239
	v_fma_mix_f32 v219, v221, v236, v219 op_sel_hi:[0,1,0]
	v_mul_f32_e32 v220, v220, v201
	v_fma_f32 v219, v219, v202, -v220
	v_add_f32_e32 v73, v73, v219
	v_or_b32_e32 v219, s1, v157
	v_fma_mix_f32 v237, v237, v235, 0 op_sel_hi:[0,1,0]
	v_fma_mix_f32 v238, v212, v235, 0 op_sel:[0,1,0] op_sel_hi:[0,1,0]
	v_lshlrev_b32_e32 v231, 2, v219
	v_lshrrev_b32_e32 v235, 1, v219
	v_fma_mix_f32 v237, v239, v236, v237 op_sel_hi:[0,1,0]
	v_fma_mix_f32 v238, v214, v236, v238 op_sel:[0,1,0] op_sel_hi:[0,1,0]
	ds_read_b128 v[219:222], v231 offset:33280
	ds_read_b128 v[223:226], v231 offset:33296
	;; [unrolled: 1-line block ×4, first 2 shown]
	ds_read_b64 v[235:236], v235 offset:43584
	s_waitcnt lgkmcnt(4)
	v_dot4_i32_i8 v5, v5, v219, 0
	v_dot4_i32_i8 v5, v6, v220, v5
	;; [unrolled: 1-line block ×3, first 2 shown]
	s_waitcnt lgkmcnt(2)
	v_dot4_i32_i8 v7, v13, v227, 0
	v_dot4_i32_i8 v7, v14, v228, v7
	;; [unrolled: 1-line block ×7, first 2 shown]
	s_waitcnt lgkmcnt(1)
	v_dot4_i32_i8 v7, v17, v231, v7
	v_dot4_i32_i8 v5, v11, v225, v5
	;; [unrolled: 1-line block ×5, first 2 shown]
	v_mul_lo_u32 v5, v5, v206
	v_dot4_i32_i8 v7, v20, v234, v7
	v_mul_lo_u32 v7, v7, v204
	s_waitcnt lgkmcnt(0)
	v_fma_mix_f32 v6, v203, v235, 0 op_sel:[0,1,0] op_sel_hi:[0,1,0]
	v_cvt_f32_i32_e32 v5, v5
	v_fma_mix_f32 v6, v205, v236, v6 op_sel:[0,1,0] op_sel_hi:[0,1,0]
	v_cvt_f32_i32_e32 v7, v7
	v_mul_f32_e32 v6, v6, v196
	v_fma_mix_f32 v5, v5, v235, 0 op_sel_hi:[0,1,0]
	v_mul_f32_e32 v238, v238, v199
	v_fma_mix_f32 v5, v7, v236, v5 op_sel_hi:[0,1,0]
	v_fma_f32 v5, v5, v195, -v6
	v_add_f32_e32 v72, v72, v5
	v_dot4_i32_i8 v5, v21, v219, 0
	v_dot4_i32_i8 v5, v22, v220, v5
	;; [unrolled: 1-line block ×15, first 2 shown]
	v_mul_lo_u32 v5, v5, v207
	v_dot4_i32_i8 v7, v36, v234, v7
	v_mul_lo_u32 v7, v7, v209
	v_fma_mix_f32 v6, v208, v235, 0 op_sel:[0,1,0] op_sel_hi:[0,1,0]
	v_cvt_f32_i32_e32 v5, v5
	v_fma_mix_f32 v6, v210, v236, v6 op_sel:[0,1,0] op_sel_hi:[0,1,0]
	v_cvt_f32_i32_e32 v7, v7
	v_mul_f32_e32 v6, v6, v197
	v_fma_mix_f32 v5, v5, v235, 0 op_sel_hi:[0,1,0]
	v_fma_f32 v237, v237, v200, -v238
	v_fma_mix_f32 v5, v7, v236, v5 op_sel_hi:[0,1,0]
	v_fma_f32 v5, v5, v198, -v6
	v_add_f32_e32 v71, v71, v5
	v_dot4_i32_i8 v5, v37, v219, 0
	v_dot4_i32_i8 v5, v38, v220, v5
	v_dot4_i32_i8 v7, v45, v227, 0
	v_dot4_i32_i8 v5, v39, v221, v5
	v_dot4_i32_i8 v7, v46, v228, v7
	v_dot4_i32_i8 v5, v40, v222, v5
	v_dot4_i32_i8 v7, v47, v229, v7
	v_dot4_i32_i8 v5, v41, v223, v5
	v_dot4_i32_i8 v7, v48, v230, v7
	v_dot4_i32_i8 v5, v42, v224, v5
	v_dot4_i32_i8 v7, v49, v231, v7
	v_dot4_i32_i8 v5, v43, v225, v5
	v_dot4_i32_i8 v7, v50, v232, v7
	v_dot4_i32_i8 v5, v44, v226, v5
	v_dot4_i32_i8 v7, v51, v233, v7
	v_mul_lo_u32 v5, v5, v211
	v_dot4_i32_i8 v7, v52, v234, v7
	v_mul_lo_u32 v7, v7, v213
	v_fma_mix_f32 v6, v212, v235, 0 op_sel:[0,1,0] op_sel_hi:[0,1,0]
	v_cvt_f32_i32_e32 v5, v5
	v_fma_mix_f32 v6, v214, v236, v6 op_sel:[0,1,0] op_sel_hi:[0,1,0]
	v_cvt_f32_i32_e32 v7, v7
	v_mul_f32_e32 v6, v6, v199
	v_fma_mix_f32 v5, v5, v235, 0 op_sel_hi:[0,1,0]
	s_add_i32 s1, s0, 8
	v_fma_mix_f32 v5, v7, v236, v5 op_sel_hi:[0,1,0]
	v_fma_f32 v5, v5, v200, -v6
	v_add_f32_e32 v70, v70, v5
	v_dot4_i32_i8 v5, v53, v219, 0
	v_dot4_i32_i8 v5, v54, v220, v5
	;; [unrolled: 1-line block ×15, first 2 shown]
	v_mul_lo_u32 v5, v5, v215
	v_dot4_i32_i8 v7, v68, v234, v7
	v_mul_lo_u32 v7, v7, v217
	v_fma_mix_f32 v6, v216, v235, 0 op_sel:[0,1,0] op_sel_hi:[0,1,0]
	v_cvt_f32_i32_e32 v5, v5
	v_fma_mix_f32 v6, v218, v236, v6 op_sel:[0,1,0] op_sel_hi:[0,1,0]
	v_cvt_f32_i32_e32 v7, v7
	v_mul_f32_e32 v6, v6, v201
	v_fma_mix_f32 v5, v5, v235, 0 op_sel_hi:[0,1,0]
	v_add_f32_e32 v74, v74, v237
	v_fma_mix_f32 v5, v7, v236, v5 op_sel_hi:[0,1,0]
	v_fma_f32 v5, v5, v202, -v6
	v_add_f32_e32 v69, v69, v5
	s_cmp_lt_u32 s0, 24
	s_mov_b32 s0, s1
	s_cbranch_scc1 .LBB173_8
; %bb.9:                                ;   in Loop: Header=BB173_5 Depth=1
	s_add_i32 s14, s14, 1
	s_cmp_eq_u32 s14, s4
	s_barrier
	s_cbranch_scc0 .LBB173_5
; %bb.10:
	v_mov_b32_e32 v2, v91
.LBB173_11:
	v_cmp_gt_u32_e32 vcc, s8, v2
	s_and_saveexec_b64 s[0:1], vcc
	s_cbranch_execz .LBB173_62
; %bb.12:
	v_mul_lo_u32 v5, v2, s10
	v_add_u32_e32 v0, s6, v0
	v_cmp_gt_u32_e64 s[0:1], s10, v0
	s_and_saveexec_b64 s[2:3], s[0:1]
	s_cbranch_execz .LBB173_14
; %bb.13:
	v_bfe_u32 v2, v93, 16, 1
	s_movk_i32 s4, 0x7fff
	v_add3_u32 v2, v93, v2, s4
	v_cmp_o_f32_e32 vcc, v93, v93
	v_mov_b32_e32 v3, 0x7fc0
	v_cndmask_b32_sdwa v4, v3, v2, vcc dst_sel:DWORD dst_unused:UNUSED_PAD src0_sel:DWORD src1_sel:WORD_1
	v_add_u32_e32 v2, v0, v5
	v_mov_b32_e32 v3, 0
	v_lshlrev_b64 v[2:3], 1, v[2:3]
	s_waitcnt lgkmcnt(0)
	v_mov_b32_e32 v6, s13
	v_add_co_u32_e32 v2, vcc, s12, v2
	v_addc_co_u32_e32 v3, vcc, v6, v3, vcc
	global_store_short v[2:3], v4, off
.LBB173_14:
	s_or_b64 exec, exec, s[2:3]
	v_add_u32_e32 v2, 32, v0
	v_cmp_gt_u32_e64 s[2:3], s10, v2
	s_and_saveexec_b64 s[4:5], s[2:3]
	s_cbranch_execz .LBB173_16
; %bb.15:
	v_bfe_u32 v3, v133, 16, 1
	s_movk_i32 s6, 0x7fff
	v_add3_u32 v3, v133, v3, s6
	v_cmp_o_f32_e32 vcc, v133, v133
	v_mov_b32_e32 v4, 0x7fc0
	v_cndmask_b32_sdwa v6, v4, v3, vcc dst_sel:DWORD dst_unused:UNUSED_PAD src0_sel:DWORD src1_sel:WORD_1
	v_add_u32_e32 v3, v2, v5
	v_mov_b32_e32 v4, 0
	v_lshlrev_b64 v[3:4], 1, v[3:4]
	s_waitcnt lgkmcnt(0)
	v_mov_b32_e32 v7, s13
	v_add_co_u32_e32 v3, vcc, s12, v3
	v_addc_co_u32_e32 v4, vcc, v7, v4, vcc
	global_store_short v[3:4], v6, off
.LBB173_16:
	s_or_b64 exec, exec, s[4:5]
	;; [unrolled: 21-line block ×4, first 2 shown]
	v_add3_u32 v5, v1, s11, 8
	v_cmp_gt_u32_e32 vcc, s8, v5
	s_and_b64 exec, exec, vcc
	s_cbranch_execz .LBB173_62
; %bb.21:
	v_mul_lo_u32 v5, v5, s10
	s_and_saveexec_b64 s[14:15], s[0:1]
	s_cbranch_execnz .LBB173_63
; %bb.22:
	s_or_b64 exec, exec, s[14:15]
	s_and_saveexec_b64 s[14:15], s[2:3]
	s_cbranch_execnz .LBB173_64
.LBB173_23:
	s_or_b64 exec, exec, s[14:15]
	s_and_saveexec_b64 s[14:15], s[4:5]
	s_cbranch_execnz .LBB173_65
.LBB173_24:
	s_or_b64 exec, exec, s[14:15]
	s_and_saveexec_b64 s[14:15], s[6:7]
	s_cbranch_execz .LBB173_26
.LBB173_25:
	v_bfe_u32 v6, v95, 16, 1
	s_movk_i32 s9, 0x7fff
	v_add3_u32 v6, v95, v6, s9
	v_cmp_o_f32_e32 vcc, v95, v95
	v_mov_b32_e32 v7, 0x7fc0
	v_cndmask_b32_sdwa v7, v7, v6, vcc dst_sel:DWORD dst_unused:UNUSED_PAD src0_sel:DWORD src1_sel:WORD_1
	v_add_u32_e32 v5, v5, v4
	v_mov_b32_e32 v6, 0
	v_lshlrev_b64 v[5:6], 1, v[5:6]
	s_waitcnt lgkmcnt(0)
	v_mov_b32_e32 v8, s13
	v_add_co_u32_e32 v5, vcc, s12, v5
	v_addc_co_u32_e32 v6, vcc, v8, v6, vcc
	global_store_short v[5:6], v7, off
.LBB173_26:
	s_or_b64 exec, exec, s[14:15]
	v_add3_u32 v5, v1, s11, 16
	v_cmp_gt_u32_e32 vcc, s8, v5
	s_and_b64 exec, exec, vcc
	s_cbranch_execz .LBB173_62
; %bb.27:
	v_mul_lo_u32 v5, v5, s10
	s_and_saveexec_b64 s[14:15], s[0:1]
	s_cbranch_execnz .LBB173_66
; %bb.28:
	s_or_b64 exec, exec, s[14:15]
	s_and_saveexec_b64 s[14:15], s[2:3]
	s_cbranch_execnz .LBB173_67
.LBB173_29:
	s_or_b64 exec, exec, s[14:15]
	s_and_saveexec_b64 s[14:15], s[4:5]
	s_cbranch_execnz .LBB173_68
.LBB173_30:
	s_or_b64 exec, exec, s[14:15]
	s_and_saveexec_b64 s[14:15], s[6:7]
	s_cbranch_execz .LBB173_32
.LBB173_31:
	v_bfe_u32 v6, v89, 16, 1
	s_movk_i32 s9, 0x7fff
	v_add3_u32 v6, v89, v6, s9
	v_cmp_o_f32_e32 vcc, v89, v89
	v_mov_b32_e32 v7, 0x7fc0
	v_cndmask_b32_sdwa v7, v7, v6, vcc dst_sel:DWORD dst_unused:UNUSED_PAD src0_sel:DWORD src1_sel:WORD_1
	v_add_u32_e32 v5, v5, v4
	v_mov_b32_e32 v6, 0
	v_lshlrev_b64 v[5:6], 1, v[5:6]
	s_waitcnt lgkmcnt(0)
	v_mov_b32_e32 v8, s13
	v_add_co_u32_e32 v5, vcc, s12, v5
	v_addc_co_u32_e32 v6, vcc, v8, v6, vcc
	global_store_short v[5:6], v7, off
.LBB173_32:
	s_or_b64 exec, exec, s[14:15]
	v_add3_u32 v5, v1, s11, 24
	v_cmp_gt_u32_e32 vcc, s8, v5
	s_and_b64 exec, exec, vcc
	s_cbranch_execz .LBB173_62
; %bb.33:
	v_mul_lo_u32 v5, v5, s10
	s_and_saveexec_b64 s[14:15], s[0:1]
	s_cbranch_execnz .LBB173_69
; %bb.34:
	s_or_b64 exec, exec, s[14:15]
	s_and_saveexec_b64 s[14:15], s[2:3]
	s_cbranch_execnz .LBB173_70
.LBB173_35:
	s_or_b64 exec, exec, s[14:15]
	s_and_saveexec_b64 s[14:15], s[4:5]
	s_cbranch_execnz .LBB173_71
.LBB173_36:
	s_or_b64 exec, exec, s[14:15]
	s_and_saveexec_b64 s[14:15], s[6:7]
	s_cbranch_execz .LBB173_38
.LBB173_37:
	v_bfe_u32 v6, v85, 16, 1
	s_movk_i32 s9, 0x7fff
	v_add3_u32 v6, v85, v6, s9
	v_cmp_o_f32_e32 vcc, v85, v85
	v_mov_b32_e32 v7, 0x7fc0
	v_cndmask_b32_sdwa v7, v7, v6, vcc dst_sel:DWORD dst_unused:UNUSED_PAD src0_sel:DWORD src1_sel:WORD_1
	v_add_u32_e32 v5, v5, v4
	v_mov_b32_e32 v6, 0
	v_lshlrev_b64 v[5:6], 1, v[5:6]
	s_waitcnt lgkmcnt(0)
	v_mov_b32_e32 v8, s13
	v_add_co_u32_e32 v5, vcc, s12, v5
	v_addc_co_u32_e32 v6, vcc, v8, v6, vcc
	global_store_short v[5:6], v7, off
.LBB173_38:
	s_or_b64 exec, exec, s[14:15]
	v_add3_u32 v5, v1, s11, 32
	v_cmp_gt_u32_e32 vcc, s8, v5
	s_and_b64 exec, exec, vcc
	s_cbranch_execz .LBB173_62
; %bb.39:
	v_mul_lo_u32 v5, v5, s10
	s_and_saveexec_b64 s[14:15], s[0:1]
	s_cbranch_execnz .LBB173_72
; %bb.40:
	s_or_b64 exec, exec, s[14:15]
	s_and_saveexec_b64 s[14:15], s[2:3]
	s_cbranch_execnz .LBB173_73
.LBB173_41:
	s_or_b64 exec, exec, s[14:15]
	s_and_saveexec_b64 s[14:15], s[4:5]
	s_cbranch_execnz .LBB173_74
.LBB173_42:
	s_or_b64 exec, exec, s[14:15]
	s_and_saveexec_b64 s[14:15], s[6:7]
	s_cbranch_execz .LBB173_44
.LBB173_43:
	v_bfe_u32 v6, v81, 16, 1
	s_movk_i32 s9, 0x7fff
	v_add3_u32 v6, v81, v6, s9
	v_cmp_o_f32_e32 vcc, v81, v81
	v_mov_b32_e32 v7, 0x7fc0
	v_cndmask_b32_sdwa v7, v7, v6, vcc dst_sel:DWORD dst_unused:UNUSED_PAD src0_sel:DWORD src1_sel:WORD_1
	v_add_u32_e32 v5, v5, v4
	v_mov_b32_e32 v6, 0
	v_lshlrev_b64 v[5:6], 1, v[5:6]
	s_waitcnt lgkmcnt(0)
	v_mov_b32_e32 v8, s13
	v_add_co_u32_e32 v5, vcc, s12, v5
	v_addc_co_u32_e32 v6, vcc, v8, v6, vcc
	global_store_short v[5:6], v7, off
.LBB173_44:
	s_or_b64 exec, exec, s[14:15]
	v_add3_u32 v5, v1, s11, 40
	v_cmp_gt_u32_e32 vcc, s8, v5
	s_and_b64 exec, exec, vcc
	s_cbranch_execz .LBB173_62
; %bb.45:
	v_mul_lo_u32 v5, v5, s10
	s_and_saveexec_b64 s[14:15], s[0:1]
	s_cbranch_execnz .LBB173_75
; %bb.46:
	s_or_b64 exec, exec, s[14:15]
	s_and_saveexec_b64 s[14:15], s[2:3]
	s_cbranch_execnz .LBB173_76
.LBB173_47:
	s_or_b64 exec, exec, s[14:15]
	s_and_saveexec_b64 s[14:15], s[4:5]
	s_cbranch_execnz .LBB173_77
.LBB173_48:
	s_or_b64 exec, exec, s[14:15]
	s_and_saveexec_b64 s[14:15], s[6:7]
	s_cbranch_execz .LBB173_50
.LBB173_49:
	v_bfe_u32 v6, v77, 16, 1
	s_movk_i32 s9, 0x7fff
	v_add3_u32 v6, v77, v6, s9
	v_cmp_o_f32_e32 vcc, v77, v77
	v_mov_b32_e32 v7, 0x7fc0
	v_cndmask_b32_sdwa v7, v7, v6, vcc dst_sel:DWORD dst_unused:UNUSED_PAD src0_sel:DWORD src1_sel:WORD_1
	v_add_u32_e32 v5, v5, v4
	v_mov_b32_e32 v6, 0
	v_lshlrev_b64 v[5:6], 1, v[5:6]
	s_waitcnt lgkmcnt(0)
	v_mov_b32_e32 v8, s13
	v_add_co_u32_e32 v5, vcc, s12, v5
	v_addc_co_u32_e32 v6, vcc, v8, v6, vcc
	global_store_short v[5:6], v7, off
.LBB173_50:
	s_or_b64 exec, exec, s[14:15]
	v_add3_u32 v5, v1, s11, 48
	v_cmp_gt_u32_e32 vcc, s8, v5
	s_and_b64 exec, exec, vcc
	s_cbranch_execz .LBB173_62
; %bb.51:
	v_mul_lo_u32 v5, v5, s10
	s_and_saveexec_b64 s[14:15], s[0:1]
	s_cbranch_execnz .LBB173_78
; %bb.52:
	s_or_b64 exec, exec, s[14:15]
	s_and_saveexec_b64 s[14:15], s[2:3]
	s_cbranch_execnz .LBB173_79
.LBB173_53:
	s_or_b64 exec, exec, s[14:15]
	s_and_saveexec_b64 s[14:15], s[4:5]
	s_cbranch_execnz .LBB173_80
.LBB173_54:
	s_or_b64 exec, exec, s[14:15]
	s_and_saveexec_b64 s[14:15], s[6:7]
	s_cbranch_execz .LBB173_56
.LBB173_55:
	v_bfe_u32 v6, v73, 16, 1
	s_movk_i32 s9, 0x7fff
	v_add3_u32 v6, v73, v6, s9
	v_cmp_o_f32_e32 vcc, v73, v73
	v_mov_b32_e32 v7, 0x7fc0
	v_cndmask_b32_sdwa v7, v7, v6, vcc dst_sel:DWORD dst_unused:UNUSED_PAD src0_sel:DWORD src1_sel:WORD_1
	v_add_u32_e32 v5, v5, v4
	v_mov_b32_e32 v6, 0
	v_lshlrev_b64 v[5:6], 1, v[5:6]
	s_waitcnt lgkmcnt(0)
	v_mov_b32_e32 v8, s13
	v_add_co_u32_e32 v5, vcc, s12, v5
	v_addc_co_u32_e32 v6, vcc, v8, v6, vcc
	global_store_short v[5:6], v7, off
.LBB173_56:
	s_or_b64 exec, exec, s[14:15]
	v_add3_u32 v1, v1, s11, 56
	v_cmp_gt_u32_e32 vcc, s8, v1
	s_and_b64 exec, exec, vcc
	s_cbranch_execz .LBB173_62
; %bb.57:
	v_mul_lo_u32 v1, v1, s10
	s_and_saveexec_b64 s[8:9], s[0:1]
	s_cbranch_execnz .LBB173_81
; %bb.58:
	s_or_b64 exec, exec, s[8:9]
	s_and_saveexec_b64 s[0:1], s[2:3]
	s_cbranch_execnz .LBB173_82
.LBB173_59:
	s_or_b64 exec, exec, s[0:1]
	s_and_saveexec_b64 s[0:1], s[4:5]
	s_cbranch_execnz .LBB173_83
.LBB173_60:
	s_or_b64 exec, exec, s[0:1]
	s_and_b64 exec, exec, s[6:7]
	s_cbranch_execz .LBB173_62
.LBB173_61:
	v_bfe_u32 v0, v69, 16, 1
	s_movk_i32 s0, 0x7fff
	v_add3_u32 v0, v69, v0, s0
	v_cmp_o_f32_e32 vcc, v69, v69
	v_mov_b32_e32 v2, 0x7fc0
	v_cndmask_b32_sdwa v2, v2, v0, vcc dst_sel:DWORD dst_unused:UNUSED_PAD src0_sel:DWORD src1_sel:WORD_1
	v_add_u32_e32 v0, v1, v4
	v_mov_b32_e32 v1, 0
	v_lshlrev_b64 v[0:1], 1, v[0:1]
	s_waitcnt lgkmcnt(0)
	v_mov_b32_e32 v3, s13
	v_add_co_u32_e32 v0, vcc, s12, v0
	v_addc_co_u32_e32 v1, vcc, v3, v1, vcc
	global_store_short v[0:1], v2, off
.LBB173_62:
	s_endpgm
.LBB173_63:
	v_bfe_u32 v6, v112, 16, 1
	s_movk_i32 s9, 0x7fff
	v_add3_u32 v6, v112, v6, s9
	v_cmp_o_f32_e32 vcc, v112, v112
	v_mov_b32_e32 v7, 0x7fc0
	v_cndmask_b32_sdwa v8, v7, v6, vcc dst_sel:DWORD dst_unused:UNUSED_PAD src0_sel:DWORD src1_sel:WORD_1
	v_add_u32_e32 v6, v5, v0
	v_mov_b32_e32 v7, 0
	v_lshlrev_b64 v[6:7], 1, v[6:7]
	s_waitcnt lgkmcnt(0)
	v_mov_b32_e32 v9, s13
	v_add_co_u32_e32 v6, vcc, s12, v6
	v_addc_co_u32_e32 v7, vcc, v9, v7, vcc
	global_store_short v[6:7], v8, off
	s_or_b64 exec, exec, s[14:15]
	s_and_saveexec_b64 s[14:15], s[2:3]
	s_cbranch_execz .LBB173_23
.LBB173_64:
	v_bfe_u32 v6, v103, 16, 1
	s_movk_i32 s9, 0x7fff
	v_add3_u32 v6, v103, v6, s9
	v_cmp_o_f32_e32 vcc, v103, v103
	v_mov_b32_e32 v7, 0x7fc0
	v_cndmask_b32_sdwa v8, v7, v6, vcc dst_sel:DWORD dst_unused:UNUSED_PAD src0_sel:DWORD src1_sel:WORD_1
	v_add_u32_e32 v6, v5, v2
	v_mov_b32_e32 v7, 0
	v_lshlrev_b64 v[6:7], 1, v[6:7]
	s_waitcnt lgkmcnt(0)
	v_mov_b32_e32 v9, s13
	v_add_co_u32_e32 v6, vcc, s12, v6
	v_addc_co_u32_e32 v7, vcc, v9, v7, vcc
	global_store_short v[6:7], v8, off
	s_or_b64 exec, exec, s[14:15]
	s_and_saveexec_b64 s[14:15], s[4:5]
	s_cbranch_execz .LBB173_24
.LBB173_65:
	v_bfe_u32 v6, v96, 16, 1
	s_movk_i32 s9, 0x7fff
	v_add3_u32 v6, v96, v6, s9
	v_cmp_o_f32_e32 vcc, v96, v96
	v_mov_b32_e32 v7, 0x7fc0
	v_cndmask_b32_sdwa v8, v7, v6, vcc dst_sel:DWORD dst_unused:UNUSED_PAD src0_sel:DWORD src1_sel:WORD_1
	v_add_u32_e32 v6, v5, v3
	v_mov_b32_e32 v7, 0
	v_lshlrev_b64 v[6:7], 1, v[6:7]
	s_waitcnt lgkmcnt(0)
	v_mov_b32_e32 v9, s13
	v_add_co_u32_e32 v6, vcc, s12, v6
	v_addc_co_u32_e32 v7, vcc, v9, v7, vcc
	global_store_short v[6:7], v8, off
	s_or_b64 exec, exec, s[14:15]
	s_and_saveexec_b64 s[14:15], s[6:7]
	s_cbranch_execnz .LBB173_25
	s_branch .LBB173_26
.LBB173_66:
	v_bfe_u32 v6, v94, 16, 1
	s_movk_i32 s9, 0x7fff
	v_add3_u32 v6, v94, v6, s9
	v_cmp_o_f32_e32 vcc, v94, v94
	v_mov_b32_e32 v7, 0x7fc0
	v_cndmask_b32_sdwa v8, v7, v6, vcc dst_sel:DWORD dst_unused:UNUSED_PAD src0_sel:DWORD src1_sel:WORD_1
	v_add_u32_e32 v6, v5, v0
	v_mov_b32_e32 v7, 0
	v_lshlrev_b64 v[6:7], 1, v[6:7]
	s_waitcnt lgkmcnt(0)
	v_mov_b32_e32 v9, s13
	v_add_co_u32_e32 v6, vcc, s12, v6
	v_addc_co_u32_e32 v7, vcc, v9, v7, vcc
	global_store_short v[6:7], v8, off
	s_or_b64 exec, exec, s[14:15]
	s_and_saveexec_b64 s[14:15], s[2:3]
	s_cbranch_execz .LBB173_29
.LBB173_67:
	v_bfe_u32 v6, v92, 16, 1
	s_movk_i32 s9, 0x7fff
	v_add3_u32 v6, v92, v6, s9
	v_cmp_o_f32_e32 vcc, v92, v92
	v_mov_b32_e32 v7, 0x7fc0
	v_cndmask_b32_sdwa v8, v7, v6, vcc dst_sel:DWORD dst_unused:UNUSED_PAD src0_sel:DWORD src1_sel:WORD_1
	v_add_u32_e32 v6, v5, v2
	v_mov_b32_e32 v7, 0
	v_lshlrev_b64 v[6:7], 1, v[6:7]
	s_waitcnt lgkmcnt(0)
	v_mov_b32_e32 v9, s13
	v_add_co_u32_e32 v6, vcc, s12, v6
	v_addc_co_u32_e32 v7, vcc, v9, v7, vcc
	global_store_short v[6:7], v8, off
	s_or_b64 exec, exec, s[14:15]
	s_and_saveexec_b64 s[14:15], s[4:5]
	s_cbranch_execz .LBB173_30
.LBB173_68:
	v_bfe_u32 v6, v90, 16, 1
	s_movk_i32 s9, 0x7fff
	v_add3_u32 v6, v90, v6, s9
	v_cmp_o_f32_e32 vcc, v90, v90
	v_mov_b32_e32 v7, 0x7fc0
	v_cndmask_b32_sdwa v8, v7, v6, vcc dst_sel:DWORD dst_unused:UNUSED_PAD src0_sel:DWORD src1_sel:WORD_1
	v_add_u32_e32 v6, v5, v3
	v_mov_b32_e32 v7, 0
	v_lshlrev_b64 v[6:7], 1, v[6:7]
	s_waitcnt lgkmcnt(0)
	v_mov_b32_e32 v9, s13
	v_add_co_u32_e32 v6, vcc, s12, v6
	v_addc_co_u32_e32 v7, vcc, v9, v7, vcc
	global_store_short v[6:7], v8, off
	s_or_b64 exec, exec, s[14:15]
	s_and_saveexec_b64 s[14:15], s[6:7]
	s_cbranch_execnz .LBB173_31
	s_branch .LBB173_32
.LBB173_69:
	v_bfe_u32 v6, v88, 16, 1
	s_movk_i32 s9, 0x7fff
	v_add3_u32 v6, v88, v6, s9
	v_cmp_o_f32_e32 vcc, v88, v88
	v_mov_b32_e32 v7, 0x7fc0
	v_cndmask_b32_sdwa v8, v7, v6, vcc dst_sel:DWORD dst_unused:UNUSED_PAD src0_sel:DWORD src1_sel:WORD_1
	v_add_u32_e32 v6, v5, v0
	v_mov_b32_e32 v7, 0
	v_lshlrev_b64 v[6:7], 1, v[6:7]
	s_waitcnt lgkmcnt(0)
	v_mov_b32_e32 v9, s13
	v_add_co_u32_e32 v6, vcc, s12, v6
	v_addc_co_u32_e32 v7, vcc, v9, v7, vcc
	global_store_short v[6:7], v8, off
	s_or_b64 exec, exec, s[14:15]
	s_and_saveexec_b64 s[14:15], s[2:3]
	s_cbranch_execz .LBB173_35
.LBB173_70:
	v_bfe_u32 v6, v87, 16, 1
	s_movk_i32 s9, 0x7fff
	v_add3_u32 v6, v87, v6, s9
	v_cmp_o_f32_e32 vcc, v87, v87
	v_mov_b32_e32 v7, 0x7fc0
	v_cndmask_b32_sdwa v8, v7, v6, vcc dst_sel:DWORD dst_unused:UNUSED_PAD src0_sel:DWORD src1_sel:WORD_1
	v_add_u32_e32 v6, v5, v2
	v_mov_b32_e32 v7, 0
	v_lshlrev_b64 v[6:7], 1, v[6:7]
	s_waitcnt lgkmcnt(0)
	v_mov_b32_e32 v9, s13
	v_add_co_u32_e32 v6, vcc, s12, v6
	v_addc_co_u32_e32 v7, vcc, v9, v7, vcc
	global_store_short v[6:7], v8, off
	s_or_b64 exec, exec, s[14:15]
	s_and_saveexec_b64 s[14:15], s[4:5]
	s_cbranch_execz .LBB173_36
.LBB173_71:
	v_bfe_u32 v6, v86, 16, 1
	s_movk_i32 s9, 0x7fff
	v_add3_u32 v6, v86, v6, s9
	v_cmp_o_f32_e32 vcc, v86, v86
	v_mov_b32_e32 v7, 0x7fc0
	v_cndmask_b32_sdwa v8, v7, v6, vcc dst_sel:DWORD dst_unused:UNUSED_PAD src0_sel:DWORD src1_sel:WORD_1
	v_add_u32_e32 v6, v5, v3
	v_mov_b32_e32 v7, 0
	v_lshlrev_b64 v[6:7], 1, v[6:7]
	s_waitcnt lgkmcnt(0)
	v_mov_b32_e32 v9, s13
	v_add_co_u32_e32 v6, vcc, s12, v6
	v_addc_co_u32_e32 v7, vcc, v9, v7, vcc
	global_store_short v[6:7], v8, off
	s_or_b64 exec, exec, s[14:15]
	s_and_saveexec_b64 s[14:15], s[6:7]
	s_cbranch_execnz .LBB173_37
	s_branch .LBB173_38
.LBB173_72:
	v_bfe_u32 v6, v84, 16, 1
	s_movk_i32 s9, 0x7fff
	v_add3_u32 v6, v84, v6, s9
	v_cmp_o_f32_e32 vcc, v84, v84
	v_mov_b32_e32 v7, 0x7fc0
	v_cndmask_b32_sdwa v8, v7, v6, vcc dst_sel:DWORD dst_unused:UNUSED_PAD src0_sel:DWORD src1_sel:WORD_1
	v_add_u32_e32 v6, v5, v0
	v_mov_b32_e32 v7, 0
	v_lshlrev_b64 v[6:7], 1, v[6:7]
	s_waitcnt lgkmcnt(0)
	v_mov_b32_e32 v9, s13
	v_add_co_u32_e32 v6, vcc, s12, v6
	v_addc_co_u32_e32 v7, vcc, v9, v7, vcc
	global_store_short v[6:7], v8, off
	s_or_b64 exec, exec, s[14:15]
	s_and_saveexec_b64 s[14:15], s[2:3]
	s_cbranch_execz .LBB173_41
.LBB173_73:
	v_bfe_u32 v6, v83, 16, 1
	s_movk_i32 s9, 0x7fff
	v_add3_u32 v6, v83, v6, s9
	v_cmp_o_f32_e32 vcc, v83, v83
	v_mov_b32_e32 v7, 0x7fc0
	v_cndmask_b32_sdwa v8, v7, v6, vcc dst_sel:DWORD dst_unused:UNUSED_PAD src0_sel:DWORD src1_sel:WORD_1
	v_add_u32_e32 v6, v5, v2
	v_mov_b32_e32 v7, 0
	v_lshlrev_b64 v[6:7], 1, v[6:7]
	s_waitcnt lgkmcnt(0)
	v_mov_b32_e32 v9, s13
	v_add_co_u32_e32 v6, vcc, s12, v6
	v_addc_co_u32_e32 v7, vcc, v9, v7, vcc
	global_store_short v[6:7], v8, off
	s_or_b64 exec, exec, s[14:15]
	s_and_saveexec_b64 s[14:15], s[4:5]
	s_cbranch_execz .LBB173_42
.LBB173_74:
	v_bfe_u32 v6, v82, 16, 1
	s_movk_i32 s9, 0x7fff
	v_add3_u32 v6, v82, v6, s9
	v_cmp_o_f32_e32 vcc, v82, v82
	v_mov_b32_e32 v7, 0x7fc0
	v_cndmask_b32_sdwa v8, v7, v6, vcc dst_sel:DWORD dst_unused:UNUSED_PAD src0_sel:DWORD src1_sel:WORD_1
	v_add_u32_e32 v6, v5, v3
	v_mov_b32_e32 v7, 0
	v_lshlrev_b64 v[6:7], 1, v[6:7]
	s_waitcnt lgkmcnt(0)
	v_mov_b32_e32 v9, s13
	v_add_co_u32_e32 v6, vcc, s12, v6
	v_addc_co_u32_e32 v7, vcc, v9, v7, vcc
	global_store_short v[6:7], v8, off
	s_or_b64 exec, exec, s[14:15]
	s_and_saveexec_b64 s[14:15], s[6:7]
	s_cbranch_execnz .LBB173_43
	s_branch .LBB173_44
.LBB173_75:
	v_bfe_u32 v6, v80, 16, 1
	s_movk_i32 s9, 0x7fff
	v_add3_u32 v6, v80, v6, s9
	v_cmp_o_f32_e32 vcc, v80, v80
	v_mov_b32_e32 v7, 0x7fc0
	v_cndmask_b32_sdwa v8, v7, v6, vcc dst_sel:DWORD dst_unused:UNUSED_PAD src0_sel:DWORD src1_sel:WORD_1
	v_add_u32_e32 v6, v5, v0
	v_mov_b32_e32 v7, 0
	v_lshlrev_b64 v[6:7], 1, v[6:7]
	s_waitcnt lgkmcnt(0)
	v_mov_b32_e32 v9, s13
	v_add_co_u32_e32 v6, vcc, s12, v6
	v_addc_co_u32_e32 v7, vcc, v9, v7, vcc
	global_store_short v[6:7], v8, off
	s_or_b64 exec, exec, s[14:15]
	s_and_saveexec_b64 s[14:15], s[2:3]
	s_cbranch_execz .LBB173_47
.LBB173_76:
	v_bfe_u32 v6, v79, 16, 1
	s_movk_i32 s9, 0x7fff
	v_add3_u32 v6, v79, v6, s9
	v_cmp_o_f32_e32 vcc, v79, v79
	v_mov_b32_e32 v7, 0x7fc0
	v_cndmask_b32_sdwa v8, v7, v6, vcc dst_sel:DWORD dst_unused:UNUSED_PAD src0_sel:DWORD src1_sel:WORD_1
	v_add_u32_e32 v6, v5, v2
	v_mov_b32_e32 v7, 0
	v_lshlrev_b64 v[6:7], 1, v[6:7]
	s_waitcnt lgkmcnt(0)
	v_mov_b32_e32 v9, s13
	v_add_co_u32_e32 v6, vcc, s12, v6
	v_addc_co_u32_e32 v7, vcc, v9, v7, vcc
	global_store_short v[6:7], v8, off
	s_or_b64 exec, exec, s[14:15]
	s_and_saveexec_b64 s[14:15], s[4:5]
	s_cbranch_execz .LBB173_48
.LBB173_77:
	v_bfe_u32 v6, v78, 16, 1
	s_movk_i32 s9, 0x7fff
	v_add3_u32 v6, v78, v6, s9
	v_cmp_o_f32_e32 vcc, v78, v78
	v_mov_b32_e32 v7, 0x7fc0
	v_cndmask_b32_sdwa v8, v7, v6, vcc dst_sel:DWORD dst_unused:UNUSED_PAD src0_sel:DWORD src1_sel:WORD_1
	v_add_u32_e32 v6, v5, v3
	v_mov_b32_e32 v7, 0
	v_lshlrev_b64 v[6:7], 1, v[6:7]
	s_waitcnt lgkmcnt(0)
	v_mov_b32_e32 v9, s13
	v_add_co_u32_e32 v6, vcc, s12, v6
	v_addc_co_u32_e32 v7, vcc, v9, v7, vcc
	global_store_short v[6:7], v8, off
	s_or_b64 exec, exec, s[14:15]
	s_and_saveexec_b64 s[14:15], s[6:7]
	s_cbranch_execnz .LBB173_49
	s_branch .LBB173_50
.LBB173_78:
	v_bfe_u32 v6, v76, 16, 1
	s_movk_i32 s9, 0x7fff
	v_add3_u32 v6, v76, v6, s9
	v_cmp_o_f32_e32 vcc, v76, v76
	v_mov_b32_e32 v7, 0x7fc0
	v_cndmask_b32_sdwa v8, v7, v6, vcc dst_sel:DWORD dst_unused:UNUSED_PAD src0_sel:DWORD src1_sel:WORD_1
	v_add_u32_e32 v6, v5, v0
	v_mov_b32_e32 v7, 0
	v_lshlrev_b64 v[6:7], 1, v[6:7]
	s_waitcnt lgkmcnt(0)
	v_mov_b32_e32 v9, s13
	v_add_co_u32_e32 v6, vcc, s12, v6
	v_addc_co_u32_e32 v7, vcc, v9, v7, vcc
	global_store_short v[6:7], v8, off
	s_or_b64 exec, exec, s[14:15]
	s_and_saveexec_b64 s[14:15], s[2:3]
	s_cbranch_execz .LBB173_53
.LBB173_79:
	v_bfe_u32 v6, v75, 16, 1
	s_movk_i32 s9, 0x7fff
	v_add3_u32 v6, v75, v6, s9
	v_cmp_o_f32_e32 vcc, v75, v75
	v_mov_b32_e32 v7, 0x7fc0
	v_cndmask_b32_sdwa v8, v7, v6, vcc dst_sel:DWORD dst_unused:UNUSED_PAD src0_sel:DWORD src1_sel:WORD_1
	v_add_u32_e32 v6, v5, v2
	v_mov_b32_e32 v7, 0
	v_lshlrev_b64 v[6:7], 1, v[6:7]
	s_waitcnt lgkmcnt(0)
	v_mov_b32_e32 v9, s13
	v_add_co_u32_e32 v6, vcc, s12, v6
	v_addc_co_u32_e32 v7, vcc, v9, v7, vcc
	global_store_short v[6:7], v8, off
	s_or_b64 exec, exec, s[14:15]
	s_and_saveexec_b64 s[14:15], s[4:5]
	s_cbranch_execz .LBB173_54
.LBB173_80:
	v_bfe_u32 v6, v74, 16, 1
	s_movk_i32 s9, 0x7fff
	v_add3_u32 v6, v74, v6, s9
	v_cmp_o_f32_e32 vcc, v74, v74
	v_mov_b32_e32 v7, 0x7fc0
	v_cndmask_b32_sdwa v8, v7, v6, vcc dst_sel:DWORD dst_unused:UNUSED_PAD src0_sel:DWORD src1_sel:WORD_1
	v_add_u32_e32 v6, v5, v3
	v_mov_b32_e32 v7, 0
	v_lshlrev_b64 v[6:7], 1, v[6:7]
	s_waitcnt lgkmcnt(0)
	v_mov_b32_e32 v9, s13
	v_add_co_u32_e32 v6, vcc, s12, v6
	v_addc_co_u32_e32 v7, vcc, v9, v7, vcc
	global_store_short v[6:7], v8, off
	s_or_b64 exec, exec, s[14:15]
	s_and_saveexec_b64 s[14:15], s[6:7]
	s_cbranch_execnz .LBB173_55
	s_branch .LBB173_56
.LBB173_81:
	v_bfe_u32 v5, v72, 16, 1
	s_movk_i32 s0, 0x7fff
	v_add3_u32 v5, v72, v5, s0
	v_cmp_o_f32_e32 vcc, v72, v72
	v_mov_b32_e32 v6, 0x7fc0
	v_cndmask_b32_sdwa v7, v6, v5, vcc dst_sel:DWORD dst_unused:UNUSED_PAD src0_sel:DWORD src1_sel:WORD_1
	v_add_u32_e32 v5, v1, v0
	v_mov_b32_e32 v6, 0
	v_lshlrev_b64 v[5:6], 1, v[5:6]
	s_waitcnt lgkmcnt(0)
	v_mov_b32_e32 v0, s13
	v_add_co_u32_e32 v5, vcc, s12, v5
	v_addc_co_u32_e32 v6, vcc, v0, v6, vcc
	global_store_short v[5:6], v7, off
	s_or_b64 exec, exec, s[8:9]
	s_and_saveexec_b64 s[0:1], s[2:3]
	s_cbranch_execz .LBB173_59
.LBB173_82:
	v_bfe_u32 v0, v71, 16, 1
	s_movk_i32 s2, 0x7fff
	v_add3_u32 v0, v71, v0, s2
	v_cmp_o_f32_e32 vcc, v71, v71
	v_mov_b32_e32 v5, 0x7fc0
	v_cndmask_b32_sdwa v0, v5, v0, vcc dst_sel:DWORD dst_unused:UNUSED_PAD src0_sel:DWORD src1_sel:WORD_1
	v_add_u32_e32 v5, v1, v2
	v_mov_b32_e32 v6, 0
	v_lshlrev_b64 v[5:6], 1, v[5:6]
	s_waitcnt lgkmcnt(0)
	v_mov_b32_e32 v2, s13
	v_add_co_u32_e32 v5, vcc, s12, v5
	v_addc_co_u32_e32 v6, vcc, v2, v6, vcc
	global_store_short v[5:6], v0, off
	s_or_b64 exec, exec, s[0:1]
	s_and_saveexec_b64 s[0:1], s[4:5]
	s_cbranch_execz .LBB173_60
.LBB173_83:
	v_bfe_u32 v0, v70, 16, 1
	s_movk_i32 s2, 0x7fff
	v_add3_u32 v0, v70, v0, s2
	v_cmp_o_f32_e32 vcc, v70, v70
	v_mov_b32_e32 v2, 0x7fc0
	v_cndmask_b32_sdwa v0, v2, v0, vcc dst_sel:DWORD dst_unused:UNUSED_PAD src0_sel:DWORD src1_sel:WORD_1
	v_add_u32_e32 v2, v1, v3
	v_mov_b32_e32 v3, 0
	v_lshlrev_b64 v[2:3], 1, v[2:3]
	s_waitcnt lgkmcnt(0)
	v_mov_b32_e32 v5, s13
	v_add_co_u32_e32 v2, vcc, s12, v2
	v_addc_co_u32_e32 v3, vcc, v5, v3, vcc
	global_store_short v[2:3], v0, off
	s_or_b64 exec, exec, s[0:1]
	s_and_b64 exec, exec, s[6:7]
	s_cbranch_execnz .LBB173_61
	s_branch .LBB173_62
	.section	.rodata,"a",@progbits
	.p2align	6, 0x0
	.amdhsa_kernel _ZL12mul_mat_q5_KIN3c108BFloat16ELb0EEvPKvS3_PT_iiiii
		.amdhsa_group_segment_fixed_size 45136
		.amdhsa_private_segment_fixed_size 0
		.amdhsa_kernarg_size 44
		.amdhsa_user_sgpr_count 6
		.amdhsa_user_sgpr_private_segment_buffer 1
		.amdhsa_user_sgpr_dispatch_ptr 0
		.amdhsa_user_sgpr_queue_ptr 0
		.amdhsa_user_sgpr_kernarg_segment_ptr 1
		.amdhsa_user_sgpr_dispatch_id 0
		.amdhsa_user_sgpr_flat_scratch_init 0
		.amdhsa_user_sgpr_private_segment_size 0
		.amdhsa_uses_dynamic_stack 0
		.amdhsa_system_sgpr_private_segment_wavefront_offset 0
		.amdhsa_system_sgpr_workgroup_id_x 1
		.amdhsa_system_sgpr_workgroup_id_y 1
		.amdhsa_system_sgpr_workgroup_id_z 0
		.amdhsa_system_sgpr_workgroup_info 0
		.amdhsa_system_vgpr_workitem_id 1
		.amdhsa_next_free_vgpr 241
		.amdhsa_next_free_sgpr 98
		.amdhsa_reserve_vcc 1
		.amdhsa_reserve_flat_scratch 0
		.amdhsa_float_round_mode_32 0
		.amdhsa_float_round_mode_16_64 0
		.amdhsa_float_denorm_mode_32 3
		.amdhsa_float_denorm_mode_16_64 3
		.amdhsa_dx10_clamp 1
		.amdhsa_ieee_mode 1
		.amdhsa_fp16_overflow 0
		.amdhsa_exception_fp_ieee_invalid_op 0
		.amdhsa_exception_fp_denorm_src 0
		.amdhsa_exception_fp_ieee_div_zero 0
		.amdhsa_exception_fp_ieee_overflow 0
		.amdhsa_exception_fp_ieee_underflow 0
		.amdhsa_exception_fp_ieee_inexact 0
		.amdhsa_exception_int_div_zero 0
	.end_amdhsa_kernel
	.section	.text._ZL12mul_mat_q5_KIN3c108BFloat16ELb0EEvPKvS3_PT_iiiii,"axG",@progbits,_ZL12mul_mat_q5_KIN3c108BFloat16ELb0EEvPKvS3_PT_iiiii,comdat
.Lfunc_end173:
	.size	_ZL12mul_mat_q5_KIN3c108BFloat16ELb0EEvPKvS3_PT_iiiii, .Lfunc_end173-_ZL12mul_mat_q5_KIN3c108BFloat16ELb0EEvPKvS3_PT_iiiii
                                        ; -- End function
	.set _ZL12mul_mat_q5_KIN3c108BFloat16ELb0EEvPKvS3_PT_iiiii.num_vgpr, 241
	.set _ZL12mul_mat_q5_KIN3c108BFloat16ELb0EEvPKvS3_PT_iiiii.num_agpr, 0
	.set _ZL12mul_mat_q5_KIN3c108BFloat16ELb0EEvPKvS3_PT_iiiii.numbered_sgpr, 21
	.set _ZL12mul_mat_q5_KIN3c108BFloat16ELb0EEvPKvS3_PT_iiiii.num_named_barrier, 0
	.set _ZL12mul_mat_q5_KIN3c108BFloat16ELb0EEvPKvS3_PT_iiiii.private_seg_size, 0
	.set _ZL12mul_mat_q5_KIN3c108BFloat16ELb0EEvPKvS3_PT_iiiii.uses_vcc, 1
	.set _ZL12mul_mat_q5_KIN3c108BFloat16ELb0EEvPKvS3_PT_iiiii.uses_flat_scratch, 0
	.set _ZL12mul_mat_q5_KIN3c108BFloat16ELb0EEvPKvS3_PT_iiiii.has_dyn_sized_stack, 0
	.set _ZL12mul_mat_q5_KIN3c108BFloat16ELb0EEvPKvS3_PT_iiiii.has_recursion, 0
	.set _ZL12mul_mat_q5_KIN3c108BFloat16ELb0EEvPKvS3_PT_iiiii.has_indirect_call, 0
	.section	.AMDGPU.csdata,"",@progbits
; Kernel info:
; codeLenInByte = 22980
; TotalNumSgprs: 25
; NumVgprs: 241
; ScratchSize: 0
; MemoryBound: 0
; FloatMode: 240
; IeeeMode: 1
; LDSByteSize: 45136 bytes/workgroup (compile time only)
; SGPRBlocks: 12
; VGPRBlocks: 60
; NumSGPRsForWavesPerEU: 102
; NumVGPRsForWavesPerEU: 241
; Occupancy: 1
; WaveLimiterHint : 0
; COMPUTE_PGM_RSRC2:SCRATCH_EN: 0
; COMPUTE_PGM_RSRC2:USER_SGPR: 6
; COMPUTE_PGM_RSRC2:TRAP_HANDLER: 0
; COMPUTE_PGM_RSRC2:TGID_X_EN: 1
; COMPUTE_PGM_RSRC2:TGID_Y_EN: 1
; COMPUTE_PGM_RSRC2:TGID_Z_EN: 0
; COMPUTE_PGM_RSRC2:TIDIG_COMP_CNT: 1
	.section	.text._ZL12mul_mat_q5_KIN3c108BFloat16ELb1EEvPKvS3_PT_iiiii,"axG",@progbits,_ZL12mul_mat_q5_KIN3c108BFloat16ELb1EEvPKvS3_PT_iiiii,comdat
	.globl	_ZL12mul_mat_q5_KIN3c108BFloat16ELb1EEvPKvS3_PT_iiiii ; -- Begin function _ZL12mul_mat_q5_KIN3c108BFloat16ELb1EEvPKvS3_PT_iiiii
	.p2align	8
	.type	_ZL12mul_mat_q5_KIN3c108BFloat16ELb1EEvPKvS3_PT_iiiii,@function
_ZL12mul_mat_q5_KIN3c108BFloat16ELb1EEvPKvS3_PT_iiiii: ; @_ZL12mul_mat_q5_KIN3c108BFloat16ELb1EEvPKvS3_PT_iiiii
; %bb.0:
	s_load_dwordx4 s[8:11], s[4:5], 0x18
	s_load_dword s14, s[4:5], 0x28
	s_lshl_b32 s15, s7, 6
	v_add_u32_e32 v106, s15, v1
	s_waitcnt lgkmcnt(0)
	s_cmpk_gt_i32 s8, 0xff
	s_cbranch_scc1 .LBB174_2
; %bb.1:
	v_add_u32_e32 v2, s15, v1
	s_mov_b64 s[0:1], 0
	s_branch .LBB174_3
.LBB174_2:
	s_mov_b64 s[0:1], -1
                                        ; implicit-def: $vgpr2
.LBB174_3:
	s_load_dwordx2 s[12:13], s[4:5], 0x10
	s_lshl_b32 s6, s6, 7
	v_mov_b32_e32 v85, 0
	s_andn2_b64 vcc, exec, s[0:1]
	v_mov_b32_e32 v89, 0
	v_mov_b32_e32 v93, 0
	;; [unrolled: 1-line block ×31, first 2 shown]
	s_cbranch_vccnz .LBB174_11
; %bb.4:
	s_load_dwordx4 s[0:3], s[4:5], 0x0
	s_ashr_i32 s4, s8, 31
	s_lshr_b32 s4, s4, 24
	s_add_i32 s4, s8, s4
	s_ashr_i32 s5, s11, 31
	s_ashr_i32 s4, s4, 8
	s_lshr_b32 s5, s5, 27
	s_add_i32 s5, s11, s5
	s_mul_i32 s7, s4, s6
	s_ashr_i32 s11, s5, 5
	s_mul_hi_i32 s8, s7, 0xb0
	s_mulk_i32 s7, 0xb0
	s_waitcnt lgkmcnt(0)
	s_add_u32 s7, s0, s7
	s_addc_u32 s8, s1, s8
	s_not_b32 s0, s6
	v_lshlrev_b32_e32 v2, 1, v0
	v_and_b32_e32 v3, 7, v0
	s_add_i32 s1, s9, s0
	v_and_or_b32 v2, v2, 48, v3
	v_lshrrev_b32_e32 v19, 2, v0
	v_min_i32_e32 v3, s1, v1
	v_lshlrev_b32_e32 v18, 2, v2
	s_movk_i32 s0, 0x104
	v_mul_lo_u32 v118, v3, s4
	v_mad_u64_u32 v[2:3], s[16:17], v3, s0, v[18:19]
	v_add_u32_e32 v32, 8, v1
	v_min_i32_e32 v3, s1, v32
	v_mul_lo_u32 v120, v3, s4
	v_mad_u64_u32 v[3:4], s[16:17], v3, s0, v[18:19]
	v_add_u32_e32 v33, 16, v1
	v_min_i32_e32 v4, s1, v33
	;; [unrolled: 4-line block ×15, first 2 shown]
	v_mul_lo_u32 v136, v17, s4
	v_mad_u64_u32 v[17:18], s[16:17], v17, s0, v[18:19]
	v_lshlrev_b32_e32 v137, 5, v1
	v_add_u32_e32 v18, v137, v0
	v_and_b32_e32 v18, 0x7f, v18
	v_min_i32_e32 v18, s1, v18
	v_ashrrev_i32_e32 v20, 31, v18
	v_lshrrev_b32_e32 v20, 27, v20
	v_add_u32_e32 v20, v18, v20
	v_ashrrev_i32_e32 v20, 5, v20
	v_mul_lo_u32 v138, v18, s4
	v_lshlrev_b32_e32 v20, 2, v20
	v_lshlrev_b32_e32 v18, 2, v18
	s_mov_b32 s18, 0xae40
	v_add3_u32 v139, v20, v18, s18
	v_and_b32_e32 v18, 3, v0
	v_add_u32_e32 v20, 0xfe, v18
	v_and_b32_e32 v20, 0xff, v20
	v_cmp_gt_u32_e32 vcc, 2, v18
	v_cndmask_b32_e32 v20, v20, v18, vcc
	v_cmp_ne_u32_e32 vcc, 0, v18
	v_lshlrev_b32_e32 v113, 2, v0
	v_and_b32_e32 v116, 6, v19
	v_lshl_add_u32 v19, v1, 3, v19
	v_addc_co_u32_e32 v39, vcc, 0, v20, vcc
	v_and_b32_e32 v21, 4, v113
	v_cmp_lt_u32_e32 vcc, 1, v18
	v_lshlrev_b32_e32 v142, 1, v20
	v_and_b32_e32 v20, 0x7f, v19
	v_cndmask_b32_e32 v141, 0, v21, vcc
	v_min_i32_e32 v21, s1, v20
	v_ashrrev_i32_e32 v22, 31, v21
	v_xor_b32_e32 v20, 64, v20
	v_lshrrev_b32_e32 v22, 29, v22
	v_min_i32_e32 v20, s1, v20
	v_mul_lo_u32 v143, v21, s4
	v_add_u32_e32 v22, v21, v22
	v_lshlrev_b32_e32 v42, 4, v21
	v_ashrrev_i32_e32 v21, 31, v20
	v_lshrrev_b32_e32 v21, 29, v21
	v_add_u32_e32 v21, v20, v21
	v_ashrrev_i32_e32 v22, 3, v22
	v_ashrrev_i32_e32 v21, 3, v21
	v_lshlrev_b32_e32 v22, 2, v22
	v_lshlrev_b32_e32 v28, 2, v18
	s_mov_b32 s16, 0xa200
	v_lshlrev_b32_e32 v21, 2, v21
	s_add_i32 s1, s10, -1
	v_add3_u32 v41, v22, v28, s16
	v_mul_lo_u32 v145, v20, s4
	v_add3_u32 v43, v21, v28, s16
	v_lshlrev_b32_e32 v44, 4, v20
	v_cvt_f64_i32_e32 v[20:21], s1
	v_cvt_f64_u32_e32 v[22:23], v106
	v_and_b32_e32 v24, 31, v0
	v_mov_b32_e32 v25, 0x8200
	v_lshl_or_b32 v45, v24, 2, v25
	v_add_u32_e32 v24, 8, v106
	v_cvt_f64_u32_e32 v[24:25], v24
	v_add_u32_e32 v26, 16, v106
	v_min_f64 v[22:23], v[22:23], v[20:21]
	v_cvt_f64_u32_e32 v[26:27], v26
	v_min_f64 v[24:25], v[24:25], v[20:21]
	v_and_b32_e32 v29, 63, v19
	v_or_b32_e32 v19, s15, v29
	v_min_f64 v[26:27], v[26:27], v[20:21]
	v_min_i32_e32 v19, s1, v19
	v_mad_u64_u32 v[18:19], s[16:17], v19, s11, v[18:19]
	v_cvt_i32_f64_e32 v22, v[22:23]
	v_lshl_or_b32 v19, v29, 4, v28
	v_add_u32_e32 v147, 0xaa40, v19
	v_cvt_i32_f64_e32 v19, v[24:25]
	v_mul_lo_u32 v149, s11, v22
	v_cvt_i32_f64_e32 v22, v[26:27]
	v_lshrrev_b32_e32 v112, 5, v0
	v_mul_lo_u32 v150, s11, v19
	v_add_u32_e32 v19, 24, v106
	v_mul_lo_u32 v151, s11, v22
	v_cvt_f64_u32_e32 v[22:23], v19
	v_add_u32_e32 v19, 32, v106
	v_cvt_f64_u32_e32 v[24:25], v19
	v_add_u32_e32 v19, 40, v106
	v_min_f64 v[22:23], v[22:23], v[20:21]
	v_cvt_f64_u32_e32 v[26:27], v19
	v_add_u32_e32 v19, 48, v106
	v_cvt_f64_u32_e32 v[28:29], v19
	v_add_u32_e32 v19, 56, v106
	v_cvt_f64_u32_e32 v[30:31], v19
	v_min_f64 v[24:25], v[24:25], v[20:21]
	v_min_f64 v[26:27], v[26:27], v[20:21]
	v_cvt_i32_f64_e32 v49, v[22:23]
	v_min_f64 v[22:23], v[28:29], v[20:21]
	v_min_f64 v[19:20], v[30:31], v[20:21]
	v_and_b32_e32 v115, 28, v113
	v_mul_lo_u32 v152, s11, v49
	v_cndmask_b32_e64 v40, 0, 1, vcc
	v_cvt_i32_f64_e32 v24, v[24:25]
	v_cvt_i32_f64_e32 v25, v[26:27]
	v_lshlrev_b32_e32 v46, 7, v1
	v_cvt_i32_f64_e32 v22, v[22:23]
	v_cvt_i32_f64_e32 v19, v[19:20]
	v_mul_lo_u32 v153, s11, v24
	v_mul_lo_u32 v154, s11, v25
	;; [unrolled: 1-line block ×4, first 2 shown]
	v_lshlrev_b32_e32 v19, 2, v112
	v_add3_u32 v157, v113, v19, s18
	v_add_u32_e32 v19, 32, v0
	v_lshrrev_b32_e32 v158, 3, v19
	v_lshlrev_b32_e32 v26, 2, v19
	v_and_b32_e32 v19, 60, v158
	v_add3_u32 v159, v113, v19, s18
	v_add_u32_e32 v19, 64, v0
	v_lshrrev_b32_e32 v160, 3, v19
	v_lshlrev_b32_e32 v27, 2, v19
	v_and_b32_e32 v19, 60, v160
	;; [unrolled: 5-line block ×3, first 2 shown]
	v_add3_u32 v163, v113, v19, s18
	v_mov_b32_e32 v19, 0x2080
	v_mad_u32_u24 v172, v0, s0, v19
	v_mov_b32_e32 v19, 0x4100
	v_mad_u32_u24 v173, v0, s0, v19
	v_mov_b32_e32 v19, 0x6180
	v_lshlrev_b32_e32 v47, 7, v32
	v_lshlrev_b32_e32 v48, 7, v33
	;; [unrolled: 1-line block ×7, first 2 shown]
	v_mad_u32_u24 v174, v0, s0, v19
	v_mov_b32_e32 v20, s3
	v_add_co_u32_e32 v19, vcc, s2, v115
	s_movk_i32 s5, 0xb0
	s_mov_b32 s9, 0
	v_mov_b32_e32 v107, 0
	v_and_b32_e32 v114, 0x7c, v113
	v_or_b32_e32 v117, 1, v116
	v_lshrrev_b32_e32 v148, 3, v0
	v_lshlrev_b32_e32 v164, 5, v32
	v_lshlrev_b32_e32 v165, 5, v33
	;; [unrolled: 1-line block ×7, first 2 shown]
	v_mul_u32_u24_e32 v171, 0x104, v0
	v_addc_co_u32_e32 v20, vcc, 0, v20, vcc
	s_mov_b32 s11, 0x10101010
	v_lshlrev_b32_e32 v175, 2, v39
	v_lshlrev_b32_e32 v176, 2, v40
	s_mov_b32 s16, 0x30303030
	v_add_u32_e32 v177, v41, v42
	v_add_u32_e32 v178, v43, v44
	;; [unrolled: 1-line block ×10, first 2 shown]
	v_lshlrev_b32_e32 v187, 2, v26
	v_lshlrev_b32_e32 v188, 2, v27
	;; [unrolled: 1-line block ×3, first 2 shown]
	v_mov_b32_e32 v131, 0
	v_mov_b32_e32 v110, 0
	;; [unrolled: 1-line block ×31, first 2 shown]
.LBB174_5:                              ; =>This Loop Header: Depth=1
                                        ;     Child Loop BB174_6 Depth 2
                                        ;     Child Loop BB174_8 Depth 2
	s_mul_i32 s0, s9, 0xb0
	s_mul_hi_u32 s1, s9, 0xb0
	s_add_u32 s0, s7, s0
	s_addc_u32 s1, s8, s1
	v_mov_b32_e32 v22, s1
	v_mov_b32_e32 v21, s0
	v_mad_u64_u32 v[23:24], s[0:1], v112, s5, v[21:22]
	s_lshl_b32 s17, s9, 3
	v_add_u32_e32 v195, s17, v18
	v_mad_i64_i32 v[25:26], s[0:1], v118, s5, v[23:24]
	v_mad_i64_i32 v[29:30], s[0:1], v120, s5, v[23:24]
	v_add_co_u32_e32 v27, vcc, v25, v114
	v_addc_co_u32_e32 v28, vcc, 0, v26, vcc
	v_add_co_u32_e32 v25, vcc, v25, v115
	v_addc_co_u32_e32 v26, vcc, 0, v26, vcc
	;; [unrolled: 2-line block ×3, first 2 shown]
	global_load_dword v35, v[27:28], off offset:48
	global_load_dword v36, v[25:26], off offset:16
	;; [unrolled: 1-line block ×3, first 2 shown]
	v_add_co_u32_e32 v25, vcc, v29, v115
	v_addc_co_u32_e32 v26, vcc, 0, v30, vcc
	global_load_dword v38, v[25:26], off offset:16
	v_mad_i64_i32 v[25:26], s[0:1], v121, s5, v[23:24]
	v_mad_i64_i32 v[27:28], s[0:1], v122, s5, v[23:24]
	v_add_co_u32_e32 v31, vcc, v25, v114
	v_addc_co_u32_e32 v32, vcc, 0, v26, vcc
	v_add_co_u32_e32 v25, vcc, v25, v115
	v_addc_co_u32_e32 v26, vcc, 0, v26, vcc
	global_load_dword v39, v[31:32], off offset:48
	global_load_dword v40, v[25:26], off offset:16
	v_add_co_u32_e32 v25, vcc, v27, v114
	v_addc_co_u32_e32 v26, vcc, 0, v28, vcc
	global_load_dword v41, v[25:26], off offset:48
	v_add_co_u32_e32 v25, vcc, v27, v115
	v_addc_co_u32_e32 v26, vcc, 0, v28, vcc
	global_load_dword v42, v[25:26], off offset:16
	v_mad_i64_i32 v[29:30], s[0:1], v123, s5, v[23:24]
	v_mad_i64_i32 v[25:26], s[0:1], v124, s5, v[23:24]
	v_add_co_u32_e32 v31, vcc, v29, v114
	v_addc_co_u32_e32 v32, vcc, 0, v30, vcc
	v_add_co_u32_e32 v29, vcc, v29, v115
	v_addc_co_u32_e32 v30, vcc, 0, v30, vcc
	v_mad_i64_i32 v[27:28], s[0:1], v126, s5, v[23:24]
	v_add_co_u32_e32 v33, vcc, v25, v114
	global_load_dword v31, v[31:32], off offset:48
	s_nop 0
	global_load_dword v29, v[29:30], off offset:16
	v_addc_co_u32_e32 v34, vcc, 0, v26, vcc
	v_add_co_u32_e32 v25, vcc, v25, v115
	v_addc_co_u32_e32 v26, vcc, 0, v26, vcc
	s_mov_b32 s18, 0
	s_waitcnt vmcnt(9)
	v_and_b32_e32 v30, 0xf0f0f0f, v35
	v_lshrrev_b32_e32 v32, 4, v35
	s_waitcnt vmcnt(8)
	v_ashrrev_i32_e32 v35, v116, v36
	v_ashrrev_i32_e32 v36, v117, v36
	v_and_b32_e32 v32, 0xf0f0f0f, v32
	v_lshlrev_b32_e32 v35, 4, v35
	v_lshlrev_b32_e32 v36, 4, v36
	v_and_or_b32 v30, v35, s11, v30
	v_and_or_b32 v32, v36, s11, v32
	ds_write2_b32 v2, v30, v32 offset1:8
	global_load_dword v30, v[33:34], off offset:48
	global_load_dword v32, v[25:26], off offset:16
	v_add_co_u32_e32 v25, vcc, v27, v114
	v_addc_co_u32_e32 v26, vcc, 0, v28, vcc
	v_add_co_u32_e32 v27, vcc, v27, v115
	v_addc_co_u32_e32 v28, vcc, 0, v28, vcc
	global_load_dword v33, v[25:26], off offset:48
	global_load_dword v34, v[27:28], off offset:16
	v_mad_i64_i32 v[25:26], s[0:1], v127, s5, v[23:24]
	s_waitcnt vmcnt(11)
	v_and_b32_e32 v43, 0xf0f0f0f, v37
	v_lshrrev_b32_e32 v37, 4, v37
	v_add_co_u32_e32 v27, vcc, v25, v114
	v_addc_co_u32_e32 v28, vcc, 0, v26, vcc
	s_waitcnt vmcnt(10)
	v_ashrrev_i32_e32 v44, v116, v38
	v_ashrrev_i32_e32 v38, v117, v38
	v_add_co_u32_e32 v25, vcc, v25, v115
	v_and_b32_e32 v37, 0xf0f0f0f, v37
	v_lshlrev_b32_e32 v44, 4, v44
	v_lshlrev_b32_e32 v38, 4, v38
	v_addc_co_u32_e32 v26, vcc, 0, v26, vcc
	v_and_or_b32 v35, v44, s11, v43
	global_load_dword v36, v[27:28], off offset:48
	global_load_dword v43, v[25:26], off offset:16
	v_and_or_b32 v25, v38, s11, v37
	s_waitcnt vmcnt(11)
	v_lshrrev_b32_e32 v26, 4, v39
	s_waitcnt vmcnt(10)
	v_ashrrev_i32_e32 v27, v116, v40
	v_ashrrev_i32_e32 v28, v117, v40
	ds_write2_b32 v3, v35, v25 offset1:8
	v_and_b32_e32 v25, 0xf0f0f0f, v39
	v_and_b32_e32 v26, 0xf0f0f0f, v26
	v_lshlrev_b32_e32 v27, 4, v27
	v_lshlrev_b32_e32 v28, 4, v28
	v_and_or_b32 v25, v27, s11, v25
	v_and_or_b32 v26, v28, s11, v26
	ds_write2_b32 v4, v25, v26 offset1:8
	s_waitcnt vmcnt(9)
	v_lshrrev_b32_e32 v25, 4, v41
	v_and_b32_e32 v35, 0xf0f0f0f, v25
	s_waitcnt vmcnt(8)
	v_ashrrev_i32_e32 v25, v116, v42
	v_lshlrev_b32_e32 v28, 4, v25
	v_mad_i64_i32 v[25:26], s[0:1], v128, s5, v[23:24]
	v_and_b32_e32 v27, 0xf0f0f0f, v41
	v_and_or_b32 v38, v28, s11, v27
	v_add_co_u32_e32 v27, vcc, v25, v114
	v_addc_co_u32_e32 v28, vcc, 0, v26, vcc
	v_add_co_u32_e32 v25, vcc, v25, v115
	v_addc_co_u32_e32 v26, vcc, 0, v26, vcc
	global_load_dword v39, v[27:28], off offset:48
	global_load_dword v40, v[25:26], off offset:16
	v_mad_i64_i32 v[27:28], s[0:1], v129, s5, v[23:24]
	v_ashrrev_i32_e32 v37, v117, v42
	v_lshlrev_b32_e32 v37, 4, v37
	v_add_co_u32_e32 v25, vcc, v27, v114
	v_addc_co_u32_e32 v26, vcc, 0, v28, vcc
	global_load_dword v41, v[25:26], off offset:48
	v_add_co_u32_e32 v25, vcc, v27, v115
	v_addc_co_u32_e32 v26, vcc, 0, v28, vcc
	global_load_dword v42, v[25:26], off offset:16
	v_and_or_b32 v25, v37, s11, v35
	s_waitcnt vmcnt(11)
	v_lshrrev_b32_e32 v26, 4, v31
	s_waitcnt vmcnt(10)
	v_ashrrev_i32_e32 v27, v116, v29
	v_ashrrev_i32_e32 v28, v117, v29
	ds_write2_b32 v5, v38, v25 offset1:8
	v_and_b32_e32 v25, 0xf0f0f0f, v31
	v_and_b32_e32 v26, 0xf0f0f0f, v26
	v_lshlrev_b32_e32 v27, 4, v27
	v_lshlrev_b32_e32 v28, 4, v28
	v_and_or_b32 v25, v27, s11, v25
	v_and_or_b32 v26, v28, s11, v26
	ds_write2_b32 v6, v25, v26 offset1:8
	s_waitcnt vmcnt(9)
	v_lshrrev_b32_e32 v26, 4, v30
	s_waitcnt vmcnt(8)
	v_ashrrev_i32_e32 v27, v116, v32
	v_ashrrev_i32_e32 v28, v117, v32
	v_and_b32_e32 v25, 0xf0f0f0f, v30
	v_and_b32_e32 v26, 0xf0f0f0f, v26
	v_lshlrev_b32_e32 v27, 4, v27
	v_lshlrev_b32_e32 v28, 4, v28
	v_and_or_b32 v25, v27, s11, v25
	v_and_or_b32 v26, v28, s11, v26
	ds_write2_b32 v7, v25, v26 offset1:8
	s_waitcnt vmcnt(7)
	v_lshrrev_b32_e32 v26, 4, v33
	s_waitcnt vmcnt(6)
	v_ashrrev_i32_e32 v27, v116, v34
	v_ashrrev_i32_e32 v28, v117, v34
	v_and_b32_e32 v25, 0xf0f0f0f, v33
	v_and_b32_e32 v26, 0xf0f0f0f, v26
	v_lshlrev_b32_e32 v27, 4, v27
	v_lshlrev_b32_e32 v28, 4, v28
	v_and_or_b32 v25, v27, s11, v25
	v_and_or_b32 v26, v28, s11, v26
	ds_write2_b32 v8, v25, v26 offset1:8
	v_mad_i64_i32 v[33:34], s[0:1], v135, s5, v[23:24]
	s_waitcnt vmcnt(5)
	v_lshrrev_b32_e32 v26, 4, v36
	v_and_b32_e32 v27, 0xf0f0f0f, v26
	s_waitcnt vmcnt(4)
	v_ashrrev_i32_e32 v26, v116, v43
	v_and_b32_e32 v25, 0xf0f0f0f, v36
	v_lshlrev_b32_e32 v26, 4, v26
	v_and_or_b32 v29, v26, s11, v25
	v_mad_i64_i32 v[25:26], s[0:1], v130, s5, v[23:24]
	v_ashrrev_i32_e32 v28, v117, v43
	v_lshlrev_b32_e32 v28, 4, v28
	v_and_or_b32 v27, v28, s11, v27
	ds_write2_b32 v9, v29, v27 offset1:8
	v_add_co_u32_e32 v27, vcc, v25, v114
	v_mad_i64_i32 v[29:30], s[0:1], v132, s5, v[23:24]
	v_addc_co_u32_e32 v28, vcc, 0, v26, vcc
	v_add_co_u32_e32 v25, vcc, v25, v115
	v_addc_co_u32_e32 v26, vcc, 0, v26, vcc
	v_add_co_u32_e32 v31, vcc, v29, v114
	;; [unrolled: 2-line block ×3, first 2 shown]
	v_addc_co_u32_e32 v30, vcc, 0, v30, vcc
	global_load_dword v43, v[27:28], off offset:48
	global_load_dword v44, v[25:26], off offset:16
	;; [unrolled: 1-line block ×4, first 2 shown]
	s_waitcnt vmcnt(7)
	v_lshrrev_b32_e32 v26, 4, v39
	s_waitcnt vmcnt(6)
	v_ashrrev_i32_e32 v27, v116, v40
	v_ashrrev_i32_e32 v28, v117, v40
	v_and_b32_e32 v25, 0xf0f0f0f, v39
	v_and_b32_e32 v26, 0xf0f0f0f, v26
	v_lshlrev_b32_e32 v27, 4, v27
	v_lshlrev_b32_e32 v28, 4, v28
	v_and_or_b32 v25, v27, s11, v25
	v_and_or_b32 v26, v28, s11, v26
	ds_write2_b32 v10, v25, v26 offset1:8
	s_waitcnt vmcnt(5)
	v_lshrrev_b32_e32 v26, 4, v41
	v_and_b32_e32 v27, 0xf0f0f0f, v26
	v_and_b32_e32 v25, 0xf0f0f0f, v41
	s_waitcnt vmcnt(4)
	v_ashrrev_i32_e32 v26, v116, v42
	v_lshlrev_b32_e32 v26, 4, v26
	v_and_or_b32 v29, v26, s11, v25
	v_mad_i64_i32 v[25:26], s[0:1], v133, s5, v[23:24]
	v_ashrrev_i32_e32 v28, v117, v42
	v_lshlrev_b32_e32 v28, 4, v28
	v_and_or_b32 v27, v28, s11, v27
	ds_write2_b32 v11, v29, v27 offset1:8
	v_add_co_u32_e32 v27, vcc, v25, v114
	v_mad_i64_i32 v[29:30], s[0:1], v134, s5, v[23:24]
	v_addc_co_u32_e32 v28, vcc, 0, v26, vcc
	v_add_co_u32_e32 v25, vcc, v25, v115
	v_addc_co_u32_e32 v26, vcc, 0, v26, vcc
	v_add_co_u32_e32 v31, vcc, v29, v114
	;; [unrolled: 2-line block ×4, first 2 shown]
	v_mad_i64_i32 v[23:24], s[0:1], v136, s5, v[23:24]
	v_addc_co_u32_e32 v36, vcc, 0, v34, vcc
	v_add_co_u32_e32 v33, vcc, v33, v115
	v_addc_co_u32_e32 v34, vcc, 0, v34, vcc
	v_add_co_u32_e32 v37, vcc, v23, v114
	;; [unrolled: 2-line block ×3, first 2 shown]
	v_addc_co_u32_e32 v24, vcc, 0, v24, vcc
	global_load_dword v39, v[27:28], off offset:48
	global_load_dword v40, v[25:26], off offset:16
	;; [unrolled: 1-line block ×8, first 2 shown]
	v_mad_i64_i32 v[23:24], s[0:1], v143, s5, v[21:22]
	v_mad_i64_i32 v[25:26], s[0:1], v138, s5, v[21:22]
	v_add_co_u32_e32 v27, vcc, v23, v175
	v_mad_i64_i32 v[21:22], s[0:1], v145, s5, v[21:22]
	v_addc_co_u32_e32 v28, vcc, 0, v24, vcc
	v_add_co_u32_e32 v23, vcc, v23, v176
	v_addc_co_u32_e32 v24, vcc, 0, v24, vcc
	v_add_co_u32_e32 v29, vcc, v21, v175
	;; [unrolled: 2-line block ×3, first 2 shown]
	v_add_u32_e32 v35, s17, v148
	v_addc_co_u32_e32 v22, vcc, 0, v22, vcc
	global_load_dword v51, v[25:26], off
	global_load_dword v52, v[27:28], off offset:4
	global_load_dword v53, v[23:24], off offset:4
	;; [unrolled: 1-line block ×4, first 2 shown]
	v_add_u32_e32 v21, v35, v149
	v_mad_i64_i32 v[21:22], s[0:1], v21, 36, v[19:20]
	v_add_u32_e32 v23, v35, v150
	v_mad_i64_i32 v[23:24], s[0:1], v23, 36, v[19:20]
	;; [unrolled: 2-line block ×3, first 2 shown]
	v_add_u32_e32 v27, v35, v152
	v_add_u32_e32 v29, v35, v153
	v_mad_i64_i32 v[27:28], s[0:1], v27, 36, v[19:20]
	v_mad_i64_i32 v[29:30], s[0:1], v29, 36, v[19:20]
	v_add_u32_e32 v31, v35, v154
	v_add_u32_e32 v33, v35, v155
	;; [unrolled: 1-line block ×3, first 2 shown]
	v_mad_i64_i32 v[31:32], s[0:1], v31, 36, v[19:20]
	v_mad_i64_i32 v[33:34], s[0:1], v33, 36, v[19:20]
	;; [unrolled: 1-line block ×3, first 2 shown]
	v_mad_u64_u32 v[37:38], s[0:1], v195, 36, s[2:3]
	global_load_dword v21, v[21:22], off offset:4
	s_nop 0
	global_load_dword v22, v[23:24], off offset:4
	s_nop 0
	global_load_dword v23, v[25:26], off offset:4
	global_load_dword v24, v[27:28], off offset:4
	s_nop 0
	global_load_dword v25, v[29:30], off offset:4
	global_load_dword v26, v[31:32], off offset:4
	;; [unrolled: 1-line block ×4, first 2 shown]
	s_nop 0
	global_load_dword v29, v[37:38], off
	s_waitcnt vmcnt(25)
	v_lshrrev_b32_e32 v31, 4, v43
	s_waitcnt vmcnt(24)
	v_ashrrev_i32_e32 v32, v116, v44
	v_ashrrev_i32_e32 v33, v117, v44
	v_and_b32_e32 v30, 0xf0f0f0f, v43
	v_and_b32_e32 v31, 0xf0f0f0f, v31
	v_lshlrev_b32_e32 v32, 4, v32
	v_lshlrev_b32_e32 v33, 4, v33
	v_and_or_b32 v30, v32, s11, v30
	v_and_or_b32 v31, v33, s11, v31
	ds_write2_b32 v12, v30, v31 offset1:8
	s_waitcnt vmcnt(23)
	v_lshrrev_b32_e32 v31, 4, v45
	s_waitcnt vmcnt(22)
	v_ashrrev_i32_e32 v32, v116, v46
	v_ashrrev_i32_e32 v33, v117, v46
	v_and_b32_e32 v30, 0xf0f0f0f, v45
	v_and_b32_e32 v31, 0xf0f0f0f, v31
	v_lshlrev_b32_e32 v32, 4, v32
	v_lshlrev_b32_e32 v33, 4, v33
	v_and_or_b32 v30, v32, s11, v30
	v_and_or_b32 v31, v33, s11, v31
	ds_write2_b32 v13, v30, v31 offset1:8
	s_mov_b64 s[0:1], -1
	s_waitcnt vmcnt(21)
	v_lshrrev_b32_e32 v31, 4, v39
	s_waitcnt vmcnt(20)
	v_ashrrev_i32_e32 v32, v116, v40
	v_ashrrev_i32_e32 v33, v117, v40
	v_and_b32_e32 v30, 0xf0f0f0f, v39
	v_and_b32_e32 v31, 0xf0f0f0f, v31
	v_lshlrev_b32_e32 v32, 4, v32
	v_lshlrev_b32_e32 v33, 4, v33
	v_and_or_b32 v30, v32, s11, v30
	v_and_or_b32 v31, v33, s11, v31
	ds_write2_b32 v14, v30, v31 offset1:8
	s_waitcnt vmcnt(19)
	v_lshrrev_b32_e32 v31, 4, v41
	s_waitcnt vmcnt(18)
	v_ashrrev_i32_e32 v32, v116, v42
	v_ashrrev_i32_e32 v33, v117, v42
	v_and_b32_e32 v30, 0xf0f0f0f, v41
	v_and_b32_e32 v31, 0xf0f0f0f, v31
	v_lshlrev_b32_e32 v32, 4, v32
	v_lshlrev_b32_e32 v33, 4, v33
	v_and_or_b32 v30, v32, s11, v30
	v_and_or_b32 v31, v33, s11, v31
	ds_write2_b32 v15, v30, v31 offset1:8
	;; [unrolled: 12-line block ×4, first 2 shown]
	s_waitcnt vmcnt(13)
	ds_write_b32 v139, v51
	s_waitcnt vmcnt(12)
	v_ashrrev_i32_e32 v30, v141, v52
	v_and_b32_e32 v30, 0xf0f0f0f, v30
	s_waitcnt vmcnt(11)
	v_ashrrev_i32_e32 v31, v142, v53
	v_and_or_b32 v30, v31, s16, v30
	ds_write_b32 v177, v30
	s_waitcnt vmcnt(10)
	v_ashrrev_i32_e32 v30, v141, v54
	v_and_b32_e32 v30, 0xf0f0f0f, v30
	s_waitcnt vmcnt(9)
	v_ashrrev_i32_e32 v31, v142, v55
	v_and_or_b32 v30, v31, s16, v30
	ds_write_b32 v178, v30
	s_waitcnt vmcnt(8)
	ds_write_b32 v179, v21
	s_waitcnt vmcnt(7)
	;; [unrolled: 2-line block ×9, first 2 shown]
	ds_write_b32 v147, v29
	s_waitcnt lgkmcnt(0)
	s_barrier
	ds_read_b32 v21, v157
	ds_read_b32 v22, v159 offset:128
	ds_read_b32 v23, v161 offset:256
	;; [unrolled: 1-line block ×3, first 2 shown]
	s_waitcnt lgkmcnt(3)
	v_cvt_f32_f16_e32 v196, v21
	v_cvt_f32_f16_sdwa v197, v21 dst_sel:DWORD dst_unused:UNUSED_PAD src0_sel:WORD_1
	s_waitcnt lgkmcnt(2)
	v_cvt_f32_f16_sdwa v198, v22 dst_sel:DWORD dst_unused:UNUSED_PAD src0_sel:WORD_1
	v_cvt_f32_f16_e32 v199, v22
	s_waitcnt lgkmcnt(1)
	v_cvt_f32_f16_sdwa v200, v23 dst_sel:DWORD dst_unused:UNUSED_PAD src0_sel:WORD_1
	v_cvt_f32_f16_e32 v201, v23
	;; [unrolled: 3-line block ×3, first 2 shown]
.LBB174_6:                              ;   Parent Loop BB174_5 Depth=1
                                        ; =>  This Inner Loop Header: Depth=2
	s_lshl_b32 s19, s18, 1
	s_lshr_b32 s20, s18, 2
	v_or_b32_e32 v21, s19, v137
	s_lshl_b32 s18, s18, 3
	v_lshlrev_b32_e32 v22, 2, v21
	v_add_u32_e32 v35, s18, v171
	v_lshrrev_b32_e32 v37, 1, v21
	ds_read_b128 v[71:74], v22 offset:33280
	ds_read_b128 v[75:78], v22 offset:33296
	ds_read_b128 v[79:82], v22 offset:33312
	ds_read_b128 v[218:221], v22 offset:33328
	ds_read2_b32 v[21:22], v35 offset1:1
	s_add_i32 s20, s20, 0xa200
	v_lshlrev_b32_e32 v190, 2, v148
	v_lshlrev_b32_e32 v191, 2, v113
	v_add3_u32 v29, s20, v190, v191
	s_waitcnt lgkmcnt(0)
	v_dot4_i32_i8 v23, v21, v71, 0
	v_dot4_i32_i8 v25, v22, v72, v23
	ds_read2_b32 v[23:24], v35 offset0:2 offset1:3
	v_add_u32_e32 v51, s18, v172
	v_lshlrev_b32_e32 v192, 2, v158
	v_add3_u32 v45, s20, v192, v187
	v_add_u32_e32 v67, s18, v173
	s_waitcnt lgkmcnt(0)
	v_dot4_i32_i8 v25, v23, v73, v25
	v_dot4_i32_i8 v27, v24, v74, v25
	ds_read2_b32 v[25:26], v35 offset0:4 offset1:5
	v_lshlrev_b32_e32 v193, 2, v160
	v_add3_u32 v61, s20, v193, v188
	v_lshlrev_b32_e32 v194, 2, v162
	s_and_b64 vcc, exec, s[0:1]
	s_waitcnt lgkmcnt(0)
	v_dot4_i32_i8 v27, v25, v75, v27
	v_dot4_i32_i8 v30, v26, v76, v27
	ds_read2_b32 v[27:28], v35 offset0:6 offset1:7
	s_mov_b64 s[0:1], 0
	s_waitcnt lgkmcnt(0)
	v_dot4_i32_i8 v30, v27, v77, v30
	v_dot4_i32_i8 v38, v28, v78, v30
	ds_read_u16 v39, v29
	ds_read_u8 v30, v29 offset:8
	ds_read_u8 v40, v29 offset:9
	ds_read_b64 v[222:223], v37 offset:43584
	s_waitcnt lgkmcnt(3)
	v_and_b32_e32 v207, 0xff, v39
	s_waitcnt lgkmcnt(2)
	v_cvt_f32_ubyte0_e32 v204, v30
	ds_read2_b32 v[29:30], v35 offset0:8 offset1:9
	v_lshrrev_b16_e32 v205, 8, v39
	v_mul_lo_u32 v37, v38, v207
	s_waitcnt lgkmcnt(1)
	v_fma_mix_f32 v39, v222, v204, 0 op_sel:[1,0,0] op_sel_hi:[1,0,0]
	v_cvt_f32_ubyte0_e32 v206, v40
	s_waitcnt lgkmcnt(0)
	v_dot4_i32_i8 v31, v29, v79, 0
	v_dot4_i32_i8 v33, v30, v80, v31
	ds_read2_b32 v[31:32], v35 offset0:10 offset1:11
	v_cvt_f32_i32_e32 v37, v37
	s_waitcnt lgkmcnt(0)
	v_dot4_i32_i8 v33, v31, v81, v33
	v_dot4_i32_i8 v36, v32, v82, v33
	ds_read2_b32 v[33:34], v35 offset0:12 offset1:13
	v_fma_mix_f32 v37, v222, v37, 0 op_sel_hi:[1,0,0]
	s_waitcnt lgkmcnt(0)
	v_dot4_i32_i8 v36, v33, v218, v36
	v_dot4_i32_i8 v41, v34, v219, v36
	ds_read2_b32 v[35:36], v35 offset0:14 offset1:15
	s_waitcnt lgkmcnt(0)
	v_dot4_i32_i8 v41, v35, v220, v41
	v_dot4_i32_i8 v41, v36, v221, v41
	v_mul_lo_u32 v38, v41, v205
	v_cvt_f32_i32_e32 v38, v38
	v_fma_mix_f32 v37, v223, v38, v37 op_sel_hi:[1,0,0]
	v_fma_mix_f32 v38, v223, v206, v39 op_sel:[1,0,0] op_sel_hi:[1,0,0]
	v_mul_f32_e32 v38, v38, v197
	v_fma_f32 v37, v37, v196, -v38
	v_add_f32_e32 v107, v107, v37
	ds_read2_b32 v[37:38], v51 offset1:1
	s_waitcnt lgkmcnt(0)
	v_dot4_i32_i8 v39, v37, v71, 0
	v_dot4_i32_i8 v41, v38, v72, v39
	ds_read2_b32 v[39:40], v51 offset0:2 offset1:3
	s_waitcnt lgkmcnt(0)
	v_dot4_i32_i8 v41, v39, v73, v41
	v_dot4_i32_i8 v43, v40, v74, v41
	ds_read2_b32 v[41:42], v51 offset0:4 offset1:5
	;; [unrolled: 4-line block ×3, first 2 shown]
	ds_read_u16 v53, v45
	ds_read_u16 v54, v45 offset:8
	s_waitcnt lgkmcnt(2)
	v_dot4_i32_i8 v46, v43, v77, v46
	v_dot4_i32_i8 v46, v44, v78, v46
	s_waitcnt lgkmcnt(1)
	v_and_b32_e32 v208, 0xff, v53
	v_mul_lo_u32 v45, v46, v208
	v_lshrrev_b16_e32 v210, 8, v53
	s_waitcnt lgkmcnt(0)
	v_cvt_f32_ubyte0_e32 v209, v54
	v_cvt_f32_ubyte1_e32 v211, v54
	v_cvt_f32_i32_e32 v55, v45
	ds_read2_b32 v[45:46], v51 offset0:8 offset1:9
	v_fma_mix_f32 v54, v222, v209, 0 op_sel:[1,0,0] op_sel_hi:[1,0,0]
	v_fma_mix_f32 v54, v223, v211, v54 op_sel:[1,0,0] op_sel_hi:[1,0,0]
	v_fma_mix_f32 v55, v222, v55, 0 op_sel_hi:[1,0,0]
	v_mul_f32_e32 v54, v54, v198
	s_waitcnt lgkmcnt(0)
	v_dot4_i32_i8 v47, v45, v79, 0
	v_dot4_i32_i8 v49, v46, v80, v47
	ds_read2_b32 v[47:48], v51 offset0:10 offset1:11
	s_waitcnt lgkmcnt(0)
	v_dot4_i32_i8 v49, v47, v81, v49
	v_dot4_i32_i8 v52, v48, v82, v49
	ds_read2_b32 v[49:50], v51 offset0:12 offset1:13
	;; [unrolled: 4-line block ×3, first 2 shown]
	s_waitcnt lgkmcnt(0)
	v_dot4_i32_i8 v56, v51, v220, v56
	v_dot4_i32_i8 v56, v52, v221, v56
	v_mul_lo_u32 v53, v56, v210
	v_cvt_f32_i32_e32 v53, v53
	v_fma_mix_f32 v53, v223, v53, v55 op_sel_hi:[1,0,0]
	v_fma_f32 v53, v53, v199, -v54
	v_add_f32_e32 v146, v146, v53
	ds_read2_b32 v[53:54], v67 offset1:1
	s_waitcnt lgkmcnt(0)
	v_dot4_i32_i8 v55, v53, v71, 0
	v_dot4_i32_i8 v57, v54, v72, v55
	ds_read2_b32 v[55:56], v67 offset0:2 offset1:3
	s_waitcnt lgkmcnt(0)
	v_dot4_i32_i8 v57, v55, v73, v57
	v_dot4_i32_i8 v59, v56, v74, v57
	ds_read2_b32 v[57:58], v67 offset0:4 offset1:5
	;; [unrolled: 4-line block ×3, first 2 shown]
	ds_read_u16 v69, v61
	ds_read_u16 v70, v61 offset:8
	s_waitcnt lgkmcnt(2)
	v_dot4_i32_i8 v62, v59, v77, v62
	v_dot4_i32_i8 v62, v60, v78, v62
	s_waitcnt lgkmcnt(1)
	v_and_b32_e32 v212, 0xff, v69
	v_mul_lo_u32 v61, v62, v212
	v_lshrrev_b16_e32 v214, 8, v69
	s_waitcnt lgkmcnt(0)
	v_cvt_f32_ubyte0_e32 v213, v70
	v_cvt_f32_ubyte1_e32 v215, v70
	v_cvt_f32_i32_e32 v83, v61
	ds_read2_b32 v[61:62], v67 offset0:8 offset1:9
	v_fma_mix_f32 v70, v222, v213, 0 op_sel:[1,0,0] op_sel_hi:[1,0,0]
	v_fma_mix_f32 v70, v223, v215, v70 op_sel:[1,0,0] op_sel_hi:[1,0,0]
	v_fma_mix_f32 v83, v222, v83, 0 op_sel_hi:[1,0,0]
	v_mul_f32_e32 v70, v70, v200
	s_waitcnt lgkmcnt(0)
	v_dot4_i32_i8 v63, v61, v79, 0
	v_dot4_i32_i8 v65, v62, v80, v63
	ds_read2_b32 v[63:64], v67 offset0:10 offset1:11
	s_waitcnt lgkmcnt(0)
	v_dot4_i32_i8 v65, v63, v81, v65
	v_dot4_i32_i8 v68, v64, v82, v65
	ds_read2_b32 v[65:66], v67 offset0:12 offset1:13
	;; [unrolled: 4-line block ×3, first 2 shown]
	s_waitcnt lgkmcnt(0)
	v_dot4_i32_i8 v84, v67, v220, v84
	v_dot4_i32_i8 v84, v68, v221, v84
	v_mul_lo_u32 v69, v84, v214
	v_add_u32_e32 v84, s18, v174
	s_mov_b32 s18, 8
	v_cvt_f32_i32_e32 v69, v69
	v_fma_mix_f32 v69, v223, v69, v83 op_sel_hi:[1,0,0]
	v_fma_f32 v69, v69, v201, -v70
	v_add_f32_e32 v144, v144, v69
	ds_read2_b32 v[69:70], v84 offset1:1
	v_add3_u32 v83, s20, v194, v189
	s_waitcnt lgkmcnt(0)
	v_dot4_i32_i8 v71, v69, v71, 0
	v_dot4_i32_i8 v216, v70, v72, v71
	ds_read2_b32 v[71:72], v84 offset0:2 offset1:3
	s_waitcnt lgkmcnt(0)
	v_dot4_i32_i8 v73, v71, v73, v216
	v_dot4_i32_i8 v216, v72, v74, v73
	ds_read2_b32 v[73:74], v84 offset0:4 offset1:5
	s_waitcnt lgkmcnt(0)
	v_dot4_i32_i8 v75, v73, v75, v216
	v_dot4_i32_i8 v216, v74, v76, v75
	ds_read2_b32 v[75:76], v84 offset0:6 offset1:7
	ds_read_u16 v224, v83
	ds_read_u16 v225, v83 offset:8
	s_waitcnt lgkmcnt(2)
	v_dot4_i32_i8 v77, v75, v77, v216
	v_dot4_i32_i8 v77, v76, v78, v77
	s_waitcnt lgkmcnt(1)
	v_and_b32_e32 v216, 0xff, v224
	v_mul_lo_u32 v77, v77, v216
	s_waitcnt lgkmcnt(0)
	v_cvt_f32_ubyte0_e32 v217, v225
	v_cvt_f32_i32_e32 v226, v77
	ds_read2_b32 v[77:78], v84 offset0:8 offset1:9
	s_waitcnt lgkmcnt(0)
	v_dot4_i32_i8 v79, v77, v79, 0
	v_dot4_i32_i8 v83, v78, v80, v79
	ds_read2_b32 v[79:80], v84 offset0:10 offset1:11
	s_waitcnt lgkmcnt(0)
	v_dot4_i32_i8 v81, v79, v81, v83
	v_dot4_i32_i8 v83, v80, v82, v81
	;; [unrolled: 4-line block ×4, first 2 shown]
	v_lshrrev_b16_e32 v218, 8, v224
	v_mul_lo_u32 v219, v219, v218
	v_fma_mix_f32 v221, v222, v217, 0 op_sel:[1,0,0] op_sel_hi:[1,0,0]
	v_fma_mix_f32 v222, v222, v226, 0 op_sel_hi:[1,0,0]
	v_cvt_f32_i32_e32 v220, v219
	v_cvt_f32_ubyte1_e32 v219, v225
	v_fma_mix_f32 v221, v223, v219, v221 op_sel:[1,0,0] op_sel_hi:[1,0,0]
	v_mul_f32_e32 v221, v221, v202
	v_fma_mix_f32 v220, v223, v220, v222 op_sel_hi:[1,0,0]
	v_fma_f32 v220, v220, v203, -v221
	v_add_f32_e32 v140, v140, v220
	v_or_b32_e32 v220, s19, v164
	v_lshlrev_b32_e32 v232, 2, v220
	v_lshrrev_b32_e32 v236, 1, v220
	ds_read_b128 v[220:223], v232 offset:33280
	ds_read_b128 v[224:227], v232 offset:33296
	;; [unrolled: 1-line block ×4, first 2 shown]
	ds_read_b64 v[236:237], v236 offset:43584
	s_waitcnt lgkmcnt(4)
	v_dot4_i32_i8 v238, v21, v220, 0
	v_dot4_i32_i8 v238, v22, v221, v238
	s_waitcnt lgkmcnt(2)
	v_dot4_i32_i8 v240, v29, v228, 0
	v_dot4_i32_i8 v238, v23, v222, v238
	;; [unrolled: 1-line block ×8, first 2 shown]
	s_waitcnt lgkmcnt(1)
	v_dot4_i32_i8 v240, v33, v232, v240
	v_dot4_i32_i8 v238, v27, v226, v238
	;; [unrolled: 1-line block ×5, first 2 shown]
	v_mul_lo_u32 v238, v238, v207
	v_dot4_i32_i8 v240, v36, v235, v240
	v_mul_lo_u32 v240, v240, v205
	s_waitcnt lgkmcnt(0)
	v_fma_mix_f32 v239, v204, v236, 0 op_sel:[0,1,0] op_sel_hi:[0,1,0]
	v_cvt_f32_i32_e32 v238, v238
	v_fma_mix_f32 v239, v206, v237, v239 op_sel:[0,1,0] op_sel_hi:[0,1,0]
	v_cvt_f32_i32_e32 v240, v240
	v_mul_f32_e32 v239, v239, v197
	v_fma_mix_f32 v238, v238, v236, 0 op_sel_hi:[0,1,0]
	v_fma_mix_f32 v238, v240, v237, v238 op_sel_hi:[0,1,0]
	v_fma_f32 v238, v238, v196, -v239
	v_add_f32_e32 v131, v131, v238
	v_dot4_i32_i8 v238, v37, v220, 0
	v_dot4_i32_i8 v238, v38, v221, v238
	;; [unrolled: 1-line block ×15, first 2 shown]
	v_mul_lo_u32 v238, v238, v208
	v_dot4_i32_i8 v240, v52, v235, v240
	v_mul_lo_u32 v240, v240, v210
	v_fma_mix_f32 v239, v209, v236, 0 op_sel:[0,1,0] op_sel_hi:[0,1,0]
	v_cvt_f32_i32_e32 v238, v238
	v_fma_mix_f32 v239, v211, v237, v239 op_sel:[0,1,0] op_sel_hi:[0,1,0]
	v_cvt_f32_i32_e32 v240, v240
	v_mul_f32_e32 v239, v239, v198
	v_fma_mix_f32 v238, v238, v236, 0 op_sel_hi:[0,1,0]
	v_fma_mix_f32 v238, v240, v237, v238 op_sel_hi:[0,1,0]
	v_fma_f32 v238, v238, v199, -v239
	v_add_f32_e32 v125, v125, v238
	v_dot4_i32_i8 v238, v53, v220, 0
	v_dot4_i32_i8 v220, v69, v220, 0
	v_dot4_i32_i8 v238, v54, v221, v238
	v_dot4_i32_i8 v220, v70, v221, v220
	v_dot4_i32_i8 v238, v55, v222, v238
	v_dot4_i32_i8 v220, v71, v222, v220
	v_dot4_i32_i8 v222, v77, v228, 0
	v_dot4_i32_i8 v222, v78, v229, v222
	v_dot4_i32_i8 v220, v72, v223, v220
	v_dot4_i32_i8 v222, v79, v230, v222
	v_dot4_i32_i8 v220, v73, v224, v220
	v_dot4_i32_i8 v222, v80, v231, v222
	v_dot4_i32_i8 v240, v61, v228, 0
	v_dot4_i32_i8 v220, v74, v225, v220
	v_dot4_i32_i8 v222, v81, v232, v222
	v_dot4_i32_i8 v240, v62, v229, v240
	v_dot4_i32_i8 v220, v75, v226, v220
	v_dot4_i32_i8 v222, v82, v233, v222
	v_dot4_i32_i8 v238, v56, v223, v238
	v_dot4_i32_i8 v240, v63, v230, v240
	v_dot4_i32_i8 v220, v76, v227, v220
	v_dot4_i32_i8 v222, v83, v234, v222
	v_dot4_i32_i8 v238, v57, v224, v238
	v_dot4_i32_i8 v240, v64, v231, v240
	v_mul_lo_u32 v220, v220, v216
	v_dot4_i32_i8 v222, v84, v235, v222
	v_dot4_i32_i8 v238, v58, v225, v238
	;; [unrolled: 1-line block ×3, first 2 shown]
	v_mul_lo_u32 v222, v222, v218
	v_dot4_i32_i8 v238, v59, v226, v238
	v_dot4_i32_i8 v240, v66, v233, v240
	;; [unrolled: 1-line block ×4, first 2 shown]
	v_mul_lo_u32 v238, v238, v212
	v_dot4_i32_i8 v240, v68, v235, v240
	v_cvt_f32_i32_e32 v220, v220
	v_mul_lo_u32 v240, v240, v214
	v_cvt_f32_i32_e32 v222, v222
	v_fma_mix_f32 v221, v217, v236, 0 op_sel:[0,1,0] op_sel_hi:[0,1,0]
	v_cvt_f32_i32_e32 v238, v238
	v_fma_mix_f32 v220, v220, v236, 0 op_sel_hi:[0,1,0]
	v_fma_mix_f32 v221, v219, v237, v221 op_sel:[0,1,0] op_sel_hi:[0,1,0]
	v_cvt_f32_i32_e32 v240, v240
	v_fma_mix_f32 v220, v222, v237, v220 op_sel_hi:[0,1,0]
	v_mul_f32_e32 v221, v221, v202
	v_fma_f32 v220, v220, v203, -v221
	v_fma_mix_f32 v239, v213, v236, 0 op_sel:[0,1,0] op_sel_hi:[0,1,0]
	v_add_f32_e32 v111, v111, v220
	v_or_b32_e32 v220, s19, v165
	v_fma_mix_f32 v238, v238, v236, 0 op_sel_hi:[0,1,0]
	v_fma_mix_f32 v239, v215, v237, v239 op_sel:[0,1,0] op_sel_hi:[0,1,0]
	v_lshlrev_b32_e32 v232, 2, v220
	v_lshrrev_b32_e32 v236, 1, v220
	v_fma_mix_f32 v238, v240, v237, v238 op_sel_hi:[0,1,0]
	v_mul_f32_e32 v239, v239, v200
	ds_read_b128 v[220:223], v232 offset:33280
	ds_read_b128 v[224:227], v232 offset:33296
	;; [unrolled: 1-line block ×4, first 2 shown]
	ds_read_b64 v[236:237], v236 offset:43584
	v_fma_f32 v238, v238, v201, -v239
	v_add_f32_e32 v119, v119, v238
	s_waitcnt lgkmcnt(4)
	v_dot4_i32_i8 v238, v21, v220, 0
	v_dot4_i32_i8 v238, v22, v221, v238
	s_waitcnt lgkmcnt(2)
	v_dot4_i32_i8 v240, v29, v228, 0
	v_dot4_i32_i8 v238, v23, v222, v238
	;; [unrolled: 1-line block ×8, first 2 shown]
	s_waitcnt lgkmcnt(1)
	v_dot4_i32_i8 v240, v33, v232, v240
	v_dot4_i32_i8 v238, v27, v226, v238
	;; [unrolled: 1-line block ×5, first 2 shown]
	v_mul_lo_u32 v238, v238, v207
	v_dot4_i32_i8 v240, v36, v235, v240
	v_mul_lo_u32 v240, v240, v205
	s_waitcnt lgkmcnt(0)
	v_fma_mix_f32 v239, v204, v236, 0 op_sel:[0,1,0] op_sel_hi:[0,1,0]
	v_cvt_f32_i32_e32 v238, v238
	v_fma_mix_f32 v239, v206, v237, v239 op_sel:[0,1,0] op_sel_hi:[0,1,0]
	v_cvt_f32_i32_e32 v240, v240
	v_mul_f32_e32 v239, v239, v197
	v_fma_mix_f32 v238, v238, v236, 0 op_sel_hi:[0,1,0]
	v_fma_mix_f32 v238, v240, v237, v238 op_sel_hi:[0,1,0]
	v_fma_f32 v238, v238, v196, -v239
	v_add_f32_e32 v110, v110, v238
	v_dot4_i32_i8 v238, v37, v220, 0
	v_dot4_i32_i8 v238, v38, v221, v238
	;; [unrolled: 1-line block ×15, first 2 shown]
	v_mul_lo_u32 v238, v238, v208
	v_dot4_i32_i8 v240, v52, v235, v240
	v_mul_lo_u32 v240, v240, v210
	v_fma_mix_f32 v239, v209, v236, 0 op_sel:[0,1,0] op_sel_hi:[0,1,0]
	v_cvt_f32_i32_e32 v238, v238
	v_fma_mix_f32 v239, v211, v237, v239 op_sel:[0,1,0] op_sel_hi:[0,1,0]
	v_cvt_f32_i32_e32 v240, v240
	v_mul_f32_e32 v239, v239, v198
	v_fma_mix_f32 v238, v238, v236, 0 op_sel_hi:[0,1,0]
	v_fma_mix_f32 v238, v240, v237, v238 op_sel_hi:[0,1,0]
	v_fma_f32 v238, v238, v199, -v239
	v_add_f32_e32 v109, v109, v238
	v_dot4_i32_i8 v238, v53, v220, 0
	v_dot4_i32_i8 v220, v69, v220, 0
	;; [unrolled: 1-line block ×24, first 2 shown]
	v_mul_lo_u32 v220, v220, v216
	v_dot4_i32_i8 v222, v84, v235, v222
	v_dot4_i32_i8 v238, v58, v225, v238
	;; [unrolled: 1-line block ×3, first 2 shown]
	v_mul_lo_u32 v222, v222, v218
	v_dot4_i32_i8 v238, v59, v226, v238
	v_dot4_i32_i8 v240, v66, v233, v240
	;; [unrolled: 1-line block ×4, first 2 shown]
	v_mul_lo_u32 v238, v238, v212
	v_dot4_i32_i8 v240, v68, v235, v240
	v_cvt_f32_i32_e32 v220, v220
	v_mul_lo_u32 v240, v240, v214
	v_cvt_f32_i32_e32 v222, v222
	v_fma_mix_f32 v221, v217, v236, 0 op_sel:[0,1,0] op_sel_hi:[0,1,0]
	v_cvt_f32_i32_e32 v238, v238
	v_fma_mix_f32 v220, v220, v236, 0 op_sel_hi:[0,1,0]
	v_fma_mix_f32 v221, v219, v237, v221 op_sel:[0,1,0] op_sel_hi:[0,1,0]
	v_cvt_f32_i32_e32 v240, v240
	v_fma_mix_f32 v220, v222, v237, v220 op_sel_hi:[0,1,0]
	v_mul_f32_e32 v221, v221, v202
	v_fma_f32 v220, v220, v203, -v221
	v_fma_mix_f32 v239, v213, v236, 0 op_sel:[0,1,0] op_sel_hi:[0,1,0]
	v_add_f32_e32 v105, v105, v220
	v_or_b32_e32 v220, s19, v166
	v_fma_mix_f32 v238, v238, v236, 0 op_sel_hi:[0,1,0]
	v_fma_mix_f32 v239, v215, v237, v239 op_sel:[0,1,0] op_sel_hi:[0,1,0]
	v_lshlrev_b32_e32 v232, 2, v220
	v_lshrrev_b32_e32 v236, 1, v220
	v_fma_mix_f32 v238, v240, v237, v238 op_sel_hi:[0,1,0]
	v_mul_f32_e32 v239, v239, v200
	ds_read_b128 v[220:223], v232 offset:33280
	ds_read_b128 v[224:227], v232 offset:33296
	;; [unrolled: 1-line block ×4, first 2 shown]
	ds_read_b64 v[236:237], v236 offset:43584
	v_fma_f32 v238, v238, v201, -v239
	v_add_f32_e32 v108, v108, v238
	s_waitcnt lgkmcnt(4)
	v_dot4_i32_i8 v238, v21, v220, 0
	v_dot4_i32_i8 v238, v22, v221, v238
	s_waitcnt lgkmcnt(2)
	v_dot4_i32_i8 v240, v29, v228, 0
	v_dot4_i32_i8 v238, v23, v222, v238
	;; [unrolled: 1-line block ×8, first 2 shown]
	s_waitcnt lgkmcnt(1)
	v_dot4_i32_i8 v240, v33, v232, v240
	v_dot4_i32_i8 v238, v27, v226, v238
	;; [unrolled: 1-line block ×5, first 2 shown]
	v_mul_lo_u32 v238, v238, v207
	v_dot4_i32_i8 v240, v36, v235, v240
	v_mul_lo_u32 v240, v240, v205
	s_waitcnt lgkmcnt(0)
	v_fma_mix_f32 v239, v204, v236, 0 op_sel:[0,1,0] op_sel_hi:[0,1,0]
	v_cvt_f32_i32_e32 v238, v238
	v_fma_mix_f32 v239, v206, v237, v239 op_sel:[0,1,0] op_sel_hi:[0,1,0]
	v_cvt_f32_i32_e32 v240, v240
	v_mul_f32_e32 v239, v239, v197
	v_fma_mix_f32 v238, v238, v236, 0 op_sel_hi:[0,1,0]
	v_fma_mix_f32 v238, v240, v237, v238 op_sel_hi:[0,1,0]
	v_fma_f32 v238, v238, v196, -v239
	v_add_f32_e32 v104, v104, v238
	v_dot4_i32_i8 v238, v37, v220, 0
	v_dot4_i32_i8 v238, v38, v221, v238
	;; [unrolled: 1-line block ×15, first 2 shown]
	v_mul_lo_u32 v238, v238, v208
	v_dot4_i32_i8 v240, v52, v235, v240
	v_mul_lo_u32 v240, v240, v210
	v_fma_mix_f32 v239, v209, v236, 0 op_sel:[0,1,0] op_sel_hi:[0,1,0]
	v_cvt_f32_i32_e32 v238, v238
	v_fma_mix_f32 v239, v211, v237, v239 op_sel:[0,1,0] op_sel_hi:[0,1,0]
	v_cvt_f32_i32_e32 v240, v240
	v_mul_f32_e32 v239, v239, v198
	v_fma_mix_f32 v238, v238, v236, 0 op_sel_hi:[0,1,0]
	v_fma_mix_f32 v238, v240, v237, v238 op_sel_hi:[0,1,0]
	v_fma_f32 v238, v238, v199, -v239
	v_add_f32_e32 v103, v103, v238
	v_dot4_i32_i8 v238, v53, v220, 0
	v_dot4_i32_i8 v220, v69, v220, 0
	;; [unrolled: 1-line block ×24, first 2 shown]
	v_mul_lo_u32 v220, v220, v216
	v_dot4_i32_i8 v222, v84, v235, v222
	v_dot4_i32_i8 v238, v58, v225, v238
	v_dot4_i32_i8 v240, v65, v232, v240
	v_mul_lo_u32 v222, v222, v218
	v_dot4_i32_i8 v238, v59, v226, v238
	v_dot4_i32_i8 v240, v66, v233, v240
	;; [unrolled: 1-line block ×4, first 2 shown]
	v_mul_lo_u32 v238, v238, v212
	v_dot4_i32_i8 v240, v68, v235, v240
	v_cvt_f32_i32_e32 v220, v220
	v_mul_lo_u32 v240, v240, v214
	v_cvt_f32_i32_e32 v222, v222
	v_fma_mix_f32 v221, v217, v236, 0 op_sel:[0,1,0] op_sel_hi:[0,1,0]
	v_cvt_f32_i32_e32 v238, v238
	v_fma_mix_f32 v220, v220, v236, 0 op_sel_hi:[0,1,0]
	v_fma_mix_f32 v221, v219, v237, v221 op_sel:[0,1,0] op_sel_hi:[0,1,0]
	v_cvt_f32_i32_e32 v240, v240
	v_fma_mix_f32 v220, v222, v237, v220 op_sel_hi:[0,1,0]
	v_mul_f32_e32 v221, v221, v202
	v_fma_f32 v220, v220, v203, -v221
	v_fma_mix_f32 v239, v213, v236, 0 op_sel:[0,1,0] op_sel_hi:[0,1,0]
	v_add_f32_e32 v101, v101, v220
	v_or_b32_e32 v220, s19, v167
	v_fma_mix_f32 v238, v238, v236, 0 op_sel_hi:[0,1,0]
	v_fma_mix_f32 v239, v215, v237, v239 op_sel:[0,1,0] op_sel_hi:[0,1,0]
	v_lshlrev_b32_e32 v232, 2, v220
	v_lshrrev_b32_e32 v236, 1, v220
	v_fma_mix_f32 v238, v240, v237, v238 op_sel_hi:[0,1,0]
	v_mul_f32_e32 v239, v239, v200
	ds_read_b128 v[220:223], v232 offset:33280
	ds_read_b128 v[224:227], v232 offset:33296
	;; [unrolled: 1-line block ×4, first 2 shown]
	ds_read_b64 v[236:237], v236 offset:43584
	v_fma_f32 v238, v238, v201, -v239
	v_add_f32_e32 v102, v102, v238
	s_waitcnt lgkmcnt(4)
	v_dot4_i32_i8 v238, v21, v220, 0
	v_dot4_i32_i8 v238, v22, v221, v238
	s_waitcnt lgkmcnt(2)
	v_dot4_i32_i8 v240, v29, v228, 0
	v_dot4_i32_i8 v238, v23, v222, v238
	v_dot4_i32_i8 v240, v30, v229, v240
	v_dot4_i32_i8 v238, v24, v223, v238
	v_dot4_i32_i8 v240, v31, v230, v240
	v_dot4_i32_i8 v238, v25, v224, v238
	v_dot4_i32_i8 v240, v32, v231, v240
	v_dot4_i32_i8 v238, v26, v225, v238
	s_waitcnt lgkmcnt(1)
	v_dot4_i32_i8 v240, v33, v232, v240
	v_dot4_i32_i8 v238, v27, v226, v238
	;; [unrolled: 1-line block ×5, first 2 shown]
	v_mul_lo_u32 v238, v238, v207
	v_dot4_i32_i8 v240, v36, v235, v240
	v_mul_lo_u32 v240, v240, v205
	s_waitcnt lgkmcnt(0)
	v_fma_mix_f32 v239, v204, v236, 0 op_sel:[0,1,0] op_sel_hi:[0,1,0]
	v_cvt_f32_i32_e32 v238, v238
	v_fma_mix_f32 v239, v206, v237, v239 op_sel:[0,1,0] op_sel_hi:[0,1,0]
	v_cvt_f32_i32_e32 v240, v240
	v_mul_f32_e32 v239, v239, v197
	v_fma_mix_f32 v238, v238, v236, 0 op_sel_hi:[0,1,0]
	v_fma_mix_f32 v238, v240, v237, v238 op_sel_hi:[0,1,0]
	v_fma_f32 v238, v238, v196, -v239
	v_add_f32_e32 v100, v100, v238
	v_dot4_i32_i8 v238, v37, v220, 0
	v_dot4_i32_i8 v238, v38, v221, v238
	;; [unrolled: 1-line block ×15, first 2 shown]
	v_mul_lo_u32 v238, v238, v208
	v_dot4_i32_i8 v240, v52, v235, v240
	v_mul_lo_u32 v240, v240, v210
	v_fma_mix_f32 v239, v209, v236, 0 op_sel:[0,1,0] op_sel_hi:[0,1,0]
	v_cvt_f32_i32_e32 v238, v238
	v_fma_mix_f32 v239, v211, v237, v239 op_sel:[0,1,0] op_sel_hi:[0,1,0]
	v_cvt_f32_i32_e32 v240, v240
	v_mul_f32_e32 v239, v239, v198
	v_fma_mix_f32 v238, v238, v236, 0 op_sel_hi:[0,1,0]
	v_fma_mix_f32 v238, v240, v237, v238 op_sel_hi:[0,1,0]
	v_fma_f32 v238, v238, v199, -v239
	v_add_f32_e32 v99, v99, v238
	v_dot4_i32_i8 v238, v53, v220, 0
	v_dot4_i32_i8 v220, v69, v220, 0
	;; [unrolled: 1-line block ×24, first 2 shown]
	v_mul_lo_u32 v220, v220, v216
	v_dot4_i32_i8 v222, v84, v235, v222
	v_dot4_i32_i8 v238, v58, v225, v238
	;; [unrolled: 1-line block ×3, first 2 shown]
	v_mul_lo_u32 v222, v222, v218
	v_dot4_i32_i8 v238, v59, v226, v238
	v_dot4_i32_i8 v240, v66, v233, v240
	;; [unrolled: 1-line block ×4, first 2 shown]
	v_mul_lo_u32 v238, v238, v212
	v_dot4_i32_i8 v240, v68, v235, v240
	v_cvt_f32_i32_e32 v220, v220
	v_mul_lo_u32 v240, v240, v214
	v_cvt_f32_i32_e32 v222, v222
	v_fma_mix_f32 v221, v217, v236, 0 op_sel:[0,1,0] op_sel_hi:[0,1,0]
	v_cvt_f32_i32_e32 v238, v238
	v_fma_mix_f32 v220, v220, v236, 0 op_sel_hi:[0,1,0]
	v_fma_mix_f32 v221, v219, v237, v221 op_sel:[0,1,0] op_sel_hi:[0,1,0]
	v_cvt_f32_i32_e32 v240, v240
	v_fma_mix_f32 v220, v222, v237, v220 op_sel_hi:[0,1,0]
	v_mul_f32_e32 v221, v221, v202
	v_fma_f32 v220, v220, v203, -v221
	v_fma_mix_f32 v239, v213, v236, 0 op_sel:[0,1,0] op_sel_hi:[0,1,0]
	v_add_f32_e32 v97, v97, v220
	v_or_b32_e32 v220, s19, v168
	v_fma_mix_f32 v238, v238, v236, 0 op_sel_hi:[0,1,0]
	v_fma_mix_f32 v239, v215, v237, v239 op_sel:[0,1,0] op_sel_hi:[0,1,0]
	v_lshlrev_b32_e32 v232, 2, v220
	v_lshrrev_b32_e32 v236, 1, v220
	v_fma_mix_f32 v238, v240, v237, v238 op_sel_hi:[0,1,0]
	v_mul_f32_e32 v239, v239, v200
	ds_read_b128 v[220:223], v232 offset:33280
	ds_read_b128 v[224:227], v232 offset:33296
	;; [unrolled: 1-line block ×4, first 2 shown]
	ds_read_b64 v[236:237], v236 offset:43584
	v_fma_f32 v238, v238, v201, -v239
	v_add_f32_e32 v98, v98, v238
	s_waitcnt lgkmcnt(4)
	v_dot4_i32_i8 v238, v21, v220, 0
	v_dot4_i32_i8 v238, v22, v221, v238
	s_waitcnt lgkmcnt(2)
	v_dot4_i32_i8 v240, v29, v228, 0
	v_dot4_i32_i8 v238, v23, v222, v238
	;; [unrolled: 1-line block ×8, first 2 shown]
	s_waitcnt lgkmcnt(1)
	v_dot4_i32_i8 v240, v33, v232, v240
	v_dot4_i32_i8 v238, v27, v226, v238
	;; [unrolled: 1-line block ×5, first 2 shown]
	v_mul_lo_u32 v238, v238, v207
	v_dot4_i32_i8 v240, v36, v235, v240
	v_mul_lo_u32 v240, v240, v205
	s_waitcnt lgkmcnt(0)
	v_fma_mix_f32 v239, v204, v236, 0 op_sel:[0,1,0] op_sel_hi:[0,1,0]
	v_cvt_f32_i32_e32 v238, v238
	v_fma_mix_f32 v239, v206, v237, v239 op_sel:[0,1,0] op_sel_hi:[0,1,0]
	v_cvt_f32_i32_e32 v240, v240
	v_mul_f32_e32 v239, v239, v197
	v_fma_mix_f32 v238, v238, v236, 0 op_sel_hi:[0,1,0]
	v_fma_mix_f32 v238, v240, v237, v238 op_sel_hi:[0,1,0]
	v_fma_f32 v238, v238, v196, -v239
	v_add_f32_e32 v96, v96, v238
	v_dot4_i32_i8 v238, v37, v220, 0
	v_dot4_i32_i8 v238, v38, v221, v238
	;; [unrolled: 1-line block ×15, first 2 shown]
	v_mul_lo_u32 v238, v238, v208
	v_dot4_i32_i8 v240, v52, v235, v240
	v_mul_lo_u32 v240, v240, v210
	v_fma_mix_f32 v239, v209, v236, 0 op_sel:[0,1,0] op_sel_hi:[0,1,0]
	v_cvt_f32_i32_e32 v238, v238
	v_fma_mix_f32 v239, v211, v237, v239 op_sel:[0,1,0] op_sel_hi:[0,1,0]
	v_cvt_f32_i32_e32 v240, v240
	v_mul_f32_e32 v239, v239, v198
	v_fma_mix_f32 v238, v238, v236, 0 op_sel_hi:[0,1,0]
	v_fma_mix_f32 v238, v240, v237, v238 op_sel_hi:[0,1,0]
	v_fma_f32 v238, v238, v199, -v239
	v_add_f32_e32 v95, v95, v238
	v_dot4_i32_i8 v238, v53, v220, 0
	v_dot4_i32_i8 v220, v69, v220, 0
	;; [unrolled: 1-line block ×24, first 2 shown]
	v_mul_lo_u32 v220, v220, v216
	v_dot4_i32_i8 v222, v84, v235, v222
	v_dot4_i32_i8 v238, v58, v225, v238
	;; [unrolled: 1-line block ×3, first 2 shown]
	v_mul_lo_u32 v222, v222, v218
	v_dot4_i32_i8 v238, v59, v226, v238
	v_dot4_i32_i8 v240, v66, v233, v240
	;; [unrolled: 1-line block ×4, first 2 shown]
	v_mul_lo_u32 v238, v238, v212
	v_dot4_i32_i8 v240, v68, v235, v240
	v_cvt_f32_i32_e32 v220, v220
	v_mul_lo_u32 v240, v240, v214
	v_cvt_f32_i32_e32 v222, v222
	v_fma_mix_f32 v221, v217, v236, 0 op_sel:[0,1,0] op_sel_hi:[0,1,0]
	v_cvt_f32_i32_e32 v238, v238
	v_fma_mix_f32 v220, v220, v236, 0 op_sel_hi:[0,1,0]
	v_fma_mix_f32 v221, v219, v237, v221 op_sel:[0,1,0] op_sel_hi:[0,1,0]
	v_cvt_f32_i32_e32 v240, v240
	v_fma_mix_f32 v220, v222, v237, v220 op_sel_hi:[0,1,0]
	v_mul_f32_e32 v221, v221, v202
	v_fma_f32 v220, v220, v203, -v221
	v_fma_mix_f32 v239, v213, v236, 0 op_sel:[0,1,0] op_sel_hi:[0,1,0]
	v_add_f32_e32 v93, v93, v220
	v_or_b32_e32 v220, s19, v169
	v_fma_mix_f32 v238, v238, v236, 0 op_sel_hi:[0,1,0]
	v_fma_mix_f32 v239, v215, v237, v239 op_sel:[0,1,0] op_sel_hi:[0,1,0]
	v_lshlrev_b32_e32 v232, 2, v220
	v_lshrrev_b32_e32 v236, 1, v220
	v_fma_mix_f32 v238, v240, v237, v238 op_sel_hi:[0,1,0]
	v_mul_f32_e32 v239, v239, v200
	ds_read_b128 v[220:223], v232 offset:33280
	ds_read_b128 v[224:227], v232 offset:33296
	;; [unrolled: 1-line block ×4, first 2 shown]
	ds_read_b64 v[236:237], v236 offset:43584
	v_fma_f32 v238, v238, v201, -v239
	v_add_f32_e32 v94, v94, v238
	s_waitcnt lgkmcnt(4)
	v_dot4_i32_i8 v238, v21, v220, 0
	v_dot4_i32_i8 v238, v22, v221, v238
	s_waitcnt lgkmcnt(2)
	v_dot4_i32_i8 v240, v29, v228, 0
	v_dot4_i32_i8 v238, v23, v222, v238
	;; [unrolled: 1-line block ×8, first 2 shown]
	s_waitcnt lgkmcnt(1)
	v_dot4_i32_i8 v240, v33, v232, v240
	v_dot4_i32_i8 v238, v27, v226, v238
	;; [unrolled: 1-line block ×5, first 2 shown]
	v_mul_lo_u32 v238, v238, v207
	v_dot4_i32_i8 v240, v36, v235, v240
	v_mul_lo_u32 v240, v240, v205
	s_waitcnt lgkmcnt(0)
	v_fma_mix_f32 v239, v204, v236, 0 op_sel:[0,1,0] op_sel_hi:[0,1,0]
	v_cvt_f32_i32_e32 v238, v238
	v_fma_mix_f32 v239, v206, v237, v239 op_sel:[0,1,0] op_sel_hi:[0,1,0]
	v_cvt_f32_i32_e32 v240, v240
	v_mul_f32_e32 v239, v239, v197
	v_fma_mix_f32 v238, v238, v236, 0 op_sel_hi:[0,1,0]
	v_fma_mix_f32 v238, v240, v237, v238 op_sel_hi:[0,1,0]
	v_fma_f32 v238, v238, v196, -v239
	v_add_f32_e32 v92, v92, v238
	v_dot4_i32_i8 v238, v37, v220, 0
	v_dot4_i32_i8 v238, v38, v221, v238
	;; [unrolled: 1-line block ×15, first 2 shown]
	v_mul_lo_u32 v238, v238, v208
	v_dot4_i32_i8 v240, v52, v235, v240
	v_mul_lo_u32 v240, v240, v210
	v_fma_mix_f32 v239, v209, v236, 0 op_sel:[0,1,0] op_sel_hi:[0,1,0]
	v_cvt_f32_i32_e32 v238, v238
	v_fma_mix_f32 v239, v211, v237, v239 op_sel:[0,1,0] op_sel_hi:[0,1,0]
	v_cvt_f32_i32_e32 v240, v240
	v_mul_f32_e32 v239, v239, v198
	v_fma_mix_f32 v238, v238, v236, 0 op_sel_hi:[0,1,0]
	v_fma_mix_f32 v238, v240, v237, v238 op_sel_hi:[0,1,0]
	v_fma_f32 v238, v238, v199, -v239
	v_add_f32_e32 v91, v91, v238
	v_dot4_i32_i8 v238, v53, v220, 0
	v_dot4_i32_i8 v220, v69, v220, 0
	;; [unrolled: 1-line block ×24, first 2 shown]
	v_mul_lo_u32 v220, v220, v216
	v_dot4_i32_i8 v222, v84, v235, v222
	v_dot4_i32_i8 v238, v58, v225, v238
	;; [unrolled: 1-line block ×3, first 2 shown]
	v_mul_lo_u32 v222, v222, v218
	v_dot4_i32_i8 v238, v59, v226, v238
	v_dot4_i32_i8 v240, v66, v233, v240
	;; [unrolled: 1-line block ×4, first 2 shown]
	v_mul_lo_u32 v238, v238, v212
	v_dot4_i32_i8 v240, v68, v235, v240
	v_cvt_f32_i32_e32 v220, v220
	v_mul_lo_u32 v240, v240, v214
	v_cvt_f32_i32_e32 v222, v222
	v_fma_mix_f32 v221, v217, v236, 0 op_sel:[0,1,0] op_sel_hi:[0,1,0]
	v_cvt_f32_i32_e32 v238, v238
	v_fma_mix_f32 v220, v220, v236, 0 op_sel_hi:[0,1,0]
	v_fma_mix_f32 v221, v219, v237, v221 op_sel:[0,1,0] op_sel_hi:[0,1,0]
	v_cvt_f32_i32_e32 v240, v240
	v_fma_mix_f32 v220, v222, v237, v220 op_sel_hi:[0,1,0]
	v_mul_f32_e32 v221, v221, v202
	v_fma_f32 v220, v220, v203, -v221
	v_add_f32_e32 v89, v89, v220
	v_or_b32_e32 v220, s19, v170
	v_fma_mix_f32 v238, v238, v236, 0 op_sel_hi:[0,1,0]
	v_fma_mix_f32 v239, v213, v236, 0 op_sel:[0,1,0] op_sel_hi:[0,1,0]
	v_lshlrev_b32_e32 v232, 2, v220
	v_lshrrev_b32_e32 v236, 1, v220
	v_fma_mix_f32 v238, v240, v237, v238 op_sel_hi:[0,1,0]
	v_fma_mix_f32 v239, v215, v237, v239 op_sel:[0,1,0] op_sel_hi:[0,1,0]
	ds_read_b128 v[220:223], v232 offset:33280
	ds_read_b128 v[224:227], v232 offset:33296
	;; [unrolled: 1-line block ×4, first 2 shown]
	ds_read_b64 v[236:237], v236 offset:43584
	s_waitcnt lgkmcnt(4)
	v_dot4_i32_i8 v21, v21, v220, 0
	v_dot4_i32_i8 v21, v22, v221, v21
	;; [unrolled: 1-line block ×3, first 2 shown]
	s_waitcnt lgkmcnt(2)
	v_dot4_i32_i8 v23, v29, v228, 0
	v_dot4_i32_i8 v23, v30, v229, v23
	;; [unrolled: 1-line block ×7, first 2 shown]
	s_waitcnt lgkmcnt(1)
	v_dot4_i32_i8 v23, v33, v232, v23
	v_dot4_i32_i8 v21, v27, v226, v21
	v_dot4_i32_i8 v23, v34, v233, v23
	v_dot4_i32_i8 v21, v28, v227, v21
	v_dot4_i32_i8 v23, v35, v234, v23
	v_mul_lo_u32 v21, v21, v207
	v_dot4_i32_i8 v23, v36, v235, v23
	v_mul_lo_u32 v23, v23, v205
	s_waitcnt lgkmcnt(0)
	v_fma_mix_f32 v22, v204, v236, 0 op_sel:[0,1,0] op_sel_hi:[0,1,0]
	v_cvt_f32_i32_e32 v21, v21
	v_fma_mix_f32 v22, v206, v237, v22 op_sel:[0,1,0] op_sel_hi:[0,1,0]
	v_cvt_f32_i32_e32 v23, v23
	v_mul_f32_e32 v22, v22, v197
	v_fma_mix_f32 v21, v21, v236, 0 op_sel_hi:[0,1,0]
	v_mul_f32_e32 v239, v239, v200
	v_fma_mix_f32 v21, v23, v237, v21 op_sel_hi:[0,1,0]
	v_fma_f32 v21, v21, v196, -v22
	v_add_f32_e32 v88, v88, v21
	v_dot4_i32_i8 v21, v37, v220, 0
	v_dot4_i32_i8 v21, v38, v221, v21
	;; [unrolled: 1-line block ×15, first 2 shown]
	v_mul_lo_u32 v21, v21, v208
	v_dot4_i32_i8 v23, v52, v235, v23
	v_mul_lo_u32 v23, v23, v210
	v_fma_mix_f32 v22, v209, v236, 0 op_sel:[0,1,0] op_sel_hi:[0,1,0]
	v_cvt_f32_i32_e32 v21, v21
	v_fma_mix_f32 v22, v211, v237, v22 op_sel:[0,1,0] op_sel_hi:[0,1,0]
	v_cvt_f32_i32_e32 v23, v23
	v_mul_f32_e32 v22, v22, v198
	v_fma_mix_f32 v21, v21, v236, 0 op_sel_hi:[0,1,0]
	v_fma_f32 v238, v238, v201, -v239
	v_fma_mix_f32 v21, v23, v237, v21 op_sel_hi:[0,1,0]
	v_fma_f32 v21, v21, v199, -v22
	v_add_f32_e32 v87, v87, v21
	v_dot4_i32_i8 v21, v53, v220, 0
	v_dot4_i32_i8 v21, v54, v221, v21
	;; [unrolled: 1-line block ×15, first 2 shown]
	v_mul_lo_u32 v21, v21, v212
	v_dot4_i32_i8 v23, v68, v235, v23
	v_mul_lo_u32 v23, v23, v214
	v_fma_mix_f32 v22, v213, v236, 0 op_sel:[0,1,0] op_sel_hi:[0,1,0]
	v_cvt_f32_i32_e32 v21, v21
	v_fma_mix_f32 v22, v215, v237, v22 op_sel:[0,1,0] op_sel_hi:[0,1,0]
	v_cvt_f32_i32_e32 v23, v23
	v_mul_f32_e32 v22, v22, v200
	v_fma_mix_f32 v21, v21, v236, 0 op_sel_hi:[0,1,0]
	v_add_f32_e32 v90, v90, v238
	v_fma_mix_f32 v21, v23, v237, v21 op_sel_hi:[0,1,0]
	v_fma_f32 v21, v21, v201, -v22
	v_add_f32_e32 v86, v86, v21
	v_dot4_i32_i8 v21, v69, v220, 0
	v_dot4_i32_i8 v21, v70, v221, v21
	v_dot4_i32_i8 v23, v77, v228, 0
	v_dot4_i32_i8 v21, v71, v222, v21
	v_dot4_i32_i8 v23, v78, v229, v23
	v_dot4_i32_i8 v21, v72, v223, v21
	v_dot4_i32_i8 v23, v79, v230, v23
	v_dot4_i32_i8 v21, v73, v224, v21
	v_dot4_i32_i8 v23, v80, v231, v23
	v_dot4_i32_i8 v21, v74, v225, v21
	v_dot4_i32_i8 v23, v81, v232, v23
	v_dot4_i32_i8 v21, v75, v226, v21
	v_dot4_i32_i8 v23, v82, v233, v23
	v_dot4_i32_i8 v21, v76, v227, v21
	v_dot4_i32_i8 v23, v83, v234, v23
	v_mul_lo_u32 v21, v21, v216
	v_dot4_i32_i8 v23, v84, v235, v23
	v_mul_lo_u32 v23, v23, v218
	v_fma_mix_f32 v22, v217, v236, 0 op_sel:[0,1,0] op_sel_hi:[0,1,0]
	v_cvt_f32_i32_e32 v21, v21
	v_fma_mix_f32 v22, v219, v237, v22 op_sel:[0,1,0] op_sel_hi:[0,1,0]
	v_cvt_f32_i32_e32 v23, v23
	v_mul_f32_e32 v22, v22, v202
	v_fma_mix_f32 v21, v21, v236, 0 op_sel_hi:[0,1,0]
	v_fma_mix_f32 v21, v23, v237, v21 op_sel_hi:[0,1,0]
	v_fma_f32 v21, v21, v203, -v22
	v_add_f32_e32 v85, v85, v21
	s_cbranch_vccnz .LBB174_6
; %bb.7:                                ;   in Loop: Header=BB174_5 Depth=1
	v_add_u32_e32 v37, s17, v158
	v_add_u32_e32 v35, 4, v195
	v_add_u32_e32 v21, v37, v149
	v_mad_u64_u32 v[35:36], s[0:1], v35, 36, s[2:3]
	v_mad_i64_i32 v[21:22], s[0:1], v21, 36, v[19:20]
	v_add_u32_e32 v23, v37, v150
	v_mad_i64_i32 v[23:24], s[0:1], v23, 36, v[19:20]
	v_add_u32_e32 v25, v37, v151
	v_add_u32_e32 v27, v37, v152
	v_mad_i64_i32 v[25:26], s[0:1], v25, 36, v[19:20]
	v_mad_i64_i32 v[27:28], s[0:1], v27, 36, v[19:20]
	v_add_u32_e32 v29, v37, v153
	v_add_u32_e32 v31, v37, v154
	;; [unrolled: 1-line block ×4, first 2 shown]
	s_barrier
	v_mad_i64_i32 v[29:30], s[0:1], v29, 36, v[19:20]
	v_mad_i64_i32 v[31:32], s[0:1], v31, 36, v[19:20]
	;; [unrolled: 1-line block ×4, first 2 shown]
	global_load_dword v35, v[35:36], off
	s_nop 0
	global_load_dword v21, v[21:22], off offset:4
	s_nop 0
	global_load_dword v22, v[23:24], off offset:4
	;; [unrolled: 2-line block ×3, first 2 shown]
	global_load_dword v24, v[27:28], off offset:4
	s_nop 0
	global_load_dword v25, v[29:30], off offset:4
	global_load_dword v26, v[31:32], off offset:4
	;; [unrolled: 1-line block ×4, first 2 shown]
	s_mov_b32 s0, 16
	s_waitcnt vmcnt(8)
	ds_write_b32 v147, v35
	s_waitcnt vmcnt(7)
	ds_write_b32 v179, v21
	;; [unrolled: 2-line block ×9, first 2 shown]
	s_waitcnt lgkmcnt(0)
	s_barrier
	ds_read_b32 v21, v157
	ds_read_b32 v22, v159 offset:128
	ds_read_b32 v23, v161 offset:256
	;; [unrolled: 1-line block ×3, first 2 shown]
	s_waitcnt lgkmcnt(3)
	v_cvt_f32_f16_e32 v195, v21
	v_cvt_f32_f16_sdwa v196, v21 dst_sel:DWORD dst_unused:UNUSED_PAD src0_sel:WORD_1
	s_waitcnt lgkmcnt(2)
	v_cvt_f32_f16_sdwa v197, v22 dst_sel:DWORD dst_unused:UNUSED_PAD src0_sel:WORD_1
	v_cvt_f32_f16_e32 v198, v22
	s_waitcnt lgkmcnt(1)
	v_cvt_f32_f16_sdwa v199, v23 dst_sel:DWORD dst_unused:UNUSED_PAD src0_sel:WORD_1
	v_cvt_f32_f16_e32 v200, v23
	s_waitcnt lgkmcnt(0)
	v_cvt_f32_f16_sdwa v201, v24 dst_sel:DWORD dst_unused:UNUSED_PAD src0_sel:WORD_1
	v_cvt_f32_f16_e32 v202, v24
.LBB174_8:                              ;   Parent Loop BB174_5 Depth=1
                                        ; =>  This Inner Loop Header: Depth=2
	s_lshr_b32 s1, s0, 2
	s_and_b32 s17, s1, 0x3ffffffe
	s_lshl_b32 s1, s0, 1
	s_and_b32 s1, s1, 16
	v_or_b32_e32 v21, s1, v137
	s_lshl_b32 s18, s0, 3
	v_lshlrev_b32_e32 v22, 2, v21
	v_add_u32_e32 v35, s18, v171
	v_lshrrev_b32_e32 v37, 1, v21
	ds_read_b128 v[71:74], v22 offset:33280
	ds_read_b128 v[75:78], v22 offset:33296
	;; [unrolled: 1-line block ×4, first 2 shown]
	ds_read2_b32 v[21:22], v35 offset1:1
	s_add_i32 s17, s17, 0xa200
	v_add3_u32 v29, s17, v190, v191
	v_add_u32_e32 v51, s18, v172
	v_add3_u32 v45, s17, v192, v187
	s_waitcnt lgkmcnt(0)
	v_dot4_i32_i8 v23, v21, v71, 0
	v_dot4_i32_i8 v25, v22, v72, v23
	ds_read2_b32 v[23:24], v35 offset0:2 offset1:3
	v_add_u32_e32 v67, s18, v173
	v_add3_u32 v61, s17, v193, v188
	s_waitcnt lgkmcnt(0)
	v_dot4_i32_i8 v25, v23, v73, v25
	v_dot4_i32_i8 v27, v24, v74, v25
	ds_read2_b32 v[25:26], v35 offset0:4 offset1:5
	s_waitcnt lgkmcnt(0)
	v_dot4_i32_i8 v27, v25, v75, v27
	v_dot4_i32_i8 v30, v26, v76, v27
	ds_read2_b32 v[27:28], v35 offset0:6 offset1:7
	ds_read_u16 v39, v29
	ds_read_u16 v40, v29 offset:8
	ds_read_b64 v[221:222], v37 offset:43584
	s_waitcnt lgkmcnt(3)
	v_dot4_i32_i8 v30, v27, v77, v30
	v_dot4_i32_i8 v38, v28, v78, v30
	ds_read2_b32 v[29:30], v35 offset0:8 offset1:9
	s_waitcnt lgkmcnt(3)
	v_and_b32_e32 v206, 0xff, v39
	v_lshrrev_b16_e32 v204, 8, v39
	v_mul_lo_u32 v37, v38, v206
	s_waitcnt lgkmcnt(2)
	v_cvt_f32_ubyte0_e32 v203, v40
	s_waitcnt lgkmcnt(0)
	v_dot4_i32_i8 v31, v29, v79, 0
	v_dot4_i32_i8 v33, v30, v80, v31
	ds_read2_b32 v[31:32], v35 offset0:10 offset1:11
	v_cvt_f32_i32_e32 v37, v37
	v_fma_mix_f32 v39, v221, v203, 0 op_sel:[1,0,0] op_sel_hi:[1,0,0]
	v_cvt_f32_ubyte1_e32 v205, v40
	s_waitcnt lgkmcnt(0)
	v_dot4_i32_i8 v33, v31, v81, v33
	v_dot4_i32_i8 v36, v32, v82, v33
	ds_read2_b32 v[33:34], v35 offset0:12 offset1:13
	v_fma_mix_f32 v37, v221, v37, 0 op_sel_hi:[1,0,0]
	s_waitcnt lgkmcnt(0)
	v_dot4_i32_i8 v36, v33, v217, v36
	v_dot4_i32_i8 v41, v34, v218, v36
	ds_read2_b32 v[35:36], v35 offset0:14 offset1:15
	s_waitcnt lgkmcnt(0)
	v_dot4_i32_i8 v41, v35, v219, v41
	v_dot4_i32_i8 v41, v36, v220, v41
	v_mul_lo_u32 v38, v41, v204
	v_cvt_f32_i32_e32 v38, v38
	v_fma_mix_f32 v37, v222, v38, v37 op_sel_hi:[1,0,0]
	v_fma_mix_f32 v38, v222, v205, v39 op_sel:[1,0,0] op_sel_hi:[1,0,0]
	v_mul_f32_e32 v38, v38, v196
	v_fma_f32 v37, v37, v195, -v38
	v_add_f32_e32 v107, v107, v37
	ds_read2_b32 v[37:38], v51 offset1:1
	s_waitcnt lgkmcnt(0)
	v_dot4_i32_i8 v39, v37, v71, 0
	v_dot4_i32_i8 v41, v38, v72, v39
	ds_read2_b32 v[39:40], v51 offset0:2 offset1:3
	s_waitcnt lgkmcnt(0)
	v_dot4_i32_i8 v41, v39, v73, v41
	v_dot4_i32_i8 v43, v40, v74, v41
	ds_read2_b32 v[41:42], v51 offset0:4 offset1:5
	;; [unrolled: 4-line block ×3, first 2 shown]
	ds_read_u16 v53, v45
	ds_read_u16 v54, v45 offset:8
	s_waitcnt lgkmcnt(2)
	v_dot4_i32_i8 v46, v43, v77, v46
	v_dot4_i32_i8 v46, v44, v78, v46
	s_waitcnt lgkmcnt(1)
	v_and_b32_e32 v207, 0xff, v53
	v_mul_lo_u32 v45, v46, v207
	v_lshrrev_b16_e32 v209, 8, v53
	s_waitcnt lgkmcnt(0)
	v_cvt_f32_ubyte0_e32 v208, v54
	v_cvt_f32_ubyte1_e32 v210, v54
	v_cvt_f32_i32_e32 v55, v45
	ds_read2_b32 v[45:46], v51 offset0:8 offset1:9
	v_fma_mix_f32 v54, v221, v208, 0 op_sel:[1,0,0] op_sel_hi:[1,0,0]
	v_fma_mix_f32 v54, v222, v210, v54 op_sel:[1,0,0] op_sel_hi:[1,0,0]
	v_fma_mix_f32 v55, v221, v55, 0 op_sel_hi:[1,0,0]
	v_mul_f32_e32 v54, v54, v197
	s_waitcnt lgkmcnt(0)
	v_dot4_i32_i8 v47, v45, v79, 0
	v_dot4_i32_i8 v49, v46, v80, v47
	ds_read2_b32 v[47:48], v51 offset0:10 offset1:11
	s_waitcnt lgkmcnt(0)
	v_dot4_i32_i8 v49, v47, v81, v49
	v_dot4_i32_i8 v52, v48, v82, v49
	ds_read2_b32 v[49:50], v51 offset0:12 offset1:13
	;; [unrolled: 4-line block ×3, first 2 shown]
	s_waitcnt lgkmcnt(0)
	v_dot4_i32_i8 v56, v51, v219, v56
	v_dot4_i32_i8 v56, v52, v220, v56
	v_mul_lo_u32 v53, v56, v209
	v_cvt_f32_i32_e32 v53, v53
	v_fma_mix_f32 v53, v222, v53, v55 op_sel_hi:[1,0,0]
	v_fma_f32 v53, v53, v198, -v54
	v_add_f32_e32 v146, v146, v53
	ds_read2_b32 v[53:54], v67 offset1:1
	s_waitcnt lgkmcnt(0)
	v_dot4_i32_i8 v55, v53, v71, 0
	v_dot4_i32_i8 v57, v54, v72, v55
	ds_read2_b32 v[55:56], v67 offset0:2 offset1:3
	s_waitcnt lgkmcnt(0)
	v_dot4_i32_i8 v57, v55, v73, v57
	v_dot4_i32_i8 v59, v56, v74, v57
	ds_read2_b32 v[57:58], v67 offset0:4 offset1:5
	;; [unrolled: 4-line block ×3, first 2 shown]
	ds_read_u16 v69, v61
	ds_read_u16 v70, v61 offset:8
	s_waitcnt lgkmcnt(2)
	v_dot4_i32_i8 v62, v59, v77, v62
	v_dot4_i32_i8 v62, v60, v78, v62
	s_waitcnt lgkmcnt(1)
	v_and_b32_e32 v211, 0xff, v69
	v_mul_lo_u32 v61, v62, v211
	v_lshrrev_b16_e32 v213, 8, v69
	s_waitcnt lgkmcnt(0)
	v_cvt_f32_ubyte0_e32 v212, v70
	v_cvt_f32_ubyte1_e32 v214, v70
	v_cvt_f32_i32_e32 v83, v61
	ds_read2_b32 v[61:62], v67 offset0:8 offset1:9
	v_fma_mix_f32 v70, v221, v212, 0 op_sel:[1,0,0] op_sel_hi:[1,0,0]
	v_fma_mix_f32 v70, v222, v214, v70 op_sel:[1,0,0] op_sel_hi:[1,0,0]
	v_fma_mix_f32 v83, v221, v83, 0 op_sel_hi:[1,0,0]
	v_mul_f32_e32 v70, v70, v199
	s_waitcnt lgkmcnt(0)
	v_dot4_i32_i8 v63, v61, v79, 0
	v_dot4_i32_i8 v65, v62, v80, v63
	ds_read2_b32 v[63:64], v67 offset0:10 offset1:11
	s_waitcnt lgkmcnt(0)
	v_dot4_i32_i8 v65, v63, v81, v65
	v_dot4_i32_i8 v68, v64, v82, v65
	ds_read2_b32 v[65:66], v67 offset0:12 offset1:13
	;; [unrolled: 4-line block ×3, first 2 shown]
	s_waitcnt lgkmcnt(0)
	v_dot4_i32_i8 v84, v67, v219, v84
	v_dot4_i32_i8 v84, v68, v220, v84
	v_mul_lo_u32 v69, v84, v213
	v_add_u32_e32 v84, s18, v174
	v_cvt_f32_i32_e32 v69, v69
	v_fma_mix_f32 v69, v222, v69, v83 op_sel_hi:[1,0,0]
	v_fma_f32 v69, v69, v200, -v70
	v_add_f32_e32 v144, v144, v69
	ds_read2_b32 v[69:70], v84 offset1:1
	v_add3_u32 v83, s17, v194, v189
	s_waitcnt lgkmcnt(0)
	v_dot4_i32_i8 v71, v69, v71, 0
	v_dot4_i32_i8 v215, v70, v72, v71
	ds_read2_b32 v[71:72], v84 offset0:2 offset1:3
	s_waitcnt lgkmcnt(0)
	v_dot4_i32_i8 v73, v71, v73, v215
	v_dot4_i32_i8 v215, v72, v74, v73
	ds_read2_b32 v[73:74], v84 offset0:4 offset1:5
	;; [unrolled: 4-line block ×3, first 2 shown]
	ds_read_u16 v223, v83
	ds_read_u16 v224, v83 offset:8
	s_waitcnt lgkmcnt(2)
	v_dot4_i32_i8 v77, v75, v77, v215
	v_dot4_i32_i8 v77, v76, v78, v77
	s_waitcnt lgkmcnt(1)
	v_and_b32_e32 v215, 0xff, v223
	v_mul_lo_u32 v77, v77, v215
	s_waitcnt lgkmcnt(0)
	v_cvt_f32_ubyte0_e32 v216, v224
	v_cvt_f32_i32_e32 v225, v77
	ds_read2_b32 v[77:78], v84 offset0:8 offset1:9
	s_waitcnt lgkmcnt(0)
	v_dot4_i32_i8 v79, v77, v79, 0
	v_dot4_i32_i8 v83, v78, v80, v79
	ds_read2_b32 v[79:80], v84 offset0:10 offset1:11
	s_waitcnt lgkmcnt(0)
	v_dot4_i32_i8 v81, v79, v81, v83
	v_dot4_i32_i8 v83, v80, v82, v81
	;; [unrolled: 4-line block ×4, first 2 shown]
	v_lshrrev_b16_e32 v217, 8, v223
	v_mul_lo_u32 v218, v218, v217
	v_fma_mix_f32 v220, v221, v216, 0 op_sel:[1,0,0] op_sel_hi:[1,0,0]
	v_fma_mix_f32 v221, v221, v225, 0 op_sel_hi:[1,0,0]
	v_cvt_f32_i32_e32 v219, v218
	v_cvt_f32_ubyte1_e32 v218, v224
	v_fma_mix_f32 v220, v222, v218, v220 op_sel:[1,0,0] op_sel_hi:[1,0,0]
	v_mul_f32_e32 v220, v220, v201
	v_fma_mix_f32 v219, v222, v219, v221 op_sel_hi:[1,0,0]
	v_fma_f32 v219, v219, v202, -v220
	v_add_f32_e32 v140, v140, v219
	v_or_b32_e32 v219, s1, v164
	v_lshlrev_b32_e32 v231, 2, v219
	v_lshrrev_b32_e32 v235, 1, v219
	ds_read_b128 v[219:222], v231 offset:33280
	ds_read_b128 v[223:226], v231 offset:33296
	;; [unrolled: 1-line block ×4, first 2 shown]
	ds_read_b64 v[235:236], v235 offset:43584
	s_waitcnt lgkmcnt(4)
	v_dot4_i32_i8 v237, v21, v219, 0
	v_dot4_i32_i8 v237, v22, v220, v237
	s_waitcnt lgkmcnt(2)
	v_dot4_i32_i8 v239, v29, v227, 0
	v_dot4_i32_i8 v237, v23, v221, v237
	;; [unrolled: 1-line block ×8, first 2 shown]
	s_waitcnt lgkmcnt(1)
	v_dot4_i32_i8 v239, v33, v231, v239
	v_dot4_i32_i8 v237, v27, v225, v237
	;; [unrolled: 1-line block ×5, first 2 shown]
	v_mul_lo_u32 v237, v237, v206
	v_dot4_i32_i8 v239, v36, v234, v239
	v_mul_lo_u32 v239, v239, v204
	s_waitcnt lgkmcnt(0)
	v_fma_mix_f32 v238, v203, v235, 0 op_sel:[0,1,0] op_sel_hi:[0,1,0]
	v_cvt_f32_i32_e32 v237, v237
	v_fma_mix_f32 v238, v205, v236, v238 op_sel:[0,1,0] op_sel_hi:[0,1,0]
	v_cvt_f32_i32_e32 v239, v239
	v_mul_f32_e32 v238, v238, v196
	v_fma_mix_f32 v237, v237, v235, 0 op_sel_hi:[0,1,0]
	v_fma_mix_f32 v237, v239, v236, v237 op_sel_hi:[0,1,0]
	v_fma_f32 v237, v237, v195, -v238
	v_add_f32_e32 v131, v131, v237
	v_dot4_i32_i8 v237, v37, v219, 0
	v_dot4_i32_i8 v237, v38, v220, v237
	;; [unrolled: 1-line block ×15, first 2 shown]
	v_mul_lo_u32 v237, v237, v207
	v_dot4_i32_i8 v239, v52, v234, v239
	v_mul_lo_u32 v239, v239, v209
	v_fma_mix_f32 v238, v208, v235, 0 op_sel:[0,1,0] op_sel_hi:[0,1,0]
	v_cvt_f32_i32_e32 v237, v237
	v_fma_mix_f32 v238, v210, v236, v238 op_sel:[0,1,0] op_sel_hi:[0,1,0]
	v_cvt_f32_i32_e32 v239, v239
	v_mul_f32_e32 v238, v238, v197
	v_fma_mix_f32 v237, v237, v235, 0 op_sel_hi:[0,1,0]
	v_fma_mix_f32 v237, v239, v236, v237 op_sel_hi:[0,1,0]
	v_fma_f32 v237, v237, v198, -v238
	v_add_f32_e32 v125, v125, v237
	v_dot4_i32_i8 v237, v53, v219, 0
	v_dot4_i32_i8 v219, v69, v219, 0
	;; [unrolled: 1-line block ×24, first 2 shown]
	v_mul_lo_u32 v219, v219, v215
	v_dot4_i32_i8 v221, v84, v234, v221
	v_dot4_i32_i8 v237, v58, v224, v237
	;; [unrolled: 1-line block ×3, first 2 shown]
	v_mul_lo_u32 v221, v221, v217
	v_dot4_i32_i8 v237, v59, v225, v237
	v_dot4_i32_i8 v239, v66, v232, v239
	;; [unrolled: 1-line block ×4, first 2 shown]
	v_mul_lo_u32 v237, v237, v211
	v_dot4_i32_i8 v239, v68, v234, v239
	v_cvt_f32_i32_e32 v219, v219
	v_mul_lo_u32 v239, v239, v213
	v_cvt_f32_i32_e32 v221, v221
	v_fma_mix_f32 v220, v216, v235, 0 op_sel:[0,1,0] op_sel_hi:[0,1,0]
	v_cvt_f32_i32_e32 v237, v237
	v_fma_mix_f32 v219, v219, v235, 0 op_sel_hi:[0,1,0]
	v_fma_mix_f32 v220, v218, v236, v220 op_sel:[0,1,0] op_sel_hi:[0,1,0]
	v_cvt_f32_i32_e32 v239, v239
	v_fma_mix_f32 v219, v221, v236, v219 op_sel_hi:[0,1,0]
	v_mul_f32_e32 v220, v220, v201
	v_fma_f32 v219, v219, v202, -v220
	v_fma_mix_f32 v238, v212, v235, 0 op_sel:[0,1,0] op_sel_hi:[0,1,0]
	v_add_f32_e32 v111, v111, v219
	v_or_b32_e32 v219, s1, v165
	v_fma_mix_f32 v237, v237, v235, 0 op_sel_hi:[0,1,0]
	v_fma_mix_f32 v238, v214, v236, v238 op_sel:[0,1,0] op_sel_hi:[0,1,0]
	v_lshlrev_b32_e32 v231, 2, v219
	v_lshrrev_b32_e32 v235, 1, v219
	v_fma_mix_f32 v237, v239, v236, v237 op_sel_hi:[0,1,0]
	v_mul_f32_e32 v238, v238, v199
	ds_read_b128 v[219:222], v231 offset:33280
	ds_read_b128 v[223:226], v231 offset:33296
	;; [unrolled: 1-line block ×4, first 2 shown]
	ds_read_b64 v[235:236], v235 offset:43584
	v_fma_f32 v237, v237, v200, -v238
	v_add_f32_e32 v119, v119, v237
	s_waitcnt lgkmcnt(4)
	v_dot4_i32_i8 v237, v21, v219, 0
	v_dot4_i32_i8 v237, v22, v220, v237
	s_waitcnt lgkmcnt(2)
	v_dot4_i32_i8 v239, v29, v227, 0
	v_dot4_i32_i8 v237, v23, v221, v237
	;; [unrolled: 1-line block ×8, first 2 shown]
	s_waitcnt lgkmcnt(1)
	v_dot4_i32_i8 v239, v33, v231, v239
	v_dot4_i32_i8 v237, v27, v225, v237
	;; [unrolled: 1-line block ×5, first 2 shown]
	v_mul_lo_u32 v237, v237, v206
	v_dot4_i32_i8 v239, v36, v234, v239
	v_mul_lo_u32 v239, v239, v204
	s_waitcnt lgkmcnt(0)
	v_fma_mix_f32 v238, v203, v235, 0 op_sel:[0,1,0] op_sel_hi:[0,1,0]
	v_cvt_f32_i32_e32 v237, v237
	v_fma_mix_f32 v238, v205, v236, v238 op_sel:[0,1,0] op_sel_hi:[0,1,0]
	v_cvt_f32_i32_e32 v239, v239
	v_mul_f32_e32 v238, v238, v196
	v_fma_mix_f32 v237, v237, v235, 0 op_sel_hi:[0,1,0]
	v_fma_mix_f32 v237, v239, v236, v237 op_sel_hi:[0,1,0]
	v_fma_f32 v237, v237, v195, -v238
	v_add_f32_e32 v110, v110, v237
	v_dot4_i32_i8 v237, v37, v219, 0
	v_dot4_i32_i8 v237, v38, v220, v237
	;; [unrolled: 1-line block ×15, first 2 shown]
	v_mul_lo_u32 v237, v237, v207
	v_dot4_i32_i8 v239, v52, v234, v239
	v_mul_lo_u32 v239, v239, v209
	v_fma_mix_f32 v238, v208, v235, 0 op_sel:[0,1,0] op_sel_hi:[0,1,0]
	v_cvt_f32_i32_e32 v237, v237
	v_fma_mix_f32 v238, v210, v236, v238 op_sel:[0,1,0] op_sel_hi:[0,1,0]
	v_cvt_f32_i32_e32 v239, v239
	v_mul_f32_e32 v238, v238, v197
	v_fma_mix_f32 v237, v237, v235, 0 op_sel_hi:[0,1,0]
	v_fma_mix_f32 v237, v239, v236, v237 op_sel_hi:[0,1,0]
	v_fma_f32 v237, v237, v198, -v238
	v_add_f32_e32 v109, v109, v237
	v_dot4_i32_i8 v237, v53, v219, 0
	v_dot4_i32_i8 v219, v69, v219, 0
	;; [unrolled: 1-line block ×24, first 2 shown]
	v_mul_lo_u32 v219, v219, v215
	v_dot4_i32_i8 v221, v84, v234, v221
	v_dot4_i32_i8 v237, v58, v224, v237
	;; [unrolled: 1-line block ×3, first 2 shown]
	v_mul_lo_u32 v221, v221, v217
	v_dot4_i32_i8 v237, v59, v225, v237
	v_dot4_i32_i8 v239, v66, v232, v239
	v_dot4_i32_i8 v237, v60, v226, v237
	v_dot4_i32_i8 v239, v67, v233, v239
	v_mul_lo_u32 v237, v237, v211
	v_dot4_i32_i8 v239, v68, v234, v239
	v_cvt_f32_i32_e32 v219, v219
	v_mul_lo_u32 v239, v239, v213
	v_cvt_f32_i32_e32 v221, v221
	v_fma_mix_f32 v220, v216, v235, 0 op_sel:[0,1,0] op_sel_hi:[0,1,0]
	v_cvt_f32_i32_e32 v237, v237
	v_fma_mix_f32 v219, v219, v235, 0 op_sel_hi:[0,1,0]
	v_fma_mix_f32 v220, v218, v236, v220 op_sel:[0,1,0] op_sel_hi:[0,1,0]
	v_cvt_f32_i32_e32 v239, v239
	v_fma_mix_f32 v219, v221, v236, v219 op_sel_hi:[0,1,0]
	v_mul_f32_e32 v220, v220, v201
	v_fma_f32 v219, v219, v202, -v220
	v_fma_mix_f32 v238, v212, v235, 0 op_sel:[0,1,0] op_sel_hi:[0,1,0]
	v_add_f32_e32 v105, v105, v219
	v_or_b32_e32 v219, s1, v166
	v_fma_mix_f32 v237, v237, v235, 0 op_sel_hi:[0,1,0]
	v_fma_mix_f32 v238, v214, v236, v238 op_sel:[0,1,0] op_sel_hi:[0,1,0]
	v_lshlrev_b32_e32 v231, 2, v219
	v_lshrrev_b32_e32 v235, 1, v219
	v_fma_mix_f32 v237, v239, v236, v237 op_sel_hi:[0,1,0]
	v_mul_f32_e32 v238, v238, v199
	ds_read_b128 v[219:222], v231 offset:33280
	ds_read_b128 v[223:226], v231 offset:33296
	;; [unrolled: 1-line block ×4, first 2 shown]
	ds_read_b64 v[235:236], v235 offset:43584
	v_fma_f32 v237, v237, v200, -v238
	v_add_f32_e32 v108, v108, v237
	s_waitcnt lgkmcnt(4)
	v_dot4_i32_i8 v237, v21, v219, 0
	v_dot4_i32_i8 v237, v22, v220, v237
	s_waitcnt lgkmcnt(2)
	v_dot4_i32_i8 v239, v29, v227, 0
	v_dot4_i32_i8 v237, v23, v221, v237
	;; [unrolled: 1-line block ×8, first 2 shown]
	s_waitcnt lgkmcnt(1)
	v_dot4_i32_i8 v239, v33, v231, v239
	v_dot4_i32_i8 v237, v27, v225, v237
	v_dot4_i32_i8 v239, v34, v232, v239
	v_dot4_i32_i8 v237, v28, v226, v237
	v_dot4_i32_i8 v239, v35, v233, v239
	v_mul_lo_u32 v237, v237, v206
	v_dot4_i32_i8 v239, v36, v234, v239
	v_mul_lo_u32 v239, v239, v204
	s_waitcnt lgkmcnt(0)
	v_fma_mix_f32 v238, v203, v235, 0 op_sel:[0,1,0] op_sel_hi:[0,1,0]
	v_cvt_f32_i32_e32 v237, v237
	v_fma_mix_f32 v238, v205, v236, v238 op_sel:[0,1,0] op_sel_hi:[0,1,0]
	v_cvt_f32_i32_e32 v239, v239
	v_mul_f32_e32 v238, v238, v196
	v_fma_mix_f32 v237, v237, v235, 0 op_sel_hi:[0,1,0]
	v_fma_mix_f32 v237, v239, v236, v237 op_sel_hi:[0,1,0]
	v_fma_f32 v237, v237, v195, -v238
	v_add_f32_e32 v104, v104, v237
	v_dot4_i32_i8 v237, v37, v219, 0
	v_dot4_i32_i8 v237, v38, v220, v237
	;; [unrolled: 1-line block ×15, first 2 shown]
	v_mul_lo_u32 v237, v237, v207
	v_dot4_i32_i8 v239, v52, v234, v239
	v_mul_lo_u32 v239, v239, v209
	v_fma_mix_f32 v238, v208, v235, 0 op_sel:[0,1,0] op_sel_hi:[0,1,0]
	v_cvt_f32_i32_e32 v237, v237
	v_fma_mix_f32 v238, v210, v236, v238 op_sel:[0,1,0] op_sel_hi:[0,1,0]
	v_cvt_f32_i32_e32 v239, v239
	v_mul_f32_e32 v238, v238, v197
	v_fma_mix_f32 v237, v237, v235, 0 op_sel_hi:[0,1,0]
	v_fma_mix_f32 v237, v239, v236, v237 op_sel_hi:[0,1,0]
	v_fma_f32 v237, v237, v198, -v238
	v_add_f32_e32 v103, v103, v237
	v_dot4_i32_i8 v237, v53, v219, 0
	v_dot4_i32_i8 v219, v69, v219, 0
	;; [unrolled: 1-line block ×24, first 2 shown]
	v_mul_lo_u32 v219, v219, v215
	v_dot4_i32_i8 v221, v84, v234, v221
	v_dot4_i32_i8 v237, v58, v224, v237
	;; [unrolled: 1-line block ×3, first 2 shown]
	v_mul_lo_u32 v221, v221, v217
	v_dot4_i32_i8 v237, v59, v225, v237
	v_dot4_i32_i8 v239, v66, v232, v239
	;; [unrolled: 1-line block ×4, first 2 shown]
	v_mul_lo_u32 v237, v237, v211
	v_dot4_i32_i8 v239, v68, v234, v239
	v_cvt_f32_i32_e32 v219, v219
	v_mul_lo_u32 v239, v239, v213
	v_cvt_f32_i32_e32 v221, v221
	v_fma_mix_f32 v220, v216, v235, 0 op_sel:[0,1,0] op_sel_hi:[0,1,0]
	v_cvt_f32_i32_e32 v237, v237
	v_fma_mix_f32 v219, v219, v235, 0 op_sel_hi:[0,1,0]
	v_fma_mix_f32 v220, v218, v236, v220 op_sel:[0,1,0] op_sel_hi:[0,1,0]
	v_cvt_f32_i32_e32 v239, v239
	v_fma_mix_f32 v219, v221, v236, v219 op_sel_hi:[0,1,0]
	v_mul_f32_e32 v220, v220, v201
	v_fma_f32 v219, v219, v202, -v220
	v_fma_mix_f32 v238, v212, v235, 0 op_sel:[0,1,0] op_sel_hi:[0,1,0]
	v_add_f32_e32 v101, v101, v219
	v_or_b32_e32 v219, s1, v167
	v_fma_mix_f32 v237, v237, v235, 0 op_sel_hi:[0,1,0]
	v_fma_mix_f32 v238, v214, v236, v238 op_sel:[0,1,0] op_sel_hi:[0,1,0]
	v_lshlrev_b32_e32 v231, 2, v219
	v_lshrrev_b32_e32 v235, 1, v219
	v_fma_mix_f32 v237, v239, v236, v237 op_sel_hi:[0,1,0]
	v_mul_f32_e32 v238, v238, v199
	ds_read_b128 v[219:222], v231 offset:33280
	ds_read_b128 v[223:226], v231 offset:33296
	;; [unrolled: 1-line block ×4, first 2 shown]
	ds_read_b64 v[235:236], v235 offset:43584
	v_fma_f32 v237, v237, v200, -v238
	v_add_f32_e32 v102, v102, v237
	s_waitcnt lgkmcnt(4)
	v_dot4_i32_i8 v237, v21, v219, 0
	v_dot4_i32_i8 v237, v22, v220, v237
	s_waitcnt lgkmcnt(2)
	v_dot4_i32_i8 v239, v29, v227, 0
	v_dot4_i32_i8 v237, v23, v221, v237
	;; [unrolled: 1-line block ×8, first 2 shown]
	s_waitcnt lgkmcnt(1)
	v_dot4_i32_i8 v239, v33, v231, v239
	v_dot4_i32_i8 v237, v27, v225, v237
	;; [unrolled: 1-line block ×5, first 2 shown]
	v_mul_lo_u32 v237, v237, v206
	v_dot4_i32_i8 v239, v36, v234, v239
	v_mul_lo_u32 v239, v239, v204
	s_waitcnt lgkmcnt(0)
	v_fma_mix_f32 v238, v203, v235, 0 op_sel:[0,1,0] op_sel_hi:[0,1,0]
	v_cvt_f32_i32_e32 v237, v237
	v_fma_mix_f32 v238, v205, v236, v238 op_sel:[0,1,0] op_sel_hi:[0,1,0]
	v_cvt_f32_i32_e32 v239, v239
	v_mul_f32_e32 v238, v238, v196
	v_fma_mix_f32 v237, v237, v235, 0 op_sel_hi:[0,1,0]
	v_fma_mix_f32 v237, v239, v236, v237 op_sel_hi:[0,1,0]
	v_fma_f32 v237, v237, v195, -v238
	v_add_f32_e32 v100, v100, v237
	v_dot4_i32_i8 v237, v37, v219, 0
	v_dot4_i32_i8 v237, v38, v220, v237
	;; [unrolled: 1-line block ×15, first 2 shown]
	v_mul_lo_u32 v237, v237, v207
	v_dot4_i32_i8 v239, v52, v234, v239
	v_mul_lo_u32 v239, v239, v209
	v_fma_mix_f32 v238, v208, v235, 0 op_sel:[0,1,0] op_sel_hi:[0,1,0]
	v_cvt_f32_i32_e32 v237, v237
	v_fma_mix_f32 v238, v210, v236, v238 op_sel:[0,1,0] op_sel_hi:[0,1,0]
	v_cvt_f32_i32_e32 v239, v239
	v_mul_f32_e32 v238, v238, v197
	v_fma_mix_f32 v237, v237, v235, 0 op_sel_hi:[0,1,0]
	v_fma_mix_f32 v237, v239, v236, v237 op_sel_hi:[0,1,0]
	v_fma_f32 v237, v237, v198, -v238
	v_add_f32_e32 v99, v99, v237
	v_dot4_i32_i8 v237, v53, v219, 0
	v_dot4_i32_i8 v219, v69, v219, 0
	;; [unrolled: 1-line block ×24, first 2 shown]
	v_mul_lo_u32 v219, v219, v215
	v_dot4_i32_i8 v221, v84, v234, v221
	v_dot4_i32_i8 v237, v58, v224, v237
	;; [unrolled: 1-line block ×3, first 2 shown]
	v_mul_lo_u32 v221, v221, v217
	v_dot4_i32_i8 v237, v59, v225, v237
	v_dot4_i32_i8 v239, v66, v232, v239
	;; [unrolled: 1-line block ×4, first 2 shown]
	v_mul_lo_u32 v237, v237, v211
	v_dot4_i32_i8 v239, v68, v234, v239
	v_cvt_f32_i32_e32 v219, v219
	v_mul_lo_u32 v239, v239, v213
	v_cvt_f32_i32_e32 v221, v221
	v_fma_mix_f32 v220, v216, v235, 0 op_sel:[0,1,0] op_sel_hi:[0,1,0]
	v_cvt_f32_i32_e32 v237, v237
	v_fma_mix_f32 v219, v219, v235, 0 op_sel_hi:[0,1,0]
	v_fma_mix_f32 v220, v218, v236, v220 op_sel:[0,1,0] op_sel_hi:[0,1,0]
	v_cvt_f32_i32_e32 v239, v239
	v_fma_mix_f32 v219, v221, v236, v219 op_sel_hi:[0,1,0]
	v_mul_f32_e32 v220, v220, v201
	v_fma_f32 v219, v219, v202, -v220
	v_fma_mix_f32 v238, v212, v235, 0 op_sel:[0,1,0] op_sel_hi:[0,1,0]
	v_add_f32_e32 v97, v97, v219
	v_or_b32_e32 v219, s1, v168
	v_fma_mix_f32 v237, v237, v235, 0 op_sel_hi:[0,1,0]
	v_fma_mix_f32 v238, v214, v236, v238 op_sel:[0,1,0] op_sel_hi:[0,1,0]
	v_lshlrev_b32_e32 v231, 2, v219
	v_lshrrev_b32_e32 v235, 1, v219
	v_fma_mix_f32 v237, v239, v236, v237 op_sel_hi:[0,1,0]
	v_mul_f32_e32 v238, v238, v199
	ds_read_b128 v[219:222], v231 offset:33280
	ds_read_b128 v[223:226], v231 offset:33296
	;; [unrolled: 1-line block ×4, first 2 shown]
	ds_read_b64 v[235:236], v235 offset:43584
	v_fma_f32 v237, v237, v200, -v238
	v_add_f32_e32 v98, v98, v237
	s_waitcnt lgkmcnt(4)
	v_dot4_i32_i8 v237, v21, v219, 0
	v_dot4_i32_i8 v237, v22, v220, v237
	s_waitcnt lgkmcnt(2)
	v_dot4_i32_i8 v239, v29, v227, 0
	v_dot4_i32_i8 v237, v23, v221, v237
	;; [unrolled: 1-line block ×8, first 2 shown]
	s_waitcnt lgkmcnt(1)
	v_dot4_i32_i8 v239, v33, v231, v239
	v_dot4_i32_i8 v237, v27, v225, v237
	;; [unrolled: 1-line block ×5, first 2 shown]
	v_mul_lo_u32 v237, v237, v206
	v_dot4_i32_i8 v239, v36, v234, v239
	v_mul_lo_u32 v239, v239, v204
	s_waitcnt lgkmcnt(0)
	v_fma_mix_f32 v238, v203, v235, 0 op_sel:[0,1,0] op_sel_hi:[0,1,0]
	v_cvt_f32_i32_e32 v237, v237
	v_fma_mix_f32 v238, v205, v236, v238 op_sel:[0,1,0] op_sel_hi:[0,1,0]
	v_cvt_f32_i32_e32 v239, v239
	v_mul_f32_e32 v238, v238, v196
	v_fma_mix_f32 v237, v237, v235, 0 op_sel_hi:[0,1,0]
	v_fma_mix_f32 v237, v239, v236, v237 op_sel_hi:[0,1,0]
	v_fma_f32 v237, v237, v195, -v238
	v_add_f32_e32 v96, v96, v237
	v_dot4_i32_i8 v237, v37, v219, 0
	v_dot4_i32_i8 v237, v38, v220, v237
	;; [unrolled: 1-line block ×15, first 2 shown]
	v_mul_lo_u32 v237, v237, v207
	v_dot4_i32_i8 v239, v52, v234, v239
	v_mul_lo_u32 v239, v239, v209
	v_fma_mix_f32 v238, v208, v235, 0 op_sel:[0,1,0] op_sel_hi:[0,1,0]
	v_cvt_f32_i32_e32 v237, v237
	v_fma_mix_f32 v238, v210, v236, v238 op_sel:[0,1,0] op_sel_hi:[0,1,0]
	v_cvt_f32_i32_e32 v239, v239
	v_mul_f32_e32 v238, v238, v197
	v_fma_mix_f32 v237, v237, v235, 0 op_sel_hi:[0,1,0]
	v_fma_mix_f32 v237, v239, v236, v237 op_sel_hi:[0,1,0]
	v_fma_f32 v237, v237, v198, -v238
	v_add_f32_e32 v95, v95, v237
	v_dot4_i32_i8 v237, v53, v219, 0
	v_dot4_i32_i8 v219, v69, v219, 0
	;; [unrolled: 1-line block ×24, first 2 shown]
	v_mul_lo_u32 v219, v219, v215
	v_dot4_i32_i8 v221, v84, v234, v221
	v_dot4_i32_i8 v237, v58, v224, v237
	;; [unrolled: 1-line block ×3, first 2 shown]
	v_mul_lo_u32 v221, v221, v217
	v_dot4_i32_i8 v237, v59, v225, v237
	v_dot4_i32_i8 v239, v66, v232, v239
	;; [unrolled: 1-line block ×4, first 2 shown]
	v_mul_lo_u32 v237, v237, v211
	v_dot4_i32_i8 v239, v68, v234, v239
	v_cvt_f32_i32_e32 v219, v219
	v_mul_lo_u32 v239, v239, v213
	v_cvt_f32_i32_e32 v221, v221
	v_fma_mix_f32 v220, v216, v235, 0 op_sel:[0,1,0] op_sel_hi:[0,1,0]
	v_cvt_f32_i32_e32 v237, v237
	v_fma_mix_f32 v219, v219, v235, 0 op_sel_hi:[0,1,0]
	v_fma_mix_f32 v220, v218, v236, v220 op_sel:[0,1,0] op_sel_hi:[0,1,0]
	v_cvt_f32_i32_e32 v239, v239
	v_fma_mix_f32 v219, v221, v236, v219 op_sel_hi:[0,1,0]
	v_mul_f32_e32 v220, v220, v201
	v_fma_f32 v219, v219, v202, -v220
	v_fma_mix_f32 v238, v212, v235, 0 op_sel:[0,1,0] op_sel_hi:[0,1,0]
	v_add_f32_e32 v93, v93, v219
	v_or_b32_e32 v219, s1, v169
	v_fma_mix_f32 v237, v237, v235, 0 op_sel_hi:[0,1,0]
	v_fma_mix_f32 v238, v214, v236, v238 op_sel:[0,1,0] op_sel_hi:[0,1,0]
	v_lshlrev_b32_e32 v231, 2, v219
	v_lshrrev_b32_e32 v235, 1, v219
	v_fma_mix_f32 v237, v239, v236, v237 op_sel_hi:[0,1,0]
	v_mul_f32_e32 v238, v238, v199
	ds_read_b128 v[219:222], v231 offset:33280
	ds_read_b128 v[223:226], v231 offset:33296
	;; [unrolled: 1-line block ×4, first 2 shown]
	ds_read_b64 v[235:236], v235 offset:43584
	v_fma_f32 v237, v237, v200, -v238
	v_add_f32_e32 v94, v94, v237
	s_waitcnt lgkmcnt(4)
	v_dot4_i32_i8 v237, v21, v219, 0
	v_dot4_i32_i8 v237, v22, v220, v237
	s_waitcnt lgkmcnt(2)
	v_dot4_i32_i8 v239, v29, v227, 0
	v_dot4_i32_i8 v237, v23, v221, v237
	;; [unrolled: 1-line block ×8, first 2 shown]
	s_waitcnt lgkmcnt(1)
	v_dot4_i32_i8 v239, v33, v231, v239
	v_dot4_i32_i8 v237, v27, v225, v237
	;; [unrolled: 1-line block ×5, first 2 shown]
	v_mul_lo_u32 v237, v237, v206
	v_dot4_i32_i8 v239, v36, v234, v239
	v_mul_lo_u32 v239, v239, v204
	s_waitcnt lgkmcnt(0)
	v_fma_mix_f32 v238, v203, v235, 0 op_sel:[0,1,0] op_sel_hi:[0,1,0]
	v_cvt_f32_i32_e32 v237, v237
	v_fma_mix_f32 v238, v205, v236, v238 op_sel:[0,1,0] op_sel_hi:[0,1,0]
	v_cvt_f32_i32_e32 v239, v239
	v_mul_f32_e32 v238, v238, v196
	v_fma_mix_f32 v237, v237, v235, 0 op_sel_hi:[0,1,0]
	v_fma_mix_f32 v237, v239, v236, v237 op_sel_hi:[0,1,0]
	v_fma_f32 v237, v237, v195, -v238
	v_add_f32_e32 v92, v92, v237
	v_dot4_i32_i8 v237, v37, v219, 0
	v_dot4_i32_i8 v237, v38, v220, v237
	;; [unrolled: 1-line block ×15, first 2 shown]
	v_mul_lo_u32 v237, v237, v207
	v_dot4_i32_i8 v239, v52, v234, v239
	v_mul_lo_u32 v239, v239, v209
	v_fma_mix_f32 v238, v208, v235, 0 op_sel:[0,1,0] op_sel_hi:[0,1,0]
	v_cvt_f32_i32_e32 v237, v237
	v_fma_mix_f32 v238, v210, v236, v238 op_sel:[0,1,0] op_sel_hi:[0,1,0]
	v_cvt_f32_i32_e32 v239, v239
	v_mul_f32_e32 v238, v238, v197
	v_fma_mix_f32 v237, v237, v235, 0 op_sel_hi:[0,1,0]
	v_fma_mix_f32 v237, v239, v236, v237 op_sel_hi:[0,1,0]
	v_fma_f32 v237, v237, v198, -v238
	v_add_f32_e32 v91, v91, v237
	v_dot4_i32_i8 v237, v53, v219, 0
	v_dot4_i32_i8 v219, v69, v219, 0
	;; [unrolled: 1-line block ×24, first 2 shown]
	v_mul_lo_u32 v219, v219, v215
	v_dot4_i32_i8 v221, v84, v234, v221
	v_dot4_i32_i8 v237, v58, v224, v237
	;; [unrolled: 1-line block ×3, first 2 shown]
	v_mul_lo_u32 v221, v221, v217
	v_dot4_i32_i8 v237, v59, v225, v237
	v_dot4_i32_i8 v239, v66, v232, v239
	;; [unrolled: 1-line block ×4, first 2 shown]
	v_mul_lo_u32 v237, v237, v211
	v_dot4_i32_i8 v239, v68, v234, v239
	v_cvt_f32_i32_e32 v219, v219
	v_mul_lo_u32 v239, v239, v213
	v_cvt_f32_i32_e32 v221, v221
	v_fma_mix_f32 v220, v216, v235, 0 op_sel:[0,1,0] op_sel_hi:[0,1,0]
	v_cvt_f32_i32_e32 v237, v237
	v_fma_mix_f32 v219, v219, v235, 0 op_sel_hi:[0,1,0]
	v_fma_mix_f32 v220, v218, v236, v220 op_sel:[0,1,0] op_sel_hi:[0,1,0]
	v_cvt_f32_i32_e32 v239, v239
	v_fma_mix_f32 v219, v221, v236, v219 op_sel_hi:[0,1,0]
	v_mul_f32_e32 v220, v220, v201
	v_fma_f32 v219, v219, v202, -v220
	v_add_f32_e32 v89, v89, v219
	v_or_b32_e32 v219, s1, v170
	v_fma_mix_f32 v237, v237, v235, 0 op_sel_hi:[0,1,0]
	v_fma_mix_f32 v238, v212, v235, 0 op_sel:[0,1,0] op_sel_hi:[0,1,0]
	v_lshlrev_b32_e32 v231, 2, v219
	v_lshrrev_b32_e32 v235, 1, v219
	v_fma_mix_f32 v237, v239, v236, v237 op_sel_hi:[0,1,0]
	v_fma_mix_f32 v238, v214, v236, v238 op_sel:[0,1,0] op_sel_hi:[0,1,0]
	ds_read_b128 v[219:222], v231 offset:33280
	ds_read_b128 v[223:226], v231 offset:33296
	;; [unrolled: 1-line block ×4, first 2 shown]
	ds_read_b64 v[235:236], v235 offset:43584
	s_waitcnt lgkmcnt(4)
	v_dot4_i32_i8 v21, v21, v219, 0
	v_dot4_i32_i8 v21, v22, v220, v21
	;; [unrolled: 1-line block ×3, first 2 shown]
	s_waitcnt lgkmcnt(2)
	v_dot4_i32_i8 v23, v29, v227, 0
	v_dot4_i32_i8 v23, v30, v228, v23
	;; [unrolled: 1-line block ×7, first 2 shown]
	s_waitcnt lgkmcnt(1)
	v_dot4_i32_i8 v23, v33, v231, v23
	v_dot4_i32_i8 v21, v27, v225, v21
	;; [unrolled: 1-line block ×5, first 2 shown]
	v_mul_lo_u32 v21, v21, v206
	v_dot4_i32_i8 v23, v36, v234, v23
	v_mul_lo_u32 v23, v23, v204
	s_waitcnt lgkmcnt(0)
	v_fma_mix_f32 v22, v203, v235, 0 op_sel:[0,1,0] op_sel_hi:[0,1,0]
	v_cvt_f32_i32_e32 v21, v21
	v_fma_mix_f32 v22, v205, v236, v22 op_sel:[0,1,0] op_sel_hi:[0,1,0]
	v_cvt_f32_i32_e32 v23, v23
	v_mul_f32_e32 v22, v22, v196
	v_fma_mix_f32 v21, v21, v235, 0 op_sel_hi:[0,1,0]
	v_mul_f32_e32 v238, v238, v199
	v_fma_mix_f32 v21, v23, v236, v21 op_sel_hi:[0,1,0]
	v_fma_f32 v21, v21, v195, -v22
	v_add_f32_e32 v88, v88, v21
	v_dot4_i32_i8 v21, v37, v219, 0
	v_dot4_i32_i8 v21, v38, v220, v21
	v_dot4_i32_i8 v23, v45, v227, 0
	v_dot4_i32_i8 v21, v39, v221, v21
	v_dot4_i32_i8 v23, v46, v228, v23
	v_dot4_i32_i8 v21, v40, v222, v21
	v_dot4_i32_i8 v23, v47, v229, v23
	v_dot4_i32_i8 v21, v41, v223, v21
	v_dot4_i32_i8 v23, v48, v230, v23
	v_dot4_i32_i8 v21, v42, v224, v21
	v_dot4_i32_i8 v23, v49, v231, v23
	v_dot4_i32_i8 v21, v43, v225, v21
	v_dot4_i32_i8 v23, v50, v232, v23
	v_dot4_i32_i8 v21, v44, v226, v21
	v_dot4_i32_i8 v23, v51, v233, v23
	v_mul_lo_u32 v21, v21, v207
	v_dot4_i32_i8 v23, v52, v234, v23
	v_mul_lo_u32 v23, v23, v209
	v_fma_mix_f32 v22, v208, v235, 0 op_sel:[0,1,0] op_sel_hi:[0,1,0]
	v_cvt_f32_i32_e32 v21, v21
	v_fma_mix_f32 v22, v210, v236, v22 op_sel:[0,1,0] op_sel_hi:[0,1,0]
	v_cvt_f32_i32_e32 v23, v23
	v_mul_f32_e32 v22, v22, v197
	v_fma_mix_f32 v21, v21, v235, 0 op_sel_hi:[0,1,0]
	v_fma_f32 v237, v237, v200, -v238
	v_fma_mix_f32 v21, v23, v236, v21 op_sel_hi:[0,1,0]
	v_fma_f32 v21, v21, v198, -v22
	v_add_f32_e32 v87, v87, v21
	v_dot4_i32_i8 v21, v53, v219, 0
	v_dot4_i32_i8 v21, v54, v220, v21
	;; [unrolled: 1-line block ×15, first 2 shown]
	v_mul_lo_u32 v21, v21, v211
	v_dot4_i32_i8 v23, v68, v234, v23
	v_mul_lo_u32 v23, v23, v213
	v_fma_mix_f32 v22, v212, v235, 0 op_sel:[0,1,0] op_sel_hi:[0,1,0]
	v_cvt_f32_i32_e32 v21, v21
	v_fma_mix_f32 v22, v214, v236, v22 op_sel:[0,1,0] op_sel_hi:[0,1,0]
	v_cvt_f32_i32_e32 v23, v23
	v_mul_f32_e32 v22, v22, v199
	v_fma_mix_f32 v21, v21, v235, 0 op_sel_hi:[0,1,0]
	s_add_i32 s1, s0, 8
	v_fma_mix_f32 v21, v23, v236, v21 op_sel_hi:[0,1,0]
	v_fma_f32 v21, v21, v200, -v22
	v_add_f32_e32 v86, v86, v21
	v_dot4_i32_i8 v21, v69, v219, 0
	v_dot4_i32_i8 v21, v70, v220, v21
	;; [unrolled: 1-line block ×15, first 2 shown]
	v_mul_lo_u32 v21, v21, v215
	v_dot4_i32_i8 v23, v84, v234, v23
	v_mul_lo_u32 v23, v23, v217
	v_fma_mix_f32 v22, v216, v235, 0 op_sel:[0,1,0] op_sel_hi:[0,1,0]
	v_cvt_f32_i32_e32 v21, v21
	v_fma_mix_f32 v22, v218, v236, v22 op_sel:[0,1,0] op_sel_hi:[0,1,0]
	v_cvt_f32_i32_e32 v23, v23
	v_mul_f32_e32 v22, v22, v201
	v_fma_mix_f32 v21, v21, v235, 0 op_sel_hi:[0,1,0]
	v_add_f32_e32 v90, v90, v237
	v_fma_mix_f32 v21, v23, v236, v21 op_sel_hi:[0,1,0]
	v_fma_f32 v21, v21, v202, -v22
	v_add_f32_e32 v85, v85, v21
	s_cmp_lt_u32 s0, 24
	s_mov_b32 s0, s1
	s_cbranch_scc1 .LBB174_8
; %bb.9:                                ;   in Loop: Header=BB174_5 Depth=1
	s_add_i32 s9, s9, 1
	s_cmp_eq_u32 s9, s4
	s_barrier
	s_cbranch_scc0 .LBB174_5
; %bb.10:
	v_mov_b32_e32 v2, v106
.LBB174_11:
	v_cmp_gt_u32_e32 vcc, s10, v2
	s_and_saveexec_b64 s[0:1], vcc
	s_cbranch_execz .LBB174_62
; %bb.12:
	v_mul_lo_u32 v5, v2, s14
	v_add_u32_e32 v0, s6, v0
	v_cmp_gt_u32_e64 s[0:1], s14, v0
	s_and_saveexec_b64 s[2:3], s[0:1]
	s_cbranch_execz .LBB174_14
; %bb.13:
	v_bfe_u32 v2, v107, 16, 1
	s_movk_i32 s4, 0x7fff
	v_add3_u32 v2, v107, v2, s4
	v_cmp_o_f32_e32 vcc, v107, v107
	v_mov_b32_e32 v3, 0x7fc0
	v_cndmask_b32_sdwa v4, v3, v2, vcc dst_sel:DWORD dst_unused:UNUSED_PAD src0_sel:DWORD src1_sel:WORD_1
	v_add_u32_e32 v2, v0, v5
	v_mov_b32_e32 v3, 0
	v_lshlrev_b64 v[2:3], 1, v[2:3]
	s_waitcnt lgkmcnt(0)
	v_mov_b32_e32 v6, s13
	v_add_co_u32_e32 v2, vcc, s12, v2
	v_addc_co_u32_e32 v3, vcc, v6, v3, vcc
	global_store_short v[2:3], v4, off
.LBB174_14:
	s_or_b64 exec, exec, s[2:3]
	v_add_u32_e32 v2, 32, v0
	v_cmp_gt_u32_e64 s[2:3], s14, v2
	s_and_saveexec_b64 s[4:5], s[2:3]
	s_cbranch_execz .LBB174_16
; %bb.15:
	v_bfe_u32 v3, v146, 16, 1
	s_movk_i32 s6, 0x7fff
	v_add3_u32 v3, v146, v3, s6
	v_cmp_o_f32_e32 vcc, v146, v146
	v_mov_b32_e32 v4, 0x7fc0
	v_cndmask_b32_sdwa v6, v4, v3, vcc dst_sel:DWORD dst_unused:UNUSED_PAD src0_sel:DWORD src1_sel:WORD_1
	v_add_u32_e32 v3, v2, v5
	v_mov_b32_e32 v4, 0
	v_lshlrev_b64 v[3:4], 1, v[3:4]
	s_waitcnt lgkmcnt(0)
	v_mov_b32_e32 v7, s13
	v_add_co_u32_e32 v3, vcc, s12, v3
	v_addc_co_u32_e32 v4, vcc, v7, v4, vcc
	global_store_short v[3:4], v6, off
.LBB174_16:
	s_or_b64 exec, exec, s[4:5]
	;; [unrolled: 21-line block ×4, first 2 shown]
	v_add3_u32 v5, v1, s15, 8
	v_cmp_gt_u32_e32 vcc, s10, v5
	s_and_b64 exec, exec, vcc
	s_cbranch_execz .LBB174_62
; %bb.21:
	v_mul_lo_u32 v5, v5, s14
	s_and_saveexec_b64 s[8:9], s[0:1]
	s_cbranch_execnz .LBB174_63
; %bb.22:
	s_or_b64 exec, exec, s[8:9]
	s_and_saveexec_b64 s[8:9], s[2:3]
	s_cbranch_execnz .LBB174_64
.LBB174_23:
	s_or_b64 exec, exec, s[8:9]
	s_and_saveexec_b64 s[8:9], s[4:5]
	s_cbranch_execnz .LBB174_65
.LBB174_24:
	s_or_b64 exec, exec, s[8:9]
	s_and_saveexec_b64 s[8:9], s[6:7]
	s_cbranch_execz .LBB174_26
.LBB174_25:
	v_bfe_u32 v6, v111, 16, 1
	s_movk_i32 s11, 0x7fff
	v_add3_u32 v6, v111, v6, s11
	v_cmp_o_f32_e32 vcc, v111, v111
	v_mov_b32_e32 v7, 0x7fc0
	v_cndmask_b32_sdwa v7, v7, v6, vcc dst_sel:DWORD dst_unused:UNUSED_PAD src0_sel:DWORD src1_sel:WORD_1
	v_add_u32_e32 v5, v5, v4
	v_mov_b32_e32 v6, 0
	v_lshlrev_b64 v[5:6], 1, v[5:6]
	s_waitcnt lgkmcnt(0)
	v_mov_b32_e32 v8, s13
	v_add_co_u32_e32 v5, vcc, s12, v5
	v_addc_co_u32_e32 v6, vcc, v8, v6, vcc
	global_store_short v[5:6], v7, off
.LBB174_26:
	s_or_b64 exec, exec, s[8:9]
	v_add3_u32 v5, v1, s15, 16
	v_cmp_gt_u32_e32 vcc, s10, v5
	s_and_b64 exec, exec, vcc
	s_cbranch_execz .LBB174_62
; %bb.27:
	v_mul_lo_u32 v5, v5, s14
	s_and_saveexec_b64 s[8:9], s[0:1]
	s_cbranch_execnz .LBB174_66
; %bb.28:
	s_or_b64 exec, exec, s[8:9]
	s_and_saveexec_b64 s[8:9], s[2:3]
	s_cbranch_execnz .LBB174_67
.LBB174_29:
	s_or_b64 exec, exec, s[8:9]
	s_and_saveexec_b64 s[8:9], s[4:5]
	s_cbranch_execnz .LBB174_68
.LBB174_30:
	s_or_b64 exec, exec, s[8:9]
	s_and_saveexec_b64 s[8:9], s[6:7]
	s_cbranch_execz .LBB174_32
.LBB174_31:
	v_bfe_u32 v6, v105, 16, 1
	s_movk_i32 s11, 0x7fff
	v_add3_u32 v6, v105, v6, s11
	v_cmp_o_f32_e32 vcc, v105, v105
	v_mov_b32_e32 v7, 0x7fc0
	v_cndmask_b32_sdwa v7, v7, v6, vcc dst_sel:DWORD dst_unused:UNUSED_PAD src0_sel:DWORD src1_sel:WORD_1
	v_add_u32_e32 v5, v5, v4
	v_mov_b32_e32 v6, 0
	v_lshlrev_b64 v[5:6], 1, v[5:6]
	s_waitcnt lgkmcnt(0)
	v_mov_b32_e32 v8, s13
	v_add_co_u32_e32 v5, vcc, s12, v5
	v_addc_co_u32_e32 v6, vcc, v8, v6, vcc
	global_store_short v[5:6], v7, off
.LBB174_32:
	s_or_b64 exec, exec, s[8:9]
	v_add3_u32 v5, v1, s15, 24
	v_cmp_gt_u32_e32 vcc, s10, v5
	s_and_b64 exec, exec, vcc
	s_cbranch_execz .LBB174_62
; %bb.33:
	v_mul_lo_u32 v5, v5, s14
	s_and_saveexec_b64 s[8:9], s[0:1]
	s_cbranch_execnz .LBB174_69
; %bb.34:
	s_or_b64 exec, exec, s[8:9]
	s_and_saveexec_b64 s[8:9], s[2:3]
	s_cbranch_execnz .LBB174_70
.LBB174_35:
	s_or_b64 exec, exec, s[8:9]
	s_and_saveexec_b64 s[8:9], s[4:5]
	s_cbranch_execnz .LBB174_71
.LBB174_36:
	s_or_b64 exec, exec, s[8:9]
	s_and_saveexec_b64 s[8:9], s[6:7]
	s_cbranch_execz .LBB174_38
.LBB174_37:
	v_bfe_u32 v6, v101, 16, 1
	s_movk_i32 s11, 0x7fff
	v_add3_u32 v6, v101, v6, s11
	v_cmp_o_f32_e32 vcc, v101, v101
	v_mov_b32_e32 v7, 0x7fc0
	v_cndmask_b32_sdwa v7, v7, v6, vcc dst_sel:DWORD dst_unused:UNUSED_PAD src0_sel:DWORD src1_sel:WORD_1
	v_add_u32_e32 v5, v5, v4
	v_mov_b32_e32 v6, 0
	v_lshlrev_b64 v[5:6], 1, v[5:6]
	s_waitcnt lgkmcnt(0)
	v_mov_b32_e32 v8, s13
	v_add_co_u32_e32 v5, vcc, s12, v5
	v_addc_co_u32_e32 v6, vcc, v8, v6, vcc
	global_store_short v[5:6], v7, off
.LBB174_38:
	s_or_b64 exec, exec, s[8:9]
	v_add3_u32 v5, v1, s15, 32
	v_cmp_gt_u32_e32 vcc, s10, v5
	s_and_b64 exec, exec, vcc
	s_cbranch_execz .LBB174_62
; %bb.39:
	v_mul_lo_u32 v5, v5, s14
	s_and_saveexec_b64 s[8:9], s[0:1]
	s_cbranch_execnz .LBB174_72
; %bb.40:
	s_or_b64 exec, exec, s[8:9]
	s_and_saveexec_b64 s[8:9], s[2:3]
	s_cbranch_execnz .LBB174_73
.LBB174_41:
	s_or_b64 exec, exec, s[8:9]
	s_and_saveexec_b64 s[8:9], s[4:5]
	s_cbranch_execnz .LBB174_74
.LBB174_42:
	s_or_b64 exec, exec, s[8:9]
	s_and_saveexec_b64 s[8:9], s[6:7]
	s_cbranch_execz .LBB174_44
.LBB174_43:
	v_bfe_u32 v6, v97, 16, 1
	s_movk_i32 s11, 0x7fff
	v_add3_u32 v6, v97, v6, s11
	v_cmp_o_f32_e32 vcc, v97, v97
	v_mov_b32_e32 v7, 0x7fc0
	v_cndmask_b32_sdwa v7, v7, v6, vcc dst_sel:DWORD dst_unused:UNUSED_PAD src0_sel:DWORD src1_sel:WORD_1
	v_add_u32_e32 v5, v5, v4
	v_mov_b32_e32 v6, 0
	v_lshlrev_b64 v[5:6], 1, v[5:6]
	s_waitcnt lgkmcnt(0)
	v_mov_b32_e32 v8, s13
	v_add_co_u32_e32 v5, vcc, s12, v5
	v_addc_co_u32_e32 v6, vcc, v8, v6, vcc
	global_store_short v[5:6], v7, off
.LBB174_44:
	s_or_b64 exec, exec, s[8:9]
	v_add3_u32 v5, v1, s15, 40
	v_cmp_gt_u32_e32 vcc, s10, v5
	s_and_b64 exec, exec, vcc
	s_cbranch_execz .LBB174_62
; %bb.45:
	v_mul_lo_u32 v5, v5, s14
	s_and_saveexec_b64 s[8:9], s[0:1]
	s_cbranch_execnz .LBB174_75
; %bb.46:
	s_or_b64 exec, exec, s[8:9]
	s_and_saveexec_b64 s[8:9], s[2:3]
	s_cbranch_execnz .LBB174_76
.LBB174_47:
	s_or_b64 exec, exec, s[8:9]
	s_and_saveexec_b64 s[8:9], s[4:5]
	s_cbranch_execnz .LBB174_77
.LBB174_48:
	s_or_b64 exec, exec, s[8:9]
	s_and_saveexec_b64 s[8:9], s[6:7]
	s_cbranch_execz .LBB174_50
.LBB174_49:
	v_bfe_u32 v6, v93, 16, 1
	s_movk_i32 s11, 0x7fff
	v_add3_u32 v6, v93, v6, s11
	v_cmp_o_f32_e32 vcc, v93, v93
	v_mov_b32_e32 v7, 0x7fc0
	v_cndmask_b32_sdwa v7, v7, v6, vcc dst_sel:DWORD dst_unused:UNUSED_PAD src0_sel:DWORD src1_sel:WORD_1
	v_add_u32_e32 v5, v5, v4
	v_mov_b32_e32 v6, 0
	v_lshlrev_b64 v[5:6], 1, v[5:6]
	s_waitcnt lgkmcnt(0)
	v_mov_b32_e32 v8, s13
	v_add_co_u32_e32 v5, vcc, s12, v5
	v_addc_co_u32_e32 v6, vcc, v8, v6, vcc
	global_store_short v[5:6], v7, off
.LBB174_50:
	s_or_b64 exec, exec, s[8:9]
	v_add3_u32 v5, v1, s15, 48
	v_cmp_gt_u32_e32 vcc, s10, v5
	s_and_b64 exec, exec, vcc
	s_cbranch_execz .LBB174_62
; %bb.51:
	v_mul_lo_u32 v5, v5, s14
	s_and_saveexec_b64 s[8:9], s[0:1]
	s_cbranch_execnz .LBB174_78
; %bb.52:
	s_or_b64 exec, exec, s[8:9]
	s_and_saveexec_b64 s[8:9], s[2:3]
	s_cbranch_execnz .LBB174_79
.LBB174_53:
	s_or_b64 exec, exec, s[8:9]
	s_and_saveexec_b64 s[8:9], s[4:5]
	s_cbranch_execnz .LBB174_80
.LBB174_54:
	s_or_b64 exec, exec, s[8:9]
	s_and_saveexec_b64 s[8:9], s[6:7]
	s_cbranch_execz .LBB174_56
.LBB174_55:
	v_bfe_u32 v6, v89, 16, 1
	s_movk_i32 s11, 0x7fff
	v_add3_u32 v6, v89, v6, s11
	v_cmp_o_f32_e32 vcc, v89, v89
	v_mov_b32_e32 v7, 0x7fc0
	v_cndmask_b32_sdwa v7, v7, v6, vcc dst_sel:DWORD dst_unused:UNUSED_PAD src0_sel:DWORD src1_sel:WORD_1
	v_add_u32_e32 v5, v5, v4
	v_mov_b32_e32 v6, 0
	v_lshlrev_b64 v[5:6], 1, v[5:6]
	s_waitcnt lgkmcnt(0)
	v_mov_b32_e32 v8, s13
	v_add_co_u32_e32 v5, vcc, s12, v5
	v_addc_co_u32_e32 v6, vcc, v8, v6, vcc
	global_store_short v[5:6], v7, off
.LBB174_56:
	s_or_b64 exec, exec, s[8:9]
	v_add3_u32 v1, v1, s15, 56
	v_cmp_gt_u32_e32 vcc, s10, v1
	s_and_b64 exec, exec, vcc
	s_cbranch_execz .LBB174_62
; %bb.57:
	v_mul_lo_u32 v1, v1, s14
	s_and_saveexec_b64 s[8:9], s[0:1]
	s_cbranch_execnz .LBB174_81
; %bb.58:
	s_or_b64 exec, exec, s[8:9]
	s_and_saveexec_b64 s[0:1], s[2:3]
	s_cbranch_execnz .LBB174_82
.LBB174_59:
	s_or_b64 exec, exec, s[0:1]
	s_and_saveexec_b64 s[0:1], s[4:5]
	s_cbranch_execnz .LBB174_83
.LBB174_60:
	s_or_b64 exec, exec, s[0:1]
	s_and_b64 exec, exec, s[6:7]
	s_cbranch_execz .LBB174_62
.LBB174_61:
	v_bfe_u32 v0, v85, 16, 1
	s_movk_i32 s0, 0x7fff
	v_add3_u32 v0, v85, v0, s0
	v_cmp_o_f32_e32 vcc, v85, v85
	v_mov_b32_e32 v2, 0x7fc0
	v_cndmask_b32_sdwa v2, v2, v0, vcc dst_sel:DWORD dst_unused:UNUSED_PAD src0_sel:DWORD src1_sel:WORD_1
	v_add_u32_e32 v0, v1, v4
	v_mov_b32_e32 v1, 0
	v_lshlrev_b64 v[0:1], 1, v[0:1]
	s_waitcnt lgkmcnt(0)
	v_mov_b32_e32 v3, s13
	v_add_co_u32_e32 v0, vcc, s12, v0
	v_addc_co_u32_e32 v1, vcc, v3, v1, vcc
	global_store_short v[0:1], v2, off
.LBB174_62:
	s_endpgm
.LBB174_63:
	v_bfe_u32 v6, v131, 16, 1
	s_movk_i32 s11, 0x7fff
	v_add3_u32 v6, v131, v6, s11
	v_cmp_o_f32_e32 vcc, v131, v131
	v_mov_b32_e32 v7, 0x7fc0
	v_cndmask_b32_sdwa v8, v7, v6, vcc dst_sel:DWORD dst_unused:UNUSED_PAD src0_sel:DWORD src1_sel:WORD_1
	v_add_u32_e32 v6, v5, v0
	v_mov_b32_e32 v7, 0
	v_lshlrev_b64 v[6:7], 1, v[6:7]
	s_waitcnt lgkmcnt(0)
	v_mov_b32_e32 v9, s13
	v_add_co_u32_e32 v6, vcc, s12, v6
	v_addc_co_u32_e32 v7, vcc, v9, v7, vcc
	global_store_short v[6:7], v8, off
	s_or_b64 exec, exec, s[8:9]
	s_and_saveexec_b64 s[8:9], s[2:3]
	s_cbranch_execz .LBB174_23
.LBB174_64:
	v_bfe_u32 v6, v125, 16, 1
	s_movk_i32 s11, 0x7fff
	v_add3_u32 v6, v125, v6, s11
	v_cmp_o_f32_e32 vcc, v125, v125
	v_mov_b32_e32 v7, 0x7fc0
	v_cndmask_b32_sdwa v8, v7, v6, vcc dst_sel:DWORD dst_unused:UNUSED_PAD src0_sel:DWORD src1_sel:WORD_1
	v_add_u32_e32 v6, v5, v2
	v_mov_b32_e32 v7, 0
	v_lshlrev_b64 v[6:7], 1, v[6:7]
	s_waitcnt lgkmcnt(0)
	v_mov_b32_e32 v9, s13
	v_add_co_u32_e32 v6, vcc, s12, v6
	v_addc_co_u32_e32 v7, vcc, v9, v7, vcc
	global_store_short v[6:7], v8, off
	s_or_b64 exec, exec, s[8:9]
	s_and_saveexec_b64 s[8:9], s[4:5]
	s_cbranch_execz .LBB174_24
.LBB174_65:
	v_bfe_u32 v6, v119, 16, 1
	s_movk_i32 s11, 0x7fff
	v_add3_u32 v6, v119, v6, s11
	v_cmp_o_f32_e32 vcc, v119, v119
	v_mov_b32_e32 v7, 0x7fc0
	v_cndmask_b32_sdwa v8, v7, v6, vcc dst_sel:DWORD dst_unused:UNUSED_PAD src0_sel:DWORD src1_sel:WORD_1
	v_add_u32_e32 v6, v5, v3
	v_mov_b32_e32 v7, 0
	v_lshlrev_b64 v[6:7], 1, v[6:7]
	s_waitcnt lgkmcnt(0)
	v_mov_b32_e32 v9, s13
	v_add_co_u32_e32 v6, vcc, s12, v6
	v_addc_co_u32_e32 v7, vcc, v9, v7, vcc
	global_store_short v[6:7], v8, off
	s_or_b64 exec, exec, s[8:9]
	s_and_saveexec_b64 s[8:9], s[6:7]
	s_cbranch_execnz .LBB174_25
	s_branch .LBB174_26
.LBB174_66:
	v_bfe_u32 v6, v110, 16, 1
	s_movk_i32 s11, 0x7fff
	v_add3_u32 v6, v110, v6, s11
	v_cmp_o_f32_e32 vcc, v110, v110
	v_mov_b32_e32 v7, 0x7fc0
	v_cndmask_b32_sdwa v8, v7, v6, vcc dst_sel:DWORD dst_unused:UNUSED_PAD src0_sel:DWORD src1_sel:WORD_1
	v_add_u32_e32 v6, v5, v0
	v_mov_b32_e32 v7, 0
	v_lshlrev_b64 v[6:7], 1, v[6:7]
	s_waitcnt lgkmcnt(0)
	v_mov_b32_e32 v9, s13
	v_add_co_u32_e32 v6, vcc, s12, v6
	v_addc_co_u32_e32 v7, vcc, v9, v7, vcc
	global_store_short v[6:7], v8, off
	s_or_b64 exec, exec, s[8:9]
	s_and_saveexec_b64 s[8:9], s[2:3]
	s_cbranch_execz .LBB174_29
.LBB174_67:
	v_bfe_u32 v6, v109, 16, 1
	s_movk_i32 s11, 0x7fff
	v_add3_u32 v6, v109, v6, s11
	v_cmp_o_f32_e32 vcc, v109, v109
	v_mov_b32_e32 v7, 0x7fc0
	v_cndmask_b32_sdwa v8, v7, v6, vcc dst_sel:DWORD dst_unused:UNUSED_PAD src0_sel:DWORD src1_sel:WORD_1
	v_add_u32_e32 v6, v5, v2
	v_mov_b32_e32 v7, 0
	v_lshlrev_b64 v[6:7], 1, v[6:7]
	s_waitcnt lgkmcnt(0)
	v_mov_b32_e32 v9, s13
	v_add_co_u32_e32 v6, vcc, s12, v6
	v_addc_co_u32_e32 v7, vcc, v9, v7, vcc
	global_store_short v[6:7], v8, off
	s_or_b64 exec, exec, s[8:9]
	s_and_saveexec_b64 s[8:9], s[4:5]
	s_cbranch_execz .LBB174_30
.LBB174_68:
	v_bfe_u32 v6, v108, 16, 1
	s_movk_i32 s11, 0x7fff
	v_add3_u32 v6, v108, v6, s11
	v_cmp_o_f32_e32 vcc, v108, v108
	v_mov_b32_e32 v7, 0x7fc0
	v_cndmask_b32_sdwa v8, v7, v6, vcc dst_sel:DWORD dst_unused:UNUSED_PAD src0_sel:DWORD src1_sel:WORD_1
	v_add_u32_e32 v6, v5, v3
	v_mov_b32_e32 v7, 0
	v_lshlrev_b64 v[6:7], 1, v[6:7]
	s_waitcnt lgkmcnt(0)
	v_mov_b32_e32 v9, s13
	v_add_co_u32_e32 v6, vcc, s12, v6
	v_addc_co_u32_e32 v7, vcc, v9, v7, vcc
	global_store_short v[6:7], v8, off
	s_or_b64 exec, exec, s[8:9]
	s_and_saveexec_b64 s[8:9], s[6:7]
	s_cbranch_execnz .LBB174_31
	s_branch .LBB174_32
.LBB174_69:
	v_bfe_u32 v6, v104, 16, 1
	s_movk_i32 s11, 0x7fff
	v_add3_u32 v6, v104, v6, s11
	v_cmp_o_f32_e32 vcc, v104, v104
	v_mov_b32_e32 v7, 0x7fc0
	v_cndmask_b32_sdwa v8, v7, v6, vcc dst_sel:DWORD dst_unused:UNUSED_PAD src0_sel:DWORD src1_sel:WORD_1
	v_add_u32_e32 v6, v5, v0
	v_mov_b32_e32 v7, 0
	v_lshlrev_b64 v[6:7], 1, v[6:7]
	s_waitcnt lgkmcnt(0)
	v_mov_b32_e32 v9, s13
	v_add_co_u32_e32 v6, vcc, s12, v6
	v_addc_co_u32_e32 v7, vcc, v9, v7, vcc
	global_store_short v[6:7], v8, off
	s_or_b64 exec, exec, s[8:9]
	s_and_saveexec_b64 s[8:9], s[2:3]
	s_cbranch_execz .LBB174_35
.LBB174_70:
	v_bfe_u32 v6, v103, 16, 1
	s_movk_i32 s11, 0x7fff
	v_add3_u32 v6, v103, v6, s11
	v_cmp_o_f32_e32 vcc, v103, v103
	v_mov_b32_e32 v7, 0x7fc0
	v_cndmask_b32_sdwa v8, v7, v6, vcc dst_sel:DWORD dst_unused:UNUSED_PAD src0_sel:DWORD src1_sel:WORD_1
	v_add_u32_e32 v6, v5, v2
	v_mov_b32_e32 v7, 0
	v_lshlrev_b64 v[6:7], 1, v[6:7]
	s_waitcnt lgkmcnt(0)
	v_mov_b32_e32 v9, s13
	v_add_co_u32_e32 v6, vcc, s12, v6
	v_addc_co_u32_e32 v7, vcc, v9, v7, vcc
	global_store_short v[6:7], v8, off
	s_or_b64 exec, exec, s[8:9]
	s_and_saveexec_b64 s[8:9], s[4:5]
	s_cbranch_execz .LBB174_36
.LBB174_71:
	v_bfe_u32 v6, v102, 16, 1
	s_movk_i32 s11, 0x7fff
	v_add3_u32 v6, v102, v6, s11
	v_cmp_o_f32_e32 vcc, v102, v102
	v_mov_b32_e32 v7, 0x7fc0
	v_cndmask_b32_sdwa v8, v7, v6, vcc dst_sel:DWORD dst_unused:UNUSED_PAD src0_sel:DWORD src1_sel:WORD_1
	v_add_u32_e32 v6, v5, v3
	v_mov_b32_e32 v7, 0
	v_lshlrev_b64 v[6:7], 1, v[6:7]
	s_waitcnt lgkmcnt(0)
	v_mov_b32_e32 v9, s13
	v_add_co_u32_e32 v6, vcc, s12, v6
	v_addc_co_u32_e32 v7, vcc, v9, v7, vcc
	global_store_short v[6:7], v8, off
	s_or_b64 exec, exec, s[8:9]
	s_and_saveexec_b64 s[8:9], s[6:7]
	s_cbranch_execnz .LBB174_37
	s_branch .LBB174_38
.LBB174_72:
	v_bfe_u32 v6, v100, 16, 1
	s_movk_i32 s11, 0x7fff
	v_add3_u32 v6, v100, v6, s11
	v_cmp_o_f32_e32 vcc, v100, v100
	v_mov_b32_e32 v7, 0x7fc0
	v_cndmask_b32_sdwa v8, v7, v6, vcc dst_sel:DWORD dst_unused:UNUSED_PAD src0_sel:DWORD src1_sel:WORD_1
	v_add_u32_e32 v6, v5, v0
	v_mov_b32_e32 v7, 0
	v_lshlrev_b64 v[6:7], 1, v[6:7]
	s_waitcnt lgkmcnt(0)
	v_mov_b32_e32 v9, s13
	v_add_co_u32_e32 v6, vcc, s12, v6
	v_addc_co_u32_e32 v7, vcc, v9, v7, vcc
	global_store_short v[6:7], v8, off
	s_or_b64 exec, exec, s[8:9]
	s_and_saveexec_b64 s[8:9], s[2:3]
	s_cbranch_execz .LBB174_41
.LBB174_73:
	v_bfe_u32 v6, v99, 16, 1
	s_movk_i32 s11, 0x7fff
	v_add3_u32 v6, v99, v6, s11
	v_cmp_o_f32_e32 vcc, v99, v99
	v_mov_b32_e32 v7, 0x7fc0
	v_cndmask_b32_sdwa v8, v7, v6, vcc dst_sel:DWORD dst_unused:UNUSED_PAD src0_sel:DWORD src1_sel:WORD_1
	v_add_u32_e32 v6, v5, v2
	v_mov_b32_e32 v7, 0
	v_lshlrev_b64 v[6:7], 1, v[6:7]
	s_waitcnt lgkmcnt(0)
	v_mov_b32_e32 v9, s13
	v_add_co_u32_e32 v6, vcc, s12, v6
	v_addc_co_u32_e32 v7, vcc, v9, v7, vcc
	global_store_short v[6:7], v8, off
	s_or_b64 exec, exec, s[8:9]
	s_and_saveexec_b64 s[8:9], s[4:5]
	s_cbranch_execz .LBB174_42
.LBB174_74:
	v_bfe_u32 v6, v98, 16, 1
	s_movk_i32 s11, 0x7fff
	v_add3_u32 v6, v98, v6, s11
	v_cmp_o_f32_e32 vcc, v98, v98
	v_mov_b32_e32 v7, 0x7fc0
	v_cndmask_b32_sdwa v8, v7, v6, vcc dst_sel:DWORD dst_unused:UNUSED_PAD src0_sel:DWORD src1_sel:WORD_1
	v_add_u32_e32 v6, v5, v3
	v_mov_b32_e32 v7, 0
	v_lshlrev_b64 v[6:7], 1, v[6:7]
	s_waitcnt lgkmcnt(0)
	v_mov_b32_e32 v9, s13
	v_add_co_u32_e32 v6, vcc, s12, v6
	v_addc_co_u32_e32 v7, vcc, v9, v7, vcc
	global_store_short v[6:7], v8, off
	s_or_b64 exec, exec, s[8:9]
	s_and_saveexec_b64 s[8:9], s[6:7]
	s_cbranch_execnz .LBB174_43
	s_branch .LBB174_44
.LBB174_75:
	v_bfe_u32 v6, v96, 16, 1
	s_movk_i32 s11, 0x7fff
	v_add3_u32 v6, v96, v6, s11
	v_cmp_o_f32_e32 vcc, v96, v96
	v_mov_b32_e32 v7, 0x7fc0
	v_cndmask_b32_sdwa v8, v7, v6, vcc dst_sel:DWORD dst_unused:UNUSED_PAD src0_sel:DWORD src1_sel:WORD_1
	v_add_u32_e32 v6, v5, v0
	v_mov_b32_e32 v7, 0
	v_lshlrev_b64 v[6:7], 1, v[6:7]
	s_waitcnt lgkmcnt(0)
	v_mov_b32_e32 v9, s13
	v_add_co_u32_e32 v6, vcc, s12, v6
	v_addc_co_u32_e32 v7, vcc, v9, v7, vcc
	global_store_short v[6:7], v8, off
	s_or_b64 exec, exec, s[8:9]
	s_and_saveexec_b64 s[8:9], s[2:3]
	s_cbranch_execz .LBB174_47
.LBB174_76:
	v_bfe_u32 v6, v95, 16, 1
	s_movk_i32 s11, 0x7fff
	v_add3_u32 v6, v95, v6, s11
	v_cmp_o_f32_e32 vcc, v95, v95
	v_mov_b32_e32 v7, 0x7fc0
	v_cndmask_b32_sdwa v8, v7, v6, vcc dst_sel:DWORD dst_unused:UNUSED_PAD src0_sel:DWORD src1_sel:WORD_1
	v_add_u32_e32 v6, v5, v2
	v_mov_b32_e32 v7, 0
	v_lshlrev_b64 v[6:7], 1, v[6:7]
	s_waitcnt lgkmcnt(0)
	v_mov_b32_e32 v9, s13
	v_add_co_u32_e32 v6, vcc, s12, v6
	v_addc_co_u32_e32 v7, vcc, v9, v7, vcc
	global_store_short v[6:7], v8, off
	s_or_b64 exec, exec, s[8:9]
	s_and_saveexec_b64 s[8:9], s[4:5]
	s_cbranch_execz .LBB174_48
.LBB174_77:
	v_bfe_u32 v6, v94, 16, 1
	s_movk_i32 s11, 0x7fff
	v_add3_u32 v6, v94, v6, s11
	v_cmp_o_f32_e32 vcc, v94, v94
	v_mov_b32_e32 v7, 0x7fc0
	v_cndmask_b32_sdwa v8, v7, v6, vcc dst_sel:DWORD dst_unused:UNUSED_PAD src0_sel:DWORD src1_sel:WORD_1
	v_add_u32_e32 v6, v5, v3
	v_mov_b32_e32 v7, 0
	v_lshlrev_b64 v[6:7], 1, v[6:7]
	s_waitcnt lgkmcnt(0)
	v_mov_b32_e32 v9, s13
	v_add_co_u32_e32 v6, vcc, s12, v6
	v_addc_co_u32_e32 v7, vcc, v9, v7, vcc
	global_store_short v[6:7], v8, off
	s_or_b64 exec, exec, s[8:9]
	s_and_saveexec_b64 s[8:9], s[6:7]
	s_cbranch_execnz .LBB174_49
	s_branch .LBB174_50
.LBB174_78:
	v_bfe_u32 v6, v92, 16, 1
	s_movk_i32 s11, 0x7fff
	v_add3_u32 v6, v92, v6, s11
	v_cmp_o_f32_e32 vcc, v92, v92
	v_mov_b32_e32 v7, 0x7fc0
	v_cndmask_b32_sdwa v8, v7, v6, vcc dst_sel:DWORD dst_unused:UNUSED_PAD src0_sel:DWORD src1_sel:WORD_1
	v_add_u32_e32 v6, v5, v0
	v_mov_b32_e32 v7, 0
	v_lshlrev_b64 v[6:7], 1, v[6:7]
	s_waitcnt lgkmcnt(0)
	v_mov_b32_e32 v9, s13
	v_add_co_u32_e32 v6, vcc, s12, v6
	v_addc_co_u32_e32 v7, vcc, v9, v7, vcc
	global_store_short v[6:7], v8, off
	s_or_b64 exec, exec, s[8:9]
	s_and_saveexec_b64 s[8:9], s[2:3]
	s_cbranch_execz .LBB174_53
.LBB174_79:
	v_bfe_u32 v6, v91, 16, 1
	s_movk_i32 s11, 0x7fff
	v_add3_u32 v6, v91, v6, s11
	v_cmp_o_f32_e32 vcc, v91, v91
	v_mov_b32_e32 v7, 0x7fc0
	v_cndmask_b32_sdwa v8, v7, v6, vcc dst_sel:DWORD dst_unused:UNUSED_PAD src0_sel:DWORD src1_sel:WORD_1
	v_add_u32_e32 v6, v5, v2
	v_mov_b32_e32 v7, 0
	v_lshlrev_b64 v[6:7], 1, v[6:7]
	s_waitcnt lgkmcnt(0)
	v_mov_b32_e32 v9, s13
	v_add_co_u32_e32 v6, vcc, s12, v6
	v_addc_co_u32_e32 v7, vcc, v9, v7, vcc
	global_store_short v[6:7], v8, off
	s_or_b64 exec, exec, s[8:9]
	s_and_saveexec_b64 s[8:9], s[4:5]
	s_cbranch_execz .LBB174_54
.LBB174_80:
	v_bfe_u32 v6, v90, 16, 1
	s_movk_i32 s11, 0x7fff
	v_add3_u32 v6, v90, v6, s11
	v_cmp_o_f32_e32 vcc, v90, v90
	v_mov_b32_e32 v7, 0x7fc0
	v_cndmask_b32_sdwa v8, v7, v6, vcc dst_sel:DWORD dst_unused:UNUSED_PAD src0_sel:DWORD src1_sel:WORD_1
	v_add_u32_e32 v6, v5, v3
	v_mov_b32_e32 v7, 0
	v_lshlrev_b64 v[6:7], 1, v[6:7]
	s_waitcnt lgkmcnt(0)
	v_mov_b32_e32 v9, s13
	v_add_co_u32_e32 v6, vcc, s12, v6
	v_addc_co_u32_e32 v7, vcc, v9, v7, vcc
	global_store_short v[6:7], v8, off
	s_or_b64 exec, exec, s[8:9]
	s_and_saveexec_b64 s[8:9], s[6:7]
	s_cbranch_execnz .LBB174_55
	s_branch .LBB174_56
.LBB174_81:
	v_bfe_u32 v5, v88, 16, 1
	s_movk_i32 s0, 0x7fff
	v_add3_u32 v5, v88, v5, s0
	v_cmp_o_f32_e32 vcc, v88, v88
	v_mov_b32_e32 v6, 0x7fc0
	v_cndmask_b32_sdwa v7, v6, v5, vcc dst_sel:DWORD dst_unused:UNUSED_PAD src0_sel:DWORD src1_sel:WORD_1
	v_add_u32_e32 v5, v1, v0
	v_mov_b32_e32 v6, 0
	v_lshlrev_b64 v[5:6], 1, v[5:6]
	s_waitcnt lgkmcnt(0)
	v_mov_b32_e32 v0, s13
	v_add_co_u32_e32 v5, vcc, s12, v5
	v_addc_co_u32_e32 v6, vcc, v0, v6, vcc
	global_store_short v[5:6], v7, off
	s_or_b64 exec, exec, s[8:9]
	s_and_saveexec_b64 s[0:1], s[2:3]
	s_cbranch_execz .LBB174_59
.LBB174_82:
	v_bfe_u32 v0, v87, 16, 1
	s_movk_i32 s2, 0x7fff
	v_add3_u32 v0, v87, v0, s2
	v_cmp_o_f32_e32 vcc, v87, v87
	v_mov_b32_e32 v5, 0x7fc0
	v_cndmask_b32_sdwa v0, v5, v0, vcc dst_sel:DWORD dst_unused:UNUSED_PAD src0_sel:DWORD src1_sel:WORD_1
	v_add_u32_e32 v5, v1, v2
	v_mov_b32_e32 v6, 0
	v_lshlrev_b64 v[5:6], 1, v[5:6]
	s_waitcnt lgkmcnt(0)
	v_mov_b32_e32 v2, s13
	v_add_co_u32_e32 v5, vcc, s12, v5
	v_addc_co_u32_e32 v6, vcc, v2, v6, vcc
	global_store_short v[5:6], v0, off
	s_or_b64 exec, exec, s[0:1]
	s_and_saveexec_b64 s[0:1], s[4:5]
	s_cbranch_execz .LBB174_60
.LBB174_83:
	v_bfe_u32 v0, v86, 16, 1
	s_movk_i32 s2, 0x7fff
	v_add3_u32 v0, v86, v0, s2
	v_cmp_o_f32_e32 vcc, v86, v86
	v_mov_b32_e32 v2, 0x7fc0
	v_cndmask_b32_sdwa v0, v2, v0, vcc dst_sel:DWORD dst_unused:UNUSED_PAD src0_sel:DWORD src1_sel:WORD_1
	v_add_u32_e32 v2, v1, v3
	v_mov_b32_e32 v3, 0
	v_lshlrev_b64 v[2:3], 1, v[2:3]
	s_waitcnt lgkmcnt(0)
	v_mov_b32_e32 v5, s13
	v_add_co_u32_e32 v2, vcc, s12, v2
	v_addc_co_u32_e32 v3, vcc, v5, v3, vcc
	global_store_short v[2:3], v0, off
	s_or_b64 exec, exec, s[0:1]
	s_and_b64 exec, exec, s[6:7]
	s_cbranch_execnz .LBB174_61
	s_branch .LBB174_62
	.section	.rodata,"a",@progbits
	.p2align	6, 0x0
	.amdhsa_kernel _ZL12mul_mat_q5_KIN3c108BFloat16ELb1EEvPKvS3_PT_iiiii
		.amdhsa_group_segment_fixed_size 45136
		.amdhsa_private_segment_fixed_size 0
		.amdhsa_kernarg_size 44
		.amdhsa_user_sgpr_count 6
		.amdhsa_user_sgpr_private_segment_buffer 1
		.amdhsa_user_sgpr_dispatch_ptr 0
		.amdhsa_user_sgpr_queue_ptr 0
		.amdhsa_user_sgpr_kernarg_segment_ptr 1
		.amdhsa_user_sgpr_dispatch_id 0
		.amdhsa_user_sgpr_flat_scratch_init 0
		.amdhsa_user_sgpr_private_segment_size 0
		.amdhsa_uses_dynamic_stack 0
		.amdhsa_system_sgpr_private_segment_wavefront_offset 0
		.amdhsa_system_sgpr_workgroup_id_x 1
		.amdhsa_system_sgpr_workgroup_id_y 1
		.amdhsa_system_sgpr_workgroup_id_z 0
		.amdhsa_system_sgpr_workgroup_info 0
		.amdhsa_system_vgpr_workitem_id 1
		.amdhsa_next_free_vgpr 241
		.amdhsa_next_free_sgpr 98
		.amdhsa_reserve_vcc 1
		.amdhsa_reserve_flat_scratch 0
		.amdhsa_float_round_mode_32 0
		.amdhsa_float_round_mode_16_64 0
		.amdhsa_float_denorm_mode_32 3
		.amdhsa_float_denorm_mode_16_64 3
		.amdhsa_dx10_clamp 1
		.amdhsa_ieee_mode 1
		.amdhsa_fp16_overflow 0
		.amdhsa_exception_fp_ieee_invalid_op 0
		.amdhsa_exception_fp_denorm_src 0
		.amdhsa_exception_fp_ieee_div_zero 0
		.amdhsa_exception_fp_ieee_overflow 0
		.amdhsa_exception_fp_ieee_underflow 0
		.amdhsa_exception_fp_ieee_inexact 0
		.amdhsa_exception_int_div_zero 0
	.end_amdhsa_kernel
	.section	.text._ZL12mul_mat_q5_KIN3c108BFloat16ELb1EEvPKvS3_PT_iiiii,"axG",@progbits,_ZL12mul_mat_q5_KIN3c108BFloat16ELb1EEvPKvS3_PT_iiiii,comdat
.Lfunc_end174:
	.size	_ZL12mul_mat_q5_KIN3c108BFloat16ELb1EEvPKvS3_PT_iiiii, .Lfunc_end174-_ZL12mul_mat_q5_KIN3c108BFloat16ELb1EEvPKvS3_PT_iiiii
                                        ; -- End function
	.set _ZL12mul_mat_q5_KIN3c108BFloat16ELb1EEvPKvS3_PT_iiiii.num_vgpr, 241
	.set _ZL12mul_mat_q5_KIN3c108BFloat16ELb1EEvPKvS3_PT_iiiii.num_agpr, 0
	.set _ZL12mul_mat_q5_KIN3c108BFloat16ELb1EEvPKvS3_PT_iiiii.numbered_sgpr, 21
	.set _ZL12mul_mat_q5_KIN3c108BFloat16ELb1EEvPKvS3_PT_iiiii.num_named_barrier, 0
	.set _ZL12mul_mat_q5_KIN3c108BFloat16ELb1EEvPKvS3_PT_iiiii.private_seg_size, 0
	.set _ZL12mul_mat_q5_KIN3c108BFloat16ELb1EEvPKvS3_PT_iiiii.uses_vcc, 1
	.set _ZL12mul_mat_q5_KIN3c108BFloat16ELb1EEvPKvS3_PT_iiiii.uses_flat_scratch, 0
	.set _ZL12mul_mat_q5_KIN3c108BFloat16ELb1EEvPKvS3_PT_iiiii.has_dyn_sized_stack, 0
	.set _ZL12mul_mat_q5_KIN3c108BFloat16ELb1EEvPKvS3_PT_iiiii.has_recursion, 0
	.set _ZL12mul_mat_q5_KIN3c108BFloat16ELb1EEvPKvS3_PT_iiiii.has_indirect_call, 0
	.section	.AMDGPU.csdata,"",@progbits
; Kernel info:
; codeLenInByte = 23208
; TotalNumSgprs: 25
; NumVgprs: 241
; ScratchSize: 0
; MemoryBound: 0
; FloatMode: 240
; IeeeMode: 1
; LDSByteSize: 45136 bytes/workgroup (compile time only)
; SGPRBlocks: 12
; VGPRBlocks: 60
; NumSGPRsForWavesPerEU: 102
; NumVGPRsForWavesPerEU: 241
; Occupancy: 1
; WaveLimiterHint : 0
; COMPUTE_PGM_RSRC2:SCRATCH_EN: 0
; COMPUTE_PGM_RSRC2:USER_SGPR: 6
; COMPUTE_PGM_RSRC2:TRAP_HANDLER: 0
; COMPUTE_PGM_RSRC2:TGID_X_EN: 1
; COMPUTE_PGM_RSRC2:TGID_Y_EN: 1
; COMPUTE_PGM_RSRC2:TGID_Z_EN: 0
; COMPUTE_PGM_RSRC2:TIDIG_COMP_CNT: 1
	.section	.text._ZL12mul_mat_q6_KIN3c108BFloat16ELb0EEvPKvS3_PT_iiiii,"axG",@progbits,_ZL12mul_mat_q6_KIN3c108BFloat16ELb0EEvPKvS3_PT_iiiii,comdat
	.globl	_ZL12mul_mat_q6_KIN3c108BFloat16ELb0EEvPKvS3_PT_iiiii ; -- Begin function _ZL12mul_mat_q6_KIN3c108BFloat16ELb0EEvPKvS3_PT_iiiii
	.p2align	8
	.type	_ZL12mul_mat_q6_KIN3c108BFloat16ELb0EEvPKvS3_PT_iiiii,@function
_ZL12mul_mat_q6_KIN3c108BFloat16ELb0EEvPKvS3_PT_iiiii: ; @_ZL12mul_mat_q6_KIN3c108BFloat16ELb0EEvPKvS3_PT_iiiii
; %bb.0:
	s_mov_b64 s[26:27], s[2:3]
	s_mov_b64 s[24:25], s[0:1]
	s_add_u32 s24, s24, s8
	s_load_dword s14, s[4:5], 0x18
	s_load_dwordx4 s[8:11], s[4:5], 0x20
	s_addc_u32 s25, s25, 0
	v_mov_b32_e32 v38, v1
	s_waitcnt lgkmcnt(0)
	s_lshl_b32 s11, s7, 6
	v_mov_b32_e32 v1, v0
	s_cmpk_gt_i32 s14, 0xff
	v_add_u32_e32 v34, s11, v38
	s_cbranch_scc1 .LBB175_2
; %bb.1:
	v_add_u32_e32 v0, s11, v38
	s_mov_b64 s[0:1], 0
	s_branch .LBB175_3
.LBB175_2:
	s_mov_b64 s[0:1], -1
                                        ; implicit-def: $vgpr0
.LBB175_3:
	s_load_dwordx2 s[12:13], s[4:5], 0x10
	s_lshl_b32 s6, s6, 7
	v_mov_b32_e32 v4, 0
	s_andn2_b64 vcc, exec, s[0:1]
	v_mov_b32_e32 v5, 0
	v_mov_b32_e32 v2, 0
	;; [unrolled: 1-line block ×31, first 2 shown]
	s_cbranch_vccnz .LBB175_11
; %bb.4:
	s_load_dwordx4 s[0:3], s[4:5], 0x0
	s_ashr_i32 s4, s14, 31
	s_lshr_b32 s4, s4, 24
	s_add_i32 s14, s14, s4
	s_ashr_i32 s5, s9, 31
	s_ashr_i32 s4, s14, 8
	s_lshr_b32 s5, s5, 27
	v_lshrrev_b32_e32 v3, 1, v1
	v_and_b32_e32 v4, 7, v1
	s_add_i32 s5, s9, s5
	s_mul_i32 s7, s4, s6
	v_and_b32_e32 v0, 31, v1
	v_and_or_b32 v3, v3, 8, v4
	s_ashr_i32 s15, s5, 5
	s_mul_hi_i32 s9, s7, 0xd2
	s_mulk_i32 s7, 0xd2
	v_lshlrev_b32_e32 v120, 2, v3
	v_add_u16_e32 v3, -16, v0
	v_cmp_gt_u32_e32 vcc, 16, v0
	s_waitcnt lgkmcnt(0)
	s_add_u32 s7, s0, s7
	v_lshlrev_b32_e32 v2, 1, v0
	v_lshlrev_b32_e32 v119, 2, v0
	v_cndmask_b32_e32 v0, v3, v0, vcc
	s_addc_u32 s9, s1, s9
	v_cmp_lt_u16_e64 s[0:1], 7, v0
	v_add_u32_e32 v0, 0xe0, v2
	v_cndmask_b32_e32 v0, v0, v2, vcc
	v_and_b32_e32 v0, 0xfe, v0
	v_sub_u32_e32 v0, v2, v0
	v_and_b32_e32 v2, 15, v1
	v_mul_u32_u24_e32 v3, 0x41, v38
	v_cndmask_b32_e64 v121, 0, 2, s[0:1]
	v_lshlrev_b32_e32 v0, 2, v0
	v_lshlrev_b32_e32 v2, 2, v2
	;; [unrolled: 1-line block ×3, first 2 shown]
	s_lshl_b32 s0, s4, 3
	v_add3_u32 v122, v0, v2, v3
	v_mov_b32_e32 v0, s0
	v_mad_i32_i24 v0, s4, v38, v0
	buffer_store_dword v0, off, s[24:27], 0 offset:24 ; 4-byte Folded Spill
	v_add_u32_e32 v0, s0, v0
	buffer_store_dword v0, off, s[24:27], 0 offset:28 ; 4-byte Folded Spill
	v_add_u32_e32 v0, s0, v0
	;; [unrolled: 2-line block ×14, first 2 shown]
	v_lshlrev_b32_e32 v139, 5, v38
	buffer_store_dword v0, off, s[24:27], 0 offset:80 ; 4-byte Folded Spill
	v_add_u32_e32 v0, v139, v1
	v_and_b32_e32 v2, 0x7f, v0
	v_lshrrev_b32_e32 v0, 3, v0
	v_mul_i32_i24_e32 v3, s4, v2
	v_and_b32_e32 v0, 12, v0
	v_lshlrev_b32_e32 v2, 2, v2
	s_mov_b32 s16, 0xae40
	buffer_store_dword v3, off, s[24:27], 0 offset:84 ; 4-byte Folded Spill
	v_add3_u32 v0, v2, v0, s16
	v_lshlrev_b32_e32 v2, 3, v38
	v_lshrrev_b32_e32 v3, 2, v1
	v_add_u32_e32 v6, v3, v2
	buffer_store_dword v0, off, s[24:27], 0 offset:88 ; 4-byte Folded Spill
	v_and_b32_e32 v0, 3, v1
	v_and_b32_e32 v4, 0x7f, v6
	v_add_u16_e32 v2, v3, v2
	v_lshlrev_b32_e32 v142, 2, v0
	v_mul_i32_i24_e32 v5, s4, v4
	v_lshrrev_b16_e32 v2, 1, v2
	buffer_store_dword v5, off, s[24:27], 0 offset:92 ; 4-byte Folded Spill
	v_lshl_or_b32 v5, v4, 4, v142
	v_and_b32_e32 v2, 60, v2
	s_mov_b32 s0, 0xa200
	v_add3_u32 v2, v5, v2, s0
	buffer_store_dword v2, off, s[24:27], 0 offset:96 ; 4-byte Folded Spill
	v_xor_b32_e32 v2, 64, v4
	v_mul_i32_i24_e32 v3, s4, v2
	buffer_store_dword v3, off, s[24:27], 0 offset:100 ; 4-byte Folded Spill
	v_lshl_or_b32 v3, v2, 4, v142
	v_lshrrev_b32_e32 v2, 1, v2
	v_and_b32_e32 v2, 60, v2
	v_add3_u32 v2, v3, v2, s0
	s_add_i32 s0, s8, -1
	buffer_store_dword v2, off, s[24:27], 0 offset:104 ; 4-byte Folded Spill
	v_cvt_f64_i32_e32 v[2:3], s0
	v_cvt_f64_u32_e32 v[4:5], v34
	v_add_u32_e32 v8, 16, v34
	v_cvt_f64_u32_e32 v[8:9], v8
	v_and_b32_e32 v10, 63, v6
	v_min_f64 v[4:5], v[4:5], v[2:3]
	v_or_b32_e32 v11, s11, v10
	v_min_f64 v[8:9], v[8:9], v[2:3]
	v_min_i32_e32 v11, s0, v11
	v_add_u32_e32 v6, 8, v34
	v_mad_u64_u32 v[11:12], s[0:1], v11, s15, v[0:1]
	v_cvt_f64_u32_e32 v[6:7], v6
	v_cvt_i32_f64_e32 v4, v[4:5]
	buffer_store_dword v11, off, s[24:27], 0 offset:108 ; 4-byte Folded Spill
	s_nop 0
	buffer_store_dword v12, off, s[24:27], 0 offset:112 ; 4-byte Folded Spill
	v_lshl_or_b32 v0, v10, 4, v142
	v_add_u32_e32 v10, 48, v34
	v_mul_lo_u32 v151, s15, v4
	v_cvt_i32_f64_e32 v4, v[8:9]
	v_add_u32_e32 v8, 40, v34
	v_cvt_f64_u32_e32 v[8:9], v8
	v_min_f64 v[6:7], v[6:7], v[2:3]
	v_mul_lo_u32 v154, s15, v4
	v_add_u32_e32 v4, 24, v34
	v_cvt_f64_u32_e32 v[4:5], v4
	v_min_f64 v[8:9], v[8:9], v[2:3]
	v_cvt_f64_u32_e32 v[10:11], v10
	v_add_u32_e32 v150, 0xaa40, v0
	v_min_f64 v[4:5], v[4:5], v[2:3]
	v_cvt_i32_f64_e32 v0, v[6:7]
	v_add_u32_e32 v6, 32, v34
	v_add_u32_e32 v12, 56, v34
	v_cvt_f64_u32_e32 v[6:7], v6
	v_cvt_i32_f64_e32 v8, v[8:9]
	v_cvt_f64_u32_e32 v[12:13], v12
	v_lshrrev_b32_e32 v27, 5, v1
	v_cvt_i32_f64_e32 v26, v[4:5]
	v_min_f64 v[4:5], v[10:11], v[2:3]
	v_min_f64 v[6:7], v[6:7], v[2:3]
	;; [unrolled: 1-line block ×3, first 2 shown]
	v_lshlrev_b32_e32 v147, 2, v1
	s_movk_i32 s0, 0x104
	v_mov_b32_e32 v18, 0
	v_add_u32_e32 v14, 8, v38
	v_add_u32_e32 v15, 16, v38
	v_cvt_i32_f64_e32 v4, v[4:5]
	v_mul_lo_u32 v5, s15, v8
	v_cvt_i32_f64_e32 v6, v[6:7]
	v_cvt_i32_f64_e32 v2, v[2:3]
	v_mul_lo_u32 v7, s15, v26
	buffer_store_dword v5, off, s[24:27], 0 offset:8 ; 4-byte Folded Spill
	v_lshlrev_b32_e32 v5, 2, v27
	v_add3_u32 v158, v147, v5, s16
	v_add_u32_e32 v5, 32, v1
	v_lshrrev_b32_e32 v159, 3, v5
	v_lshlrev_b32_e32 v8, 2, v5
	v_and_b32_e32 v5, 60, v159
	v_add3_u32 v160, v147, v5, s16
	v_add_u32_e32 v5, 64, v1
	v_lshrrev_b32_e32 v161, 3, v5
	v_lshlrev_b32_e32 v9, 2, v5
	v_and_b32_e32 v5, 60, v161
	v_add3_u32 v162, v147, v5, s16
	v_add_u32_e32 v5, 0x60, v1
	v_lshrrev_b32_e32 v163, 3, v5
	v_mul_lo_u32 v6, s15, v6
	v_mul_lo_u32 v4, s15, v4
	;; [unrolled: 1-line block ×3, first 2 shown]
	v_lshlrev_b32_e32 v10, 2, v5
	v_and_b32_e32 v5, 60, v163
	v_add3_u32 v164, v147, v5, s16
	v_mov_b32_e32 v5, 0x2080
	v_mad_u32_u24 v173, v1, s0, v5
	v_mov_b32_e32 v5, 0x4100
	v_add_u32_e32 v16, 24, v38
	v_add_u32_e32 v17, 32, v38
	;; [unrolled: 1-line block ×5, first 2 shown]
	v_and_b32_e32 v22, 28, v147
	v_mul_lo_u32 v152, s15, v0
	v_mad_u32_u24 v174, v1, s0, v5
	v_mov_b32_e32 v5, 0x6180
	v_or_b32_e32 v23, 0x8200, v119
	v_lshlrev_b32_e32 v24, 7, v38
	v_lshlrev_b32_e32 v0, 7, v14
	;; [unrolled: 1-line block ×3, first 2 shown]
	buffer_store_dword v7, off, s[24:27], 0 ; 4-byte Folded Spill
	v_lshlrev_b32_e32 v7, 7, v16
	buffer_store_dword v6, off, s[24:27], 0 offset:4 ; 4-byte Folded Spill
	v_lshlrev_b32_e32 v6, 7, v17
	v_lshlrev_b32_e32 v3, 7, v19
	buffer_store_dword v4, off, s[24:27], 0 offset:12 ; 4-byte Folded Spill
	v_lshlrev_b32_e32 v4, 7, v20
	buffer_store_dword v2, off, s[24:27], 0 offset:16 ; 4-byte Folded Spill
	v_lshlrev_b32_e32 v2, 7, v21
	v_lshlrev_b32_e32 v171, 5, v21
	v_mad_u32_u24 v175, v1, s0, v5
	v_mov_b32_e32 v5, s3
	v_add_co_u32_e32 v51, vcc, s2, v22
	v_mov_b32_e32 v21, v18
	buffer_store_dword v27, off, s[24:27], 0 offset:20 ; 4-byte Folded Spill
	v_lshlrev_b32_e32 v165, 5, v14
	v_lshlrev_b32_e32 v166, 5, v15
	;; [unrolled: 1-line block ×6, first 2 shown]
	v_addc_co_u32_e32 v52, vcc, 0, v5, vcc
	v_mov_b32_e32 v19, v18
	v_mov_b32_e32 v20, v18
	v_add_u32_e32 v176, v23, v24
	v_add_u32_e32 v177, v23, v0
	;; [unrolled: 1-line block ×8, first 2 shown]
	v_lshlrev_b32_e32 v185, 2, v8
	v_lshlrev_b32_e32 v186, 2, v9
	;; [unrolled: 1-line block ×3, first 2 shown]
	v_mov_b32_e32 v14, v18
	v_mov_b32_e32 v33, v21
	;; [unrolled: 1-line block ×7, first 2 shown]
	s_movk_i32 s5, 0xd2
	s_mov_b32 s14, 0
	v_lshrrev_b32_e32 v149, 3, v1
	v_mul_u32_u24_e32 v172, 0x104, v1
	s_mov_b32 s15, 0x30303030
	s_movk_i32 s16, 0x3f00
	s_movk_i32 s17, 0xe000
	v_mov_b32_e32 v184, 8
	v_mov_b32_e32 v15, v19
	;; [unrolled: 1-line block ×22, first 2 shown]
	buffer_store_dword v34, off, s[24:27], 0 offset:120 ; 4-byte Folded Spill
	buffer_store_dword v1, off, s[24:27], 0 offset:116 ; 4-byte Folded Spill
.LBB175_5:                              ; =>This Loop Header: Depth=1
                                        ;     Child Loop BB175_6 Depth 2
                                        ;     Child Loop BB175_8 Depth 2
	buffer_load_dword v0, off, s[24:27], 0 offset:20 ; 4-byte Folded Reload
	s_mul_i32 s0, s14, 0xd2
	s_mul_hi_u32 s1, s14, 0xd2
	s_add_u32 s0, s7, s0
	s_addc_u32 s1, s9, s1
	v_mov_b32_e32 v35, s1
	v_mov_b32_e32 v34, s0
	;; [unrolled: 1-line block ×3, first 2 shown]
	s_lshl_b32 s18, s14, 3
	s_mov_b32 s20, 0
	s_waitcnt vmcnt(0)
	v_mad_u64_u32 v[36:37], s[0:1], v0, s5, v[34:35]
	v_mul_i32_i24_e32 v0, s4, v38
	v_mad_u64_u32 v[38:39], s[0:1], v0, s5, v[36:37]
	buffer_load_dword v0, off, s[24:27], 0 offset:24 ; 4-byte Folded Reload
	v_add_co_u32_e32 v40, vcc, v38, v119
	v_addc_co_u32_e32 v41, vcc, 0, v39, vcc
	v_add_co_u32_e32 v38, vcc, v38, v120
	v_addc_co_u32_e32 v39, vcc, 0, v39, vcc
	s_waitcnt vmcnt(0)
	v_mad_u64_u32 v[42:43], s[0:1], v0, s5, v[36:37]
	v_add_co_u32_e32 v44, vcc, v42, v119
	v_addc_co_u32_e32 v45, vcc, 0, v43, vcc
	global_load_dword v0, v[40:41], off
	global_load_dword v46, v[38:39], off offset:128
	global_load_dword v47, v[44:45], off
	buffer_load_dword v1, off, s[24:27], 0 offset:28 ; 4-byte Folded Reload
	v_add_co_u32_e32 v38, vcc, v42, v120
	v_addc_co_u32_e32 v39, vcc, 0, v43, vcc
	global_load_dword v42, v[38:39], off offset:128
	s_waitcnt vmcnt(1)
	v_mad_u64_u32 v[38:39], s[0:1], v1, s5, v[36:37]
	buffer_load_dword v1, off, s[24:27], 0 offset:32 ; 4-byte Folded Reload
	v_add_co_u32_e32 v40, vcc, v38, v119
	v_addc_co_u32_e32 v41, vcc, 0, v39, vcc
	v_add_co_u32_e32 v38, vcc, v38, v120
	v_addc_co_u32_e32 v39, vcc, 0, v39, vcc
	global_load_dword v43, v[40:41], off
	global_load_dword v44, v[38:39], off offset:128
	s_waitcnt vmcnt(3)
	v_ashrrev_i32_e32 v42, v121, v42
	s_waitcnt vmcnt(2)
	v_mad_u64_u32 v[38:39], s[0:1], v1, s5, v[36:37]
	v_add_co_u32_e32 v40, vcc, v38, v119
	v_addc_co_u32_e32 v41, vcc, 0, v39, vcc
	v_add_co_u32_e32 v38, vcc, v38, v120
	v_addc_co_u32_e32 v39, vcc, 0, v39, vcc
	global_load_dword v45, v[40:41], off
	global_load_dword v48, v[38:39], off offset:128
	buffer_load_dword v1, off, s[24:27], 0 offset:36 ; 4-byte Folded Reload
	v_and_b32_e32 v38, 0xf0f0f0f, v0
	v_lshrrev_b32_e32 v0, 4, v0
	v_ashrrev_i32_e32 v39, v121, v46
	v_and_b32_e32 v0, 0xf0f0f0f, v0
	v_lshlrev_b32_e32 v46, 4, v39
	v_and_b32_e32 v40, 0xf0f0f0f, v47
	v_lshrrev_b32_e32 v41, 4, v47
	v_lshlrev_b32_e32 v47, 4, v42
	v_and_or_b32 v38, v46, s15, v38
	v_and_or_b32 v0, v39, s15, v0
	;; [unrolled: 1-line block ×3, first 2 shown]
	v_and_b32_e32 v40, 0x3f00, v38
	v_lshlrev_b16_e32 v46, 8, v38
	v_and_b32_sdwa v47, v38, s16 dst_sel:DWORD dst_unused:UNUSED_PAD src0_sel:WORD_1 src1_sel:DWORD
	v_lshlrev_b16_sdwa v38, v184, v38 dst_sel:DWORD dst_unused:UNUSED_PAD src0_sel:DWORD src1_sel:WORD_1
	v_and_b32_e32 v49, 0x3f00, v0
	v_lshlrev_b16_e32 v50, 8, v0
	v_and_b32_sdwa v53, v0, s16 dst_sel:DWORD dst_unused:UNUSED_PAD src0_sel:WORD_1 src1_sel:DWORD
	v_lshlrev_b16_sdwa v0, v184, v0 dst_sel:DWORD dst_unused:UNUSED_PAD src0_sel:DWORD src1_sel:WORD_1
	v_add_u16_e32 v46, 0xe000, v46
	v_add_u16_e32 v38, 0xe000, v38
	;; [unrolled: 1-line block ×4, first 2 shown]
	v_or_b32_sdwa v40, v40, v46 dst_sel:DWORD dst_unused:UNUSED_PAD src0_sel:DWORD src1_sel:BYTE_1
	v_or_b32_sdwa v38, v47, v38 dst_sel:DWORD dst_unused:UNUSED_PAD src0_sel:DWORD src1_sel:BYTE_1
	;; [unrolled: 1-line block ×4, first 2 shown]
	v_add_u16_e32 v40, 0xe000, v40
	v_add_u16_sdwa v38, v38, s17 dst_sel:WORD_1 dst_unused:UNUSED_PAD src0_sel:DWORD src1_sel:DWORD
	v_add_u16_e32 v46, 0xe000, v46
	v_add_u16_sdwa v0, v0, s17 dst_sel:WORD_1 dst_unused:UNUSED_PAD src0_sel:DWORD src1_sel:DWORD
	v_and_b32_e32 v41, 0xf0f0f0f, v41
	v_or_b32_e32 v38, v40, v38
	v_or_b32_e32 v0, v46, v0
	ds_write2_b32 v122, v38, v0 offset1:16
	v_and_or_b32 v0, v42, s15, v41
	v_lshlrev_b16_e32 v40, 8, v0
	v_and_b32_e32 v38, 0x3f00, v0
	v_add_u16_e32 v40, 0xe000, v40
	v_and_b32_e32 v54, 0x3f00, v39
	v_lshlrev_b16_e32 v55, 8, v39
	v_and_b32_sdwa v56, v39, s16 dst_sel:DWORD dst_unused:UNUSED_PAD src0_sel:WORD_1 src1_sel:DWORD
	v_lshlrev_b16_sdwa v39, v184, v39 dst_sel:DWORD dst_unused:UNUSED_PAD src0_sel:DWORD src1_sel:WORD_1
	v_or_b32_sdwa v38, v38, v40 dst_sel:DWORD dst_unused:UNUSED_PAD src0_sel:DWORD src1_sel:BYTE_1
	v_and_b32_sdwa v40, v0, s16 dst_sel:DWORD dst_unused:UNUSED_PAD src0_sel:WORD_1 src1_sel:DWORD
	v_lshlrev_b16_sdwa v0, v184, v0 dst_sel:DWORD dst_unused:UNUSED_PAD src0_sel:DWORD src1_sel:WORD_1
	v_add_u16_e32 v55, 0xe000, v55
	v_add_u16_e32 v39, 0xe000, v39
	;; [unrolled: 1-line block ×3, first 2 shown]
	v_or_b32_sdwa v47, v54, v55 dst_sel:DWORD dst_unused:UNUSED_PAD src0_sel:DWORD src1_sel:BYTE_1
	v_or_b32_sdwa v39, v56, v39 dst_sel:DWORD dst_unused:UNUSED_PAD src0_sel:DWORD src1_sel:BYTE_1
	;; [unrolled: 1-line block ×3, first 2 shown]
	v_add_u16_e32 v47, 0xe000, v47
	v_add_u16_sdwa v39, v39, s17 dst_sel:WORD_1 dst_unused:UNUSED_PAD src0_sel:DWORD src1_sel:DWORD
	v_add_u16_e32 v38, 0xe000, v38
	v_add_u16_sdwa v0, v0, s17 dst_sel:WORD_1 dst_unused:UNUSED_PAD src0_sel:DWORD src1_sel:DWORD
	v_or_b32_e32 v39, v47, v39
	v_or_b32_e32 v0, v38, v0
	v_add_u32_e32 v38, 0x800, v122
	ds_write2_b32 v38, v39, v0 offset0:8 offset1:24
	s_waitcnt vmcnt(3)
	v_ashrrev_i32_e32 v39, v121, v44
	v_and_b32_e32 v0, 0xf0f0f0f, v43
	v_lshlrev_b32_e32 v40, 4, v39
	v_and_or_b32 v0, v40, s15, v0
	v_lshrrev_b32_e32 v38, 4, v43
	v_lshlrev_b16_e32 v41, 8, v0
	v_and_b32_e32 v38, 0xf0f0f0f, v38
	v_and_b32_e32 v40, 0x3f00, v0
	v_add_u16_e32 v41, 0xe000, v41
	v_or_b32_sdwa v40, v40, v41 dst_sel:DWORD dst_unused:UNUSED_PAD src0_sel:DWORD src1_sel:BYTE_1
	v_and_b32_sdwa v41, v0, s16 dst_sel:DWORD dst_unused:UNUSED_PAD src0_sel:WORD_1 src1_sel:DWORD
	v_lshlrev_b16_sdwa v0, v184, v0 dst_sel:DWORD dst_unused:UNUSED_PAD src0_sel:DWORD src1_sel:WORD_1
	v_and_or_b32 v42, v39, s15, v38
	v_add_u16_e32 v0, 0xe000, v0
	v_or_b32_sdwa v0, v41, v0 dst_sel:DWORD dst_unused:UNUSED_PAD src0_sel:DWORD src1_sel:BYTE_1
	v_add_u16_e32 v40, 0xe000, v40
	v_add_u16_sdwa v0, v0, s17 dst_sel:WORD_1 dst_unused:UNUSED_PAD src0_sel:DWORD src1_sel:DWORD
	v_or_b32_e32 v0, v40, v0
	v_lshlrev_b16_e32 v44, 8, v42
	s_waitcnt vmcnt(0)
	v_mad_u64_u32 v[38:39], s[0:1], v1, s5, v[36:37]
	v_and_b32_e32 v43, 0x3f00, v42
	v_add_u32_e32 v53, s18, v149
	v_add_co_u32_e32 v40, vcc, v38, v119
	v_addc_co_u32_e32 v41, vcc, 0, v39, vcc
	v_add_co_u32_e32 v38, vcc, v38, v120
	v_addc_co_u32_e32 v39, vcc, 0, v39, vcc
	global_load_dword v46, v[40:41], off
	global_load_dword v47, v[38:39], off offset:128
	buffer_load_dword v1, off, s[24:27], 0 offset:40 ; 4-byte Folded Reload
	v_lshlrev_b16_sdwa v40, v184, v42 dst_sel:DWORD dst_unused:UNUSED_PAD src0_sel:DWORD src1_sel:WORD_1
	v_add_u16_e32 v38, 0xe000, v44
	v_and_b32_sdwa v39, v42, s16 dst_sel:DWORD dst_unused:UNUSED_PAD src0_sel:WORD_1 src1_sel:DWORD
	v_add_u16_e32 v40, 0xe000, v40
	v_or_b32_sdwa v38, v43, v38 dst_sel:DWORD dst_unused:UNUSED_PAD src0_sel:DWORD src1_sel:BYTE_1
	v_or_b32_sdwa v39, v39, v40 dst_sel:DWORD dst_unused:UNUSED_PAD src0_sel:DWORD src1_sel:BYTE_1
	v_add_u16_e32 v38, 0xe000, v38
	v_add_u16_sdwa v39, v39, s17 dst_sel:WORD_1 dst_unused:UNUSED_PAD src0_sel:DWORD src1_sel:DWORD
	v_or_b32_e32 v38, v38, v39
	v_add_u32_e32 v39, 0x1000, v122
	ds_write2_b32 v39, v0, v38 offset0:16 offset1:32
	v_lshrrev_b32_e32 v38, 4, v45
	v_ashrrev_i32_e32 v43, v121, v48
	v_and_b32_e32 v0, 0xf0f0f0f, v45
	v_and_b32_e32 v42, 0xf0f0f0f, v38
	v_lshlrev_b32_e32 v38, 4, v43
	v_and_or_b32 v0, v38, s15, v0
	v_and_b32_e32 v44, 0x3f00, v0
	v_lshlrev_b16_e32 v45, 8, v0
	s_waitcnt vmcnt(0)
	v_mad_u64_u32 v[38:39], s[0:1], v1, s5, v[36:37]
	v_add_co_u32_e32 v40, vcc, v38, v119
	v_addc_co_u32_e32 v41, vcc, 0, v39, vcc
	v_add_co_u32_e32 v38, vcc, v38, v120
	v_addc_co_u32_e32 v39, vcc, 0, v39, vcc
	global_load_dword v48, v[40:41], off
	global_load_dword v49, v[38:39], off offset:128
	buffer_load_dword v1, off, s[24:27], 0 offset:44 ; 4-byte Folded Reload
	v_and_b32_sdwa v39, v0, s16 dst_sel:DWORD dst_unused:UNUSED_PAD src0_sel:WORD_1 src1_sel:DWORD
	v_lshlrev_b16_sdwa v0, v184, v0 dst_sel:DWORD dst_unused:UNUSED_PAD src0_sel:DWORD src1_sel:WORD_1
	v_add_u16_e32 v38, 0xe000, v45
	v_add_u16_e32 v0, 0xe000, v0
	v_or_b32_sdwa v38, v44, v38 dst_sel:DWORD dst_unused:UNUSED_PAD src0_sel:DWORD src1_sel:BYTE_1
	v_or_b32_sdwa v0, v39, v0 dst_sel:DWORD dst_unused:UNUSED_PAD src0_sel:DWORD src1_sel:BYTE_1
	v_and_or_b32 v40, v43, s15, v42
	v_add_u16_e32 v38, 0xe000, v38
	v_add_u16_sdwa v0, v0, s17 dst_sel:WORD_1 dst_unused:UNUSED_PAD src0_sel:DWORD src1_sel:DWORD
	v_lshlrev_b16_e32 v39, 8, v40
	v_or_b32_e32 v0, v38, v0
	v_and_b32_e32 v38, 0x3f00, v40
	v_add_u16_e32 v39, 0xe000, v39
	v_or_b32_sdwa v38, v38, v39 dst_sel:DWORD dst_unused:UNUSED_PAD src0_sel:DWORD src1_sel:BYTE_1
	v_add_u16_e32 v42, 0xe000, v38
	v_and_b32_sdwa v43, v40, s16 dst_sel:DWORD dst_unused:UNUSED_PAD src0_sel:WORD_1 src1_sel:DWORD
	v_lshlrev_b16_sdwa v40, v184, v40 dst_sel:DWORD dst_unused:UNUSED_PAD src0_sel:DWORD src1_sel:WORD_1
	v_add_u16_e32 v44, 0xe000, v40
	s_waitcnt vmcnt(0)
	v_mad_u64_u32 v[38:39], s[0:1], v1, s5, v[36:37]
	v_add_co_u32_e32 v40, vcc, v38, v119
	v_addc_co_u32_e32 v41, vcc, 0, v39, vcc
	v_add_co_u32_e32 v38, vcc, v38, v120
	v_addc_co_u32_e32 v39, vcc, 0, v39, vcc
	global_load_dword v45, v[40:41], off
	global_load_dword v50, v[38:39], off offset:128
	buffer_load_dword v1, off, s[24:27], 0 offset:48 ; 4-byte Folded Reload
	v_or_b32_sdwa v38, v43, v44 dst_sel:DWORD dst_unused:UNUSED_PAD src0_sel:DWORD src1_sel:BYTE_1
	v_add_u16_sdwa v40, v38, s17 dst_sel:WORD_1 dst_unused:UNUSED_PAD src0_sel:DWORD src1_sel:DWORD
	v_or_b32_e32 v40, v42, v40
	v_add_u32_e32 v41, 0x1800, v122
	ds_write2_b32 v41, v0, v40 offset0:24 offset1:40
	s_waitcnt vmcnt(0)
	v_mad_u64_u32 v[38:39], s[0:1], v1, s5, v[36:37]
	v_add_co_u32_e32 v40, vcc, v38, v119
	v_addc_co_u32_e32 v41, vcc, 0, v39, vcc
	v_add_co_u32_e32 v38, vcc, v38, v120
	v_addc_co_u32_e32 v39, vcc, 0, v39, vcc
	global_load_dword v0, v[40:41], off
	global_load_dword v42, v[38:39], off offset:128
	buffer_load_dword v1, off, s[24:27], 0 offset:52 ; 4-byte Folded Reload
	v_ashrrev_i32_e32 v40, v121, v47
	v_and_b32_e32 v38, 0xf0f0f0f, v46
	v_lshlrev_b32_e32 v41, 4, v40
	v_and_or_b32 v38, v41, s15, v38
	v_lshlrev_b16_e32 v43, 8, v38
	v_and_b32_e32 v41, 0x3f00, v38
	v_add_u16_e32 v43, 0xe000, v43
	v_or_b32_sdwa v41, v41, v43 dst_sel:DWORD dst_unused:UNUSED_PAD src0_sel:DWORD src1_sel:BYTE_1
	v_and_b32_sdwa v43, v38, s16 dst_sel:DWORD dst_unused:UNUSED_PAD src0_sel:WORD_1 src1_sel:DWORD
	v_lshlrev_b16_sdwa v38, v184, v38 dst_sel:DWORD dst_unused:UNUSED_PAD src0_sel:DWORD src1_sel:WORD_1
	v_lshrrev_b32_e32 v39, 4, v46
	v_add_u16_e32 v38, 0xe000, v38
	v_and_b32_e32 v39, 0xf0f0f0f, v39
	v_or_b32_sdwa v38, v43, v38 dst_sel:DWORD dst_unused:UNUSED_PAD src0_sel:DWORD src1_sel:BYTE_1
	v_add_u16_e32 v41, 0xe000, v41
	v_add_u16_sdwa v38, v38, s17 dst_sel:WORD_1 dst_unused:UNUSED_PAD src0_sel:DWORD src1_sel:DWORD
	v_and_or_b32 v39, v40, s15, v39
	v_or_b32_e32 v38, v41, v38
	v_lshlrev_b16_e32 v41, 8, v39
	v_and_b32_e32 v40, 0x3f00, v39
	v_add_u16_e32 v41, 0xe000, v41
	v_or_b32_sdwa v40, v40, v41 dst_sel:DWORD dst_unused:UNUSED_PAD src0_sel:DWORD src1_sel:BYTE_1
	v_and_b32_sdwa v41, v39, s16 dst_sel:DWORD dst_unused:UNUSED_PAD src0_sel:WORD_1 src1_sel:DWORD
	v_lshlrev_b16_sdwa v39, v184, v39 dst_sel:DWORD dst_unused:UNUSED_PAD src0_sel:DWORD src1_sel:WORD_1
	v_add_u16_e32 v39, 0xe000, v39
	v_or_b32_sdwa v39, v41, v39 dst_sel:DWORD dst_unused:UNUSED_PAD src0_sel:DWORD src1_sel:BYTE_1
	v_add_u16_e32 v40, 0xe000, v40
	v_add_u16_sdwa v39, v39, s17 dst_sel:WORD_1 dst_unused:UNUSED_PAD src0_sel:DWORD src1_sel:DWORD
	v_or_b32_e32 v39, v40, v39
	v_add_u32_e32 v40, 0x2000, v122
	ds_write2_b32 v40, v38, v39 offset0:32 offset1:48
	v_ashrrev_i32_e32 v40, v121, v49
	v_and_b32_e32 v38, 0xf0f0f0f, v48
	v_lshlrev_b32_e32 v41, 4, v40
	v_and_or_b32 v38, v41, s15, v38
	v_lshlrev_b16_e32 v43, 8, v38
	v_and_b32_e32 v41, 0x3f00, v38
	v_add_u16_e32 v43, 0xe000, v43
	v_or_b32_sdwa v41, v41, v43 dst_sel:DWORD dst_unused:UNUSED_PAD src0_sel:DWORD src1_sel:BYTE_1
	v_and_b32_sdwa v43, v38, s16 dst_sel:DWORD dst_unused:UNUSED_PAD src0_sel:WORD_1 src1_sel:DWORD
	v_lshlrev_b16_sdwa v38, v184, v38 dst_sel:DWORD dst_unused:UNUSED_PAD src0_sel:DWORD src1_sel:WORD_1
	v_lshrrev_b32_e32 v39, 4, v48
	v_add_u16_e32 v38, 0xe000, v38
	v_and_b32_e32 v39, 0xf0f0f0f, v39
	v_or_b32_sdwa v38, v43, v38 dst_sel:DWORD dst_unused:UNUSED_PAD src0_sel:DWORD src1_sel:BYTE_1
	v_add_u16_e32 v41, 0xe000, v41
	v_add_u16_sdwa v38, v38, s17 dst_sel:WORD_1 dst_unused:UNUSED_PAD src0_sel:DWORD src1_sel:DWORD
	v_and_or_b32 v39, v40, s15, v39
	v_or_b32_e32 v38, v41, v38
	v_lshlrev_b16_e32 v41, 8, v39
	v_and_b32_e32 v40, 0x3f00, v39
	v_add_u16_e32 v41, 0xe000, v41
	v_or_b32_sdwa v40, v40, v41 dst_sel:DWORD dst_unused:UNUSED_PAD src0_sel:DWORD src1_sel:BYTE_1
	v_and_b32_sdwa v41, v39, s16 dst_sel:DWORD dst_unused:UNUSED_PAD src0_sel:WORD_1 src1_sel:DWORD
	v_lshlrev_b16_sdwa v39, v184, v39 dst_sel:DWORD dst_unused:UNUSED_PAD src0_sel:DWORD src1_sel:WORD_1
	v_add_u16_e32 v39, 0xe000, v39
	v_or_b32_sdwa v39, v41, v39 dst_sel:DWORD dst_unused:UNUSED_PAD src0_sel:DWORD src1_sel:BYTE_1
	v_add_u16_e32 v40, 0xe000, v40
	v_add_u16_sdwa v39, v39, s17 dst_sel:WORD_1 dst_unused:UNUSED_PAD src0_sel:DWORD src1_sel:DWORD
	v_or_b32_e32 v39, v40, v39
	v_add_u32_e32 v40, 0x2800, v122
	ds_write2_b32 v40, v38, v39 offset0:40 offset1:56
	v_ashrrev_i32_e32 v40, v121, v50
	v_and_b32_e32 v38, 0xf0f0f0f, v45
	v_lshlrev_b32_e32 v41, 4, v40
	v_and_or_b32 v38, v41, s15, v38
	v_lshlrev_b16_e32 v43, 8, v38
	v_and_b32_e32 v41, 0x3f00, v38
	v_add_u16_e32 v43, 0xe000, v43
	v_or_b32_sdwa v41, v41, v43 dst_sel:DWORD dst_unused:UNUSED_PAD src0_sel:DWORD src1_sel:BYTE_1
	v_and_b32_sdwa v43, v38, s16 dst_sel:DWORD dst_unused:UNUSED_PAD src0_sel:WORD_1 src1_sel:DWORD
	v_lshlrev_b16_sdwa v38, v184, v38 dst_sel:DWORD dst_unused:UNUSED_PAD src0_sel:DWORD src1_sel:WORD_1
	v_add_u16_e32 v38, 0xe000, v38
	v_lshrrev_b32_e32 v39, 4, v45
	v_or_b32_sdwa v38, v43, v38 dst_sel:DWORD dst_unused:UNUSED_PAD src0_sel:DWORD src1_sel:BYTE_1
	v_and_b32_e32 v39, 0xf0f0f0f, v39
	v_add_u16_e32 v41, 0xe000, v41
	v_add_u16_sdwa v38, v38, s17 dst_sel:WORD_1 dst_unused:UNUSED_PAD src0_sel:DWORD src1_sel:DWORD
	v_or_b32_e32 v43, v41, v38
	v_and_or_b32 v44, v40, s15, v39
	s_waitcnt vmcnt(0)
	v_mad_u64_u32 v[38:39], s[0:1], v1, s5, v[36:37]
	v_lshlrev_b16_e32 v46, 8, v44
	v_and_b32_e32 v45, 0x3f00, v44
	v_add_co_u32_e32 v40, vcc, v38, v119
	v_addc_co_u32_e32 v41, vcc, 0, v39, vcc
	v_add_co_u32_e32 v38, vcc, v38, v120
	v_addc_co_u32_e32 v39, vcc, 0, v39, vcc
	global_load_dword v47, v[40:41], off
	global_load_dword v48, v[38:39], off offset:128
	v_lshlrev_b16_sdwa v40, v184, v44 dst_sel:DWORD dst_unused:UNUSED_PAD src0_sel:DWORD src1_sel:WORD_1
	v_add_u16_e32 v38, 0xe000, v46
	v_and_b32_sdwa v39, v44, s16 dst_sel:DWORD dst_unused:UNUSED_PAD src0_sel:WORD_1 src1_sel:DWORD
	v_add_u16_e32 v40, 0xe000, v40
	v_or_b32_sdwa v38, v45, v38 dst_sel:DWORD dst_unused:UNUSED_PAD src0_sel:DWORD src1_sel:BYTE_1
	v_or_b32_sdwa v39, v39, v40 dst_sel:DWORD dst_unused:UNUSED_PAD src0_sel:DWORD src1_sel:BYTE_1
	v_add_u16_e32 v38, 0xe000, v38
	v_add_u16_sdwa v39, v39, s17 dst_sel:WORD_1 dst_unused:UNUSED_PAD src0_sel:DWORD src1_sel:DWORD
	v_or_b32_e32 v38, v38, v39
	v_add_u32_e32 v1, 0x30c0, v122
	v_ashrrev_i32_e32 v42, v121, v42
	ds_write2_b32 v1, v43, v38 offset1:16
	v_and_b32_e32 v38, 0xf0f0f0f, v0
	v_lshlrev_b32_e32 v39, 4, v42
	v_and_or_b32 v43, v39, s15, v38
	buffer_load_dword v38, off, s[24:27], 0 offset:56 ; 4-byte Folded Reload
	v_lshlrev_b16_e32 v45, 8, v43
	v_lshrrev_b32_e32 v0, 4, v0
	v_and_b32_e32 v44, 0x3f00, v43
	v_and_b32_e32 v0, 0xf0f0f0f, v0
	v_and_or_b32 v0, v42, s15, v0
	s_waitcnt vmcnt(0)
	v_mad_u64_u32 v[38:39], s[0:1], v38, s5, v[36:37]
	v_add_co_u32_e32 v40, vcc, v38, v119
	v_addc_co_u32_e32 v41, vcc, 0, v39, vcc
	v_add_co_u32_e32 v38, vcc, v38, v120
	v_addc_co_u32_e32 v39, vcc, 0, v39, vcc
	global_load_dword v46, v[40:41], off
	global_load_dword v49, v[38:39], off offset:128
	v_lshlrev_b16_sdwa v40, v184, v43 dst_sel:DWORD dst_unused:UNUSED_PAD src0_sel:DWORD src1_sel:WORD_1
	v_add_u16_e32 v38, 0xe000, v45
	v_and_b32_sdwa v39, v43, s16 dst_sel:DWORD dst_unused:UNUSED_PAD src0_sel:WORD_1 src1_sel:DWORD
	v_add_u16_e32 v40, 0xe000, v40
	v_or_b32_sdwa v38, v44, v38 dst_sel:DWORD dst_unused:UNUSED_PAD src0_sel:DWORD src1_sel:BYTE_1
	v_or_b32_sdwa v39, v39, v40 dst_sel:DWORD dst_unused:UNUSED_PAD src0_sel:DWORD src1_sel:BYTE_1
	v_add_u16_e32 v38, 0xe000, v38
	v_add_u16_sdwa v39, v39, s17 dst_sel:WORD_1 dst_unused:UNUSED_PAD src0_sel:DWORD src1_sel:DWORD
	v_or_b32_e32 v43, v38, v39
	v_lshlrev_b16_e32 v39, 8, v0
	v_and_b32_e32 v38, 0x3f00, v0
	v_add_u16_e32 v39, 0xe000, v39
	v_or_b32_sdwa v38, v38, v39 dst_sel:DWORD dst_unused:UNUSED_PAD src0_sel:DWORD src1_sel:BYTE_1
	v_add_u16_e32 v42, 0xe000, v38
	buffer_load_dword v38, off, s[24:27], 0 offset:60 ; 4-byte Folded Reload
	v_and_b32_sdwa v44, v0, s16 dst_sel:DWORD dst_unused:UNUSED_PAD src0_sel:WORD_1 src1_sel:DWORD
	v_lshlrev_b16_sdwa v0, v184, v0 dst_sel:DWORD dst_unused:UNUSED_PAD src0_sel:DWORD src1_sel:WORD_1
	v_add_u16_e32 v0, 0xe000, v0
	v_or_b32_sdwa v0, v44, v0 dst_sel:DWORD dst_unused:UNUSED_PAD src0_sel:DWORD src1_sel:BYTE_1
	v_add_u16_sdwa v0, v0, s17 dst_sel:WORD_1 dst_unused:UNUSED_PAD src0_sel:DWORD src1_sel:DWORD
	v_or_b32_e32 v0, v42, v0
	s_waitcnt vmcnt(0)
	v_mad_u64_u32 v[38:39], s[0:1], v38, s5, v[36:37]
	v_add_co_u32_e32 v40, vcc, v38, v119
	v_addc_co_u32_e32 v41, vcc, 0, v39, vcc
	v_add_co_u32_e32 v38, vcc, v38, v120
	v_addc_co_u32_e32 v39, vcc, 0, v39, vcc
	global_load_dword v45, v[40:41], off
	global_load_dword v50, v[38:39], off offset:128
	v_add_u32_e32 v40, 0x800, v1
	buffer_load_dword v38, off, s[24:27], 0 offset:64 ; 4-byte Folded Reload
	ds_write2_b32 v40, v43, v0 offset0:8 offset1:24
	s_waitcnt vmcnt(0)
	v_mad_u64_u32 v[38:39], s[0:1], v38, s5, v[36:37]
	v_add_co_u32_e32 v40, vcc, v38, v119
	v_addc_co_u32_e32 v41, vcc, 0, v39, vcc
	v_add_co_u32_e32 v38, vcc, v38, v120
	v_addc_co_u32_e32 v39, vcc, 0, v39, vcc
	global_load_dword v0, v[40:41], off
	global_load_dword v42, v[38:39], off offset:128
	v_ashrrev_i32_e32 v40, v121, v48
	v_and_b32_e32 v38, 0xf0f0f0f, v47
	v_lshlrev_b32_e32 v41, 4, v40
	v_and_or_b32 v38, v41, s15, v38
	v_lshlrev_b16_e32 v43, 8, v38
	v_and_b32_e32 v41, 0x3f00, v38
	v_add_u16_e32 v43, 0xe000, v43
	v_or_b32_sdwa v41, v41, v43 dst_sel:DWORD dst_unused:UNUSED_PAD src0_sel:DWORD src1_sel:BYTE_1
	v_and_b32_sdwa v43, v38, s16 dst_sel:DWORD dst_unused:UNUSED_PAD src0_sel:WORD_1 src1_sel:DWORD
	v_lshlrev_b16_sdwa v38, v184, v38 dst_sel:DWORD dst_unused:UNUSED_PAD src0_sel:DWORD src1_sel:WORD_1
	v_lshrrev_b32_e32 v39, 4, v47
	v_add_u16_e32 v38, 0xe000, v38
	v_and_b32_e32 v39, 0xf0f0f0f, v39
	v_or_b32_sdwa v38, v43, v38 dst_sel:DWORD dst_unused:UNUSED_PAD src0_sel:DWORD src1_sel:BYTE_1
	v_add_u16_e32 v41, 0xe000, v41
	v_add_u16_sdwa v38, v38, s17 dst_sel:WORD_1 dst_unused:UNUSED_PAD src0_sel:DWORD src1_sel:DWORD
	v_and_or_b32 v39, v40, s15, v39
	v_or_b32_e32 v38, v41, v38
	v_lshlrev_b16_e32 v41, 8, v39
	v_and_b32_e32 v40, 0x3f00, v39
	v_add_u16_e32 v41, 0xe000, v41
	v_or_b32_sdwa v40, v40, v41 dst_sel:DWORD dst_unused:UNUSED_PAD src0_sel:DWORD src1_sel:BYTE_1
	v_and_b32_sdwa v41, v39, s16 dst_sel:DWORD dst_unused:UNUSED_PAD src0_sel:WORD_1 src1_sel:DWORD
	v_lshlrev_b16_sdwa v39, v184, v39 dst_sel:DWORD dst_unused:UNUSED_PAD src0_sel:DWORD src1_sel:WORD_1
	v_add_u16_e32 v39, 0xe000, v39
	v_or_b32_sdwa v39, v41, v39 dst_sel:DWORD dst_unused:UNUSED_PAD src0_sel:DWORD src1_sel:BYTE_1
	v_add_u16_e32 v40, 0xe000, v40
	v_add_u16_sdwa v39, v39, s17 dst_sel:WORD_1 dst_unused:UNUSED_PAD src0_sel:DWORD src1_sel:DWORD
	v_or_b32_e32 v39, v40, v39
	v_add_u32_e32 v40, 0x1000, v1
	ds_write2_b32 v40, v38, v39 offset0:16 offset1:32
	v_ashrrev_i32_e32 v40, v121, v49
	v_and_b32_e32 v38, 0xf0f0f0f, v46
	v_lshlrev_b32_e32 v41, 4, v40
	v_and_or_b32 v38, v41, s15, v38
	v_lshlrev_b16_e32 v43, 8, v38
	v_and_b32_e32 v41, 0x3f00, v38
	v_add_u16_e32 v43, 0xe000, v43
	v_or_b32_sdwa v41, v41, v43 dst_sel:DWORD dst_unused:UNUSED_PAD src0_sel:DWORD src1_sel:BYTE_1
	v_and_b32_sdwa v43, v38, s16 dst_sel:DWORD dst_unused:UNUSED_PAD src0_sel:WORD_1 src1_sel:DWORD
	v_lshlrev_b16_sdwa v38, v184, v38 dst_sel:DWORD dst_unused:UNUSED_PAD src0_sel:DWORD src1_sel:WORD_1
	v_lshrrev_b32_e32 v39, 4, v46
	v_add_u16_e32 v38, 0xe000, v38
	v_and_b32_e32 v39, 0xf0f0f0f, v39
	v_or_b32_sdwa v38, v43, v38 dst_sel:DWORD dst_unused:UNUSED_PAD src0_sel:DWORD src1_sel:BYTE_1
	v_add_u16_e32 v41, 0xe000, v41
	v_add_u16_sdwa v38, v38, s17 dst_sel:WORD_1 dst_unused:UNUSED_PAD src0_sel:DWORD src1_sel:DWORD
	v_and_or_b32 v39, v40, s15, v39
	v_or_b32_e32 v38, v41, v38
	v_lshlrev_b16_e32 v41, 8, v39
	v_and_b32_e32 v40, 0x3f00, v39
	v_add_u16_e32 v41, 0xe000, v41
	v_or_b32_sdwa v40, v40, v41 dst_sel:DWORD dst_unused:UNUSED_PAD src0_sel:DWORD src1_sel:BYTE_1
	v_and_b32_sdwa v41, v39, s16 dst_sel:DWORD dst_unused:UNUSED_PAD src0_sel:WORD_1 src1_sel:DWORD
	v_lshlrev_b16_sdwa v39, v184, v39 dst_sel:DWORD dst_unused:UNUSED_PAD src0_sel:DWORD src1_sel:WORD_1
	v_add_u16_e32 v39, 0xe000, v39
	v_or_b32_sdwa v39, v41, v39 dst_sel:DWORD dst_unused:UNUSED_PAD src0_sel:DWORD src1_sel:BYTE_1
	v_add_u16_e32 v40, 0xe000, v40
	v_add_u16_sdwa v39, v39, s17 dst_sel:WORD_1 dst_unused:UNUSED_PAD src0_sel:DWORD src1_sel:DWORD
	v_or_b32_e32 v39, v40, v39
	v_add_u32_e32 v40, 0x1800, v1
	buffer_load_dword v1, off, s[24:27], 0 offset:68 ; 4-byte Folded Reload
	ds_write2_b32 v40, v38, v39 offset0:24 offset1:40
	v_ashrrev_i32_e32 v40, v121, v50
	v_and_b32_e32 v38, 0xf0f0f0f, v45
	v_lshlrev_b32_e32 v41, 4, v40
	v_and_or_b32 v38, v41, s15, v38
	v_lshlrev_b16_e32 v43, 8, v38
	v_and_b32_e32 v41, 0x3f00, v38
	v_add_u16_e32 v43, 0xe000, v43
	v_or_b32_sdwa v41, v41, v43 dst_sel:DWORD dst_unused:UNUSED_PAD src0_sel:DWORD src1_sel:BYTE_1
	v_and_b32_sdwa v43, v38, s16 dst_sel:DWORD dst_unused:UNUSED_PAD src0_sel:WORD_1 src1_sel:DWORD
	v_lshlrev_b16_sdwa v38, v184, v38 dst_sel:DWORD dst_unused:UNUSED_PAD src0_sel:DWORD src1_sel:WORD_1
	v_add_u16_e32 v38, 0xe000, v38
	v_lshrrev_b32_e32 v39, 4, v45
	v_or_b32_sdwa v38, v43, v38 dst_sel:DWORD dst_unused:UNUSED_PAD src0_sel:DWORD src1_sel:BYTE_1
	v_and_b32_e32 v39, 0xf0f0f0f, v39
	v_add_u16_e32 v41, 0xe000, v41
	v_add_u16_sdwa v38, v38, s17 dst_sel:WORD_1 dst_unused:UNUSED_PAD src0_sel:DWORD src1_sel:DWORD
	v_or_b32_e32 v43, v41, v38
	v_and_or_b32 v44, v40, s15, v39
	v_lshlrev_b16_e32 v46, 8, v44
	v_and_b32_e32 v45, 0x3f00, v44
	s_waitcnt vmcnt(1)
	v_ashrrev_i32_e32 v42, v121, v42
	s_waitcnt vmcnt(0)
	v_mad_u64_u32 v[38:39], s[0:1], v1, s5, v[36:37]
	v_add_co_u32_e32 v40, vcc, v38, v119
	v_addc_co_u32_e32 v41, vcc, 0, v39, vcc
	v_add_co_u32_e32 v38, vcc, v38, v120
	v_addc_co_u32_e32 v39, vcc, 0, v39, vcc
	global_load_dword v47, v[40:41], off
	global_load_dword v48, v[38:39], off offset:128
	buffer_load_dword v1, off, s[24:27], 0 offset:72 ; 4-byte Folded Reload
	v_lshlrev_b16_sdwa v40, v184, v44 dst_sel:DWORD dst_unused:UNUSED_PAD src0_sel:DWORD src1_sel:WORD_1
	v_add_u16_e32 v38, 0xe000, v46
	v_and_b32_sdwa v39, v44, s16 dst_sel:DWORD dst_unused:UNUSED_PAD src0_sel:WORD_1 src1_sel:DWORD
	v_add_u16_e32 v40, 0xe000, v40
	v_or_b32_sdwa v38, v45, v38 dst_sel:DWORD dst_unused:UNUSED_PAD src0_sel:DWORD src1_sel:BYTE_1
	v_or_b32_sdwa v39, v39, v40 dst_sel:DWORD dst_unused:UNUSED_PAD src0_sel:DWORD src1_sel:BYTE_1
	v_add_u16_e32 v38, 0xe000, v38
	v_add_u16_sdwa v39, v39, s17 dst_sel:WORD_1 dst_unused:UNUSED_PAD src0_sel:DWORD src1_sel:DWORD
	v_or_b32_e32 v38, v38, v39
	v_add_u32_e32 v39, 0x5140, v122
	ds_write2_b32 v39, v43, v38 offset1:16
	v_and_b32_e32 v38, 0xf0f0f0f, v0
	v_lshlrev_b32_e32 v39, 4, v42
	v_and_or_b32 v43, v39, s15, v38
	v_lshlrev_b16_e32 v45, 8, v43
	v_lshrrev_b32_e32 v0, 4, v0
	v_and_b32_e32 v44, 0x3f00, v43
	v_and_b32_e32 v0, 0xf0f0f0f, v0
	v_and_or_b32 v0, v42, s15, v0
	s_waitcnt vmcnt(0)
	v_mad_u64_u32 v[38:39], s[0:1], v1, s5, v[36:37]
	v_add_co_u32_e32 v40, vcc, v38, v119
	v_addc_co_u32_e32 v41, vcc, 0, v39, vcc
	v_add_co_u32_e32 v38, vcc, v38, v120
	v_addc_co_u32_e32 v39, vcc, 0, v39, vcc
	global_load_dword v46, v[40:41], off
	global_load_dword v49, v[38:39], off offset:128
	v_lshlrev_b16_sdwa v40, v184, v43 dst_sel:DWORD dst_unused:UNUSED_PAD src0_sel:DWORD src1_sel:WORD_1
	v_add_u16_e32 v38, 0xe000, v45
	v_and_b32_sdwa v39, v43, s16 dst_sel:DWORD dst_unused:UNUSED_PAD src0_sel:WORD_1 src1_sel:DWORD
	v_add_u16_e32 v40, 0xe000, v40
	v_or_b32_sdwa v38, v44, v38 dst_sel:DWORD dst_unused:UNUSED_PAD src0_sel:DWORD src1_sel:BYTE_1
	v_or_b32_sdwa v39, v39, v40 dst_sel:DWORD dst_unused:UNUSED_PAD src0_sel:DWORD src1_sel:BYTE_1
	v_add_u16_e32 v38, 0xe000, v38
	v_add_u16_sdwa v39, v39, s17 dst_sel:WORD_1 dst_unused:UNUSED_PAD src0_sel:DWORD src1_sel:DWORD
	v_or_b32_e32 v40, v38, v39
	v_lshlrev_b16_e32 v39, 8, v0
	v_and_b32_e32 v38, 0x3f00, v0
	v_add_u16_e32 v39, 0xe000, v39
	v_or_b32_sdwa v38, v38, v39 dst_sel:DWORD dst_unused:UNUSED_PAD src0_sel:DWORD src1_sel:BYTE_1
	v_add_u16_e32 v41, 0xe000, v38
	v_and_b32_sdwa v38, v0, s16 dst_sel:DWORD dst_unused:UNUSED_PAD src0_sel:WORD_1 src1_sel:DWORD
	v_lshlrev_b16_sdwa v0, v184, v0 dst_sel:DWORD dst_unused:UNUSED_PAD src0_sel:DWORD src1_sel:WORD_1
	v_add_u16_e32 v0, 0xe000, v0
	buffer_load_dword v1, off, s[24:27], 0 offset:76 ; 4-byte Folded Reload
	v_or_b32_sdwa v0, v38, v0 dst_sel:DWORD dst_unused:UNUSED_PAD src0_sel:DWORD src1_sel:BYTE_1
	v_add_u16_sdwa v0, v0, s17 dst_sel:WORD_1 dst_unused:UNUSED_PAD src0_sel:DWORD src1_sel:DWORD
	v_or_b32_e32 v0, v41, v0
	v_add_u32_e32 v41, 0x5960, v122
	ds_write2_b32 v41, v40, v0 offset1:16
	buffer_load_dword v0, off, s[24:27], 0 offset:80 ; 4-byte Folded Reload
	s_waitcnt vmcnt(1)
	v_mad_u64_u32 v[38:39], s[0:1], v1, s5, v[36:37]
	v_add_co_u32_e32 v40, vcc, v38, v119
	s_waitcnt vmcnt(0)
	v_mad_u64_u32 v[36:37], s[0:1], v0, s5, v[36:37]
	v_addc_co_u32_e32 v41, vcc, 0, v39, vcc
	v_add_co_u32_e32 v38, vcc, v38, v120
	v_addc_co_u32_e32 v39, vcc, 0, v39, vcc
	v_add_co_u32_e32 v42, vcc, v36, v119
	;; [unrolled: 2-line block ×3, first 2 shown]
	v_addc_co_u32_e32 v37, vcc, 0, v37, vcc
	global_load_dword v0, v[40:41], off
	global_load_dword v50, v[38:39], off offset:128
	global_load_dword v55, v[42:43], off
	global_load_dword v56, v[36:37], off offset:128
	buffer_load_dword v1, off, s[24:27], 0 offset:84 ; 4-byte Folded Reload
	v_ashrrev_i32_e32 v38, v121, v48
	v_and_b32_e32 v36, 0xf0f0f0f, v47
	v_lshlrev_b32_e32 v39, 4, v38
	v_and_or_b32 v36, v39, s15, v36
	v_lshlrev_b16_e32 v40, 8, v36
	v_and_b32_e32 v39, 0x3f00, v36
	v_add_u16_e32 v40, 0xe000, v40
	v_or_b32_sdwa v39, v39, v40 dst_sel:DWORD dst_unused:UNUSED_PAD src0_sel:DWORD src1_sel:BYTE_1
	v_and_b32_sdwa v40, v36, s16 dst_sel:DWORD dst_unused:UNUSED_PAD src0_sel:WORD_1 src1_sel:DWORD
	v_lshlrev_b16_sdwa v36, v184, v36 dst_sel:DWORD dst_unused:UNUSED_PAD src0_sel:DWORD src1_sel:WORD_1
	v_lshrrev_b32_e32 v37, 4, v47
	v_add_u16_e32 v36, 0xe000, v36
	v_and_b32_e32 v37, 0xf0f0f0f, v37
	v_or_b32_sdwa v36, v40, v36 dst_sel:DWORD dst_unused:UNUSED_PAD src0_sel:DWORD src1_sel:BYTE_1
	v_add_u16_e32 v39, 0xe000, v39
	v_add_u16_sdwa v36, v36, s17 dst_sel:WORD_1 dst_unused:UNUSED_PAD src0_sel:DWORD src1_sel:DWORD
	v_and_or_b32 v37, v38, s15, v37
	v_or_b32_e32 v36, v39, v36
	v_lshlrev_b16_e32 v39, 8, v37
	v_and_b32_e32 v38, 0x3f00, v37
	v_add_u16_e32 v39, 0xe000, v39
	v_or_b32_sdwa v38, v38, v39 dst_sel:DWORD dst_unused:UNUSED_PAD src0_sel:DWORD src1_sel:BYTE_1
	v_and_b32_sdwa v39, v37, s16 dst_sel:DWORD dst_unused:UNUSED_PAD src0_sel:WORD_1 src1_sel:DWORD
	v_lshlrev_b16_sdwa v37, v184, v37 dst_sel:DWORD dst_unused:UNUSED_PAD src0_sel:DWORD src1_sel:WORD_1
	v_add_u16_e32 v37, 0xe000, v37
	v_or_b32_sdwa v37, v39, v37 dst_sel:DWORD dst_unused:UNUSED_PAD src0_sel:DWORD src1_sel:BYTE_1
	v_add_u16_e32 v38, 0xe000, v38
	v_add_u16_sdwa v37, v37, s17 dst_sel:WORD_1 dst_unused:UNUSED_PAD src0_sel:DWORD src1_sel:DWORD
	v_or_b32_e32 v37, v38, v37
	v_add_u32_e32 v38, 0x6180, v122
	ds_write2_b32 v38, v36, v37 offset1:16
	v_ashrrev_i32_e32 v38, v121, v49
	v_and_b32_e32 v36, 0xf0f0f0f, v46
	v_lshlrev_b32_e32 v39, 4, v38
	v_and_or_b32 v36, v39, s15, v36
	v_lshlrev_b16_e32 v40, 8, v36
	v_and_b32_e32 v39, 0x3f00, v36
	v_add_u16_e32 v40, 0xe000, v40
	v_lshrrev_b32_e32 v37, 4, v46
	v_or_b32_sdwa v39, v39, v40 dst_sel:DWORD dst_unused:UNUSED_PAD src0_sel:DWORD src1_sel:BYTE_1
	v_and_b32_sdwa v40, v36, s16 dst_sel:DWORD dst_unused:UNUSED_PAD src0_sel:WORD_1 src1_sel:DWORD
	v_lshlrev_b16_sdwa v36, v184, v36 dst_sel:DWORD dst_unused:UNUSED_PAD src0_sel:DWORD src1_sel:WORD_1
	v_and_b32_e32 v37, 0xf0f0f0f, v37
	v_add_u16_e32 v36, 0xe000, v36
	v_or_b32_sdwa v36, v40, v36 dst_sel:DWORD dst_unused:UNUSED_PAD src0_sel:DWORD src1_sel:BYTE_1
	v_and_or_b32 v58, v38, s15, v37
	v_add_u16_e32 v39, 0xe000, v39
	v_add_u16_sdwa v36, v36, s17 dst_sel:WORD_1 dst_unused:UNUSED_PAD src0_sel:DWORD src1_sel:DWORD
	v_lshlrev_b16_e32 v37, 8, v58
	v_or_b32_e32 v57, v39, v36
	v_and_b32_e32 v36, 0x3f00, v58
	v_add_u16_e32 v37, 0xe000, v37
	v_or_b32_sdwa v36, v36, v37 dst_sel:DWORD dst_unused:UNUSED_PAD src0_sel:DWORD src1_sel:BYTE_1
	v_add_u16_e32 v59, 0xe000, v36
	s_waitcnt vmcnt(0)
	v_mad_u64_u32 v[36:37], s[0:1], v1, s5, v[34:35]
	buffer_load_dword v1, off, s[24:27], 0 offset:92 ; 4-byte Folded Reload
	s_waitcnt vmcnt(0)
	v_mad_u64_u32 v[38:39], s[0:1], v1, s5, v[34:35]
	buffer_load_dword v1, off, s[24:27], 0 offset:100 ; 4-byte Folded Reload
	v_add_co_u32_e32 v38, vcc, v38, v142
	v_addc_co_u32_e32 v39, vcc, 0, v39, vcc
	s_waitcnt vmcnt(0)
	v_mad_u64_u32 v[34:35], s[0:1], v1, s5, v[34:35]
	v_add_co_u32_e32 v34, vcc, v34, v142
	v_addc_co_u32_e32 v35, vcc, 0, v35, vcc
	global_load_ushort v60, v[36:37], off offset:208
	global_load_dword v61, v[38:39], off offset:192
	global_load_dword v62, v[34:35], off offset:192
	s_nop 0
	buffer_load_dword v34, off, s[24:27], 0 offset:108 ; 4-byte Folded Reload
	buffer_load_dword v35, off, s[24:27], 0 offset:112 ; 4-byte Folded Reload
	buffer_load_dword v1, off, s[24:27], 0  ; 4-byte Folded Reload
	v_add_u32_e32 v36, v53, v152
	v_mad_i64_i32 v[36:37], s[0:1], v36, 36, v[51:52]
	v_add_u32_e32 v38, v53, v154
	v_mad_i64_i32 v[38:39], s[0:1], v38, 36, v[51:52]
	s_waitcnt vmcnt(2)
	v_add_u32_e32 v193, s18, v34
	v_add_u32_e32 v34, v53, v151
	s_waitcnt vmcnt(0)
	v_add_u32_e32 v40, v53, v1
	buffer_load_dword v1, off, s[24:27], 0 offset:4 ; 4-byte Folded Reload
	v_mad_u64_u32 v[48:49], s[0:1], v193, 36, s[2:3]
	v_mad_i64_i32 v[34:35], s[0:1], v34, 36, v[51:52]
	v_mad_i64_i32 v[40:41], s[0:1], v40, 36, v[51:52]
	s_waitcnt vmcnt(0)
	v_add_u32_e32 v42, v53, v1
	buffer_load_dword v1, off, s[24:27], 0 offset:8 ; 4-byte Folded Reload
	v_mad_i64_i32 v[42:43], s[0:1], v42, 36, v[51:52]
	s_waitcnt vmcnt(0)
	v_add_u32_e32 v44, v53, v1
	buffer_load_dword v1, off, s[24:27], 0 offset:12 ; 4-byte Folded Reload
	;; [unrolled: 4-line block ×3, first 2 shown]
	v_mad_i64_i32 v[46:47], s[0:1], v46, 36, v[51:52]
	s_waitcnt vmcnt(0)
	v_add_u32_e32 v53, v53, v1
	v_mad_i64_i32 v[53:54], s[0:1], v53, 36, v[51:52]
	global_load_dword v48, v[48:49], off
	s_nop 0
	global_load_dword v34, v[34:35], off offset:4
	s_nop 0
	global_load_dword v35, v[36:37], off offset:4
	;; [unrolled: 2-line block ×3, first 2 shown]
	global_load_dword v37, v[40:41], off offset:4
	s_nop 0
	global_load_dword v38, v[42:43], off offset:4
	global_load_dword v39, v[44:45], off offset:4
	;; [unrolled: 1-line block ×4, first 2 shown]
	v_lshlrev_b16_sdwa v43, v184, v58 dst_sel:DWORD dst_unused:UNUSED_PAD src0_sel:DWORD src1_sel:WORD_1
	v_and_b32_sdwa v42, v58, s16 dst_sel:DWORD dst_unused:UNUSED_PAD src0_sel:WORD_1 src1_sel:DWORD
	v_add_u16_e32 v43, 0xe000, v43
	v_or_b32_sdwa v42, v42, v43 dst_sel:DWORD dst_unused:UNUSED_PAD src0_sel:DWORD src1_sel:BYTE_1
	v_add_u16_sdwa v42, v42, s17 dst_sel:WORD_1 dst_unused:UNUSED_PAD src0_sel:DWORD src1_sel:DWORD
	v_or_b32_e32 v42, v59, v42
	v_add_u32_e32 v43, 0x69a0, v122
	ds_write2_b32 v43, v57, v42 offset1:16
	v_ashrrev_i32_e32 v43, v121, v50
	v_and_b32_e32 v42, 0xf0f0f0f, v0
	v_lshlrev_b32_e32 v44, 4, v43
	v_and_or_b32 v42, v44, s15, v42
	v_lshlrev_b16_e32 v45, 8, v42
	v_and_b32_e32 v44, 0x3f00, v42
	v_add_u16_e32 v45, 0xe000, v45
	v_or_b32_sdwa v44, v44, v45 dst_sel:DWORD dst_unused:UNUSED_PAD src0_sel:DWORD src1_sel:BYTE_1
	v_and_b32_sdwa v45, v42, s16 dst_sel:DWORD dst_unused:UNUSED_PAD src0_sel:WORD_1 src1_sel:DWORD
	v_lshlrev_b16_sdwa v42, v184, v42 dst_sel:DWORD dst_unused:UNUSED_PAD src0_sel:DWORD src1_sel:WORD_1
	v_lshrrev_b32_e32 v0, 4, v0
	v_add_u16_e32 v42, 0xe000, v42
	v_and_b32_e32 v0, 0xf0f0f0f, v0
	v_or_b32_sdwa v42, v45, v42 dst_sel:DWORD dst_unused:UNUSED_PAD src0_sel:DWORD src1_sel:BYTE_1
	v_add_u16_e32 v44, 0xe000, v44
	v_add_u16_sdwa v42, v42, s17 dst_sel:WORD_1 dst_unused:UNUSED_PAD src0_sel:DWORD src1_sel:DWORD
	v_and_or_b32 v0, v43, s15, v0
	v_or_b32_e32 v42, v44, v42
	v_lshlrev_b16_e32 v44, 8, v0
	v_and_b32_e32 v43, 0x3f00, v0
	v_add_u16_e32 v44, 0xe000, v44
	v_or_b32_sdwa v43, v43, v44 dst_sel:DWORD dst_unused:UNUSED_PAD src0_sel:DWORD src1_sel:BYTE_1
	v_and_b32_sdwa v44, v0, s16 dst_sel:DWORD dst_unused:UNUSED_PAD src0_sel:WORD_1 src1_sel:DWORD
	v_lshlrev_b16_sdwa v0, v184, v0 dst_sel:DWORD dst_unused:UNUSED_PAD src0_sel:DWORD src1_sel:WORD_1
	v_add_u16_e32 v0, 0xe000, v0
	v_or_b32_sdwa v0, v44, v0 dst_sel:DWORD dst_unused:UNUSED_PAD src0_sel:DWORD src1_sel:BYTE_1
	v_add_u16_e32 v43, 0xe000, v43
	v_add_u16_sdwa v0, v0, s17 dst_sel:WORD_1 dst_unused:UNUSED_PAD src0_sel:DWORD src1_sel:DWORD
	v_or_b32_e32 v0, v43, v0
	v_add_u32_e32 v43, 0x71c0, v122
	ds_write2_b32 v43, v42, v0 offset1:16
	v_ashrrev_i32_e32 v43, v121, v56
	v_and_b32_e32 v0, 0xf0f0f0f, v55
	v_lshlrev_b32_e32 v44, 4, v43
	v_and_or_b32 v0, v44, s15, v0
	v_lshlrev_b16_e32 v45, 8, v0
	v_and_b32_e32 v44, 0x3f00, v0
	v_add_u16_e32 v45, 0xe000, v45
	v_or_b32_sdwa v44, v44, v45 dst_sel:DWORD dst_unused:UNUSED_PAD src0_sel:DWORD src1_sel:BYTE_1
	v_and_b32_sdwa v45, v0, s16 dst_sel:DWORD dst_unused:UNUSED_PAD src0_sel:WORD_1 src1_sel:DWORD
	v_lshlrev_b16_sdwa v0, v184, v0 dst_sel:DWORD dst_unused:UNUSED_PAD src0_sel:DWORD src1_sel:WORD_1
	v_lshrrev_b32_e32 v42, 4, v55
	v_add_u16_e32 v0, 0xe000, v0
	v_and_b32_e32 v42, 0xf0f0f0f, v42
	v_or_b32_sdwa v0, v45, v0 dst_sel:DWORD dst_unused:UNUSED_PAD src0_sel:DWORD src1_sel:BYTE_1
	v_add_u16_e32 v44, 0xe000, v44
	v_add_u16_sdwa v0, v0, s17 dst_sel:WORD_1 dst_unused:UNUSED_PAD src0_sel:DWORD src1_sel:DWORD
	v_and_or_b32 v42, v43, s15, v42
	v_or_b32_e32 v0, v44, v0
	v_lshlrev_b16_e32 v44, 8, v42
	v_and_b32_e32 v43, 0x3f00, v42
	v_add_u16_e32 v44, 0xe000, v44
	v_or_b32_sdwa v43, v43, v44 dst_sel:DWORD dst_unused:UNUSED_PAD src0_sel:DWORD src1_sel:BYTE_1
	v_and_b32_sdwa v44, v42, s16 dst_sel:DWORD dst_unused:UNUSED_PAD src0_sel:WORD_1 src1_sel:DWORD
	v_lshlrev_b16_sdwa v42, v184, v42 dst_sel:DWORD dst_unused:UNUSED_PAD src0_sel:DWORD src1_sel:WORD_1
	v_add_u16_e32 v42, 0xe000, v42
	v_or_b32_sdwa v42, v44, v42 dst_sel:DWORD dst_unused:UNUSED_PAD src0_sel:DWORD src1_sel:BYTE_1
	v_add_u16_e32 v43, 0xe000, v43
	v_add_u16_sdwa v42, v42, s17 dst_sel:WORD_1 dst_unused:UNUSED_PAD src0_sel:DWORD src1_sel:DWORD
	v_or_b32_e32 v42, v43, v42
	v_add_u32_e32 v43, 0x79e0, v122
	ds_write2_b32 v43, v0, v42 offset1:16
	buffer_load_dword v0, off, s[24:27], 0 offset:88 ; 4-byte Folded Reload
	v_cvt_f32_f16_e32 v44, v60
	s_mov_b64 s[0:1], -1
	s_waitcnt vmcnt(0)
	ds_write_b32 v0, v44
	buffer_load_dword v0, off, s[24:27], 0 offset:96 ; 4-byte Folded Reload
	s_waitcnt vmcnt(0)
	ds_write_b32 v0, v61
	buffer_load_dword v0, off, s[24:27], 0 offset:104 ; 4-byte Folded Reload
	s_waitcnt vmcnt(0)
	ds_write_b32 v0, v62
	ds_write_b32 v176, v34
	;; [unrolled: 1-line block ×6, first 2 shown]
	v_cvt_f32_f16_e32 v0, v48
	ds_write_b32 v181, v39
	ds_write_b32 v182, v40
	;; [unrolled: 1-line block ×4, first 2 shown]
	s_waitcnt lgkmcnt(0)
	s_barrier
	ds_read_b32 v194, v158
	ds_read_b32 v195, v160 offset:128
	ds_read_b32 v196, v162 offset:256
	;; [unrolled: 1-line block ×3, first 2 shown]
	s_waitcnt lgkmcnt(3)
	v_mov_b32_e32 v198, v194
	v_mov_b32_e32 v199, v194
	v_mov_b32_e32 v200, v194
	s_waitcnt lgkmcnt(2)
	v_mov_b32_e32 v201, v195
	v_mov_b32_e32 v202, v195
	v_mov_b32_e32 v203, v195
	s_waitcnt lgkmcnt(1)
	v_mov_b32_e32 v204, v196
	v_mov_b32_e32 v205, v196
	v_mov_b32_e32 v206, v196
	s_waitcnt lgkmcnt(0)
	v_mov_b32_e32 v207, v197
	v_mov_b32_e32 v208, v197
	v_mov_b32_e32 v209, v197
.LBB175_6:                              ;   Parent Loop BB175_5 Depth=1
                                        ; =>  This Inner Loop Header: Depth=2
	s_lshl_b32 s19, s20, 1
	v_or_b32_e32 v0, s19, v139
	s_lshr_b32 s21, s20, 1
	s_lshl_b32 s20, s20, 3
	v_lshlrev_b32_e32 v35, 2, v0
	v_lshrrev_b32_e32 v34, 1, v0
	v_add_u32_e32 v0, s20, v172
	ds_read_b128 v[123:126], v35 offset:33280
	ds_read_b128 v[130:133], v35 offset:33296
	;; [unrolled: 1-line block ×4, first 2 shown]
	ds_read2_b32 v[103:104], v0 offset0:6 offset1:7
	ds_read2_b32 v[107:108], v0 offset0:4 offset1:5
	;; [unrolled: 1-line block ×3, first 2 shown]
	ds_read2_b32 v[105:106], v0 offset1:1
	ds_read2_b32 v[109:110], v0 offset0:14 offset1:15
	ds_read2_b32 v[113:114], v0 offset0:12 offset1:13
	;; [unrolled: 1-line block ×4, first 2 shown]
	v_add_u32_e32 v36, s20, v173
	v_add_u32_e32 v45, s20, v174
	;; [unrolled: 1-line block ×3, first 2 shown]
	ds_read2_b32 v[87:88], v36 offset0:6 offset1:7
	ds_read2_b32 v[91:92], v36 offset0:4 offset1:5
	;; [unrolled: 1-line block ×3, first 2 shown]
	ds_read2_b32 v[89:90], v36 offset1:1
	ds_read2_b32 v[93:94], v36 offset0:14 offset1:15
	ds_read2_b32 v[97:98], v36 offset0:12 offset1:13
	s_waitcnt lgkmcnt(6)
	v_dot4_i32_i8 v0, v115, v143, 0
	v_dot4_i32_i8 v0, v116, v144, v0
	;; [unrolled: 1-line block ×6, first 2 shown]
	ds_read2_b32 v[95:96], v36 offset0:10 offset1:11
	ds_read2_b32 v[99:100], v36 offset0:8 offset1:9
	ds_read2_b32 v[71:72], v45 offset0:6 offset1:7
	ds_read2_b32 v[75:76], v45 offset0:4 offset1:5
	ds_read2_b32 v[69:70], v45 offset0:2 offset1:3
	ds_read2_b32 v[73:74], v45 offset1:1
	ds_read2_b32 v[77:78], v45 offset0:14 offset1:15
	ds_read2_b32 v[81:82], v45 offset0:12 offset1:13
	;; [unrolled: 1-line block ×7, first 2 shown]
	ds_read2_b32 v[55:56], v117 offset1:1
	ds_read2_b32 v[65:66], v117 offset0:14 offset1:15
	ds_read2_b32 v[67:68], v117 offset0:12 offset1:13
	v_dot4_i32_i8 v0, v103, v132, v0
	v_dot4_i32_i8 v40, v104, v133, v0
	;; [unrolled: 1-line block ×7, first 2 shown]
	s_waitcnt lgkmcnt(14)
	v_dot4_i32_i8 v0, v97, v61, 0
	s_waitcnt lgkmcnt(8)
	v_dot4_i32_i8 v44, v81, v61, 0
	;; [unrolled: 2-line block ×3, first 2 shown]
	v_dot4_i32_i8 v35, v114, v62, v35
	v_dot4_i32_i8 v0, v98, v62, v0
	;; [unrolled: 1-line block ×12, first 2 shown]
	ds_read2_b32 v[61:62], v117 offset0:10 offset1:11
	ds_read2_b32 v[63:64], v117 offset0:8 offset1:9
	v_dot4_i32_i8 v42, v89, v123, 0
	v_dot4_i32_i8 v48, v73, v123, 0
	;; [unrolled: 1-line block ×7, first 2 shown]
	s_waitcnt lgkmcnt(0)
	v_dot4_i32_i8 v117, v63, v143, 0
	v_dot4_i32_i8 v123, v56, v124, v123
	v_or_b32_e32 v124, s19, v165
	v_dot4_i32_i8 v36, v100, v144, v36
	v_dot4_i32_i8 v42, v85, v125, v42
	;; [unrolled: 1-line block ×6, first 2 shown]
	v_lshlrev_b32_e32 v125, 2, v124
	v_dot4_i32_i8 v36, v95, v145, v36
	v_dot4_i32_i8 v42, v86, v126, v42
	v_dot4_i32_i8 v45, v79, v145, v45
	v_dot4_i32_i8 v48, v70, v126, v48
	v_dot4_i32_i8 v117, v61, v145, v117
	v_dot4_i32_i8 v123, v54, v126, v123
	v_lshrrev_b32_e32 v145, 1, v124
	ds_read_b128 v[210:213], v125 offset:33280
	ds_read_b128 v[214:217], v125 offset:33296
	;; [unrolled: 1-line block ×4, first 2 shown]
	v_dot4_i32_i8 v36, v96, v146, v36
	v_dot4_i32_i8 v45, v80, v146, v45
	;; [unrolled: 1-line block ×4, first 2 shown]
	s_waitcnt lgkmcnt(0)
	v_dot4_i32_i8 v128, v113, v124, 0
	v_dot4_i32_i8 v128, v114, v125, v128
	;; [unrolled: 1-line block ×67, first 2 shown]
	v_or_b32_e32 v210, s19, v166
	v_dot4_i32_i8 v130, v79, v220, v130
	v_dot4_i32_i8 v131, v69, v212, v131
	;; [unrolled: 1-line block ×4, first 2 shown]
	v_lshlrev_b32_e32 v222, 2, v210
	v_dot4_i32_i8 v130, v80, v221, v130
	v_dot4_i32_i8 v131, v70, v213, v131
	v_dot4_i32_i8 v125, v62, v221, v125
	v_dot4_i32_i8 v126, v54, v213, v126
	v_lshrrev_b32_e32 v242, 1, v210
	ds_read_b128 v[210:213], v222 offset:33280
	ds_read_b128 v[214:217], v222 offset:33296
	ds_read_b128 v[218:221], v222 offset:33312
	ds_read_b128 v[222:225], v222 offset:33328
	s_add_i32 s21, s21, 0xa200
	v_lshlrev_b32_e32 v188, 2, v149
	v_lshlrev_b32_e32 v189, 2, v147
	v_add3_u32 v41, s21, v188, v189
	s_waitcnt lgkmcnt(0)
	v_dot4_i32_i8 v226, v113, v222, 0
	v_dot4_i32_i8 v226, v114, v223, v226
	;; [unrolled: 1-line block ×55, first 2 shown]
	v_or_b32_e32 v210, s19, v167
	v_dot4_i32_i8 v226, v69, v212, v226
	v_dot4_i32_i8 v222, v65, v224, v222
	;; [unrolled: 1-line block ×3, first 2 shown]
	v_lshlrev_b32_e32 v214, 2, v210
	v_dot4_i32_i8 v136, v70, v213, v226
	v_dot4_i32_i8 v137, v66, v225, v222
	v_lshrrev_b32_e32 v215, 1, v210
	ds_read_b128 v[210:213], v214 offset:33280
	ds_read_b128 v[222:225], v214 offset:33296
	;; [unrolled: 1-line block ×4, first 2 shown]
	ds_read_b64 v[238:239], v34 offset:43584
	ds_read_b32 v34, v41
	v_dot4_i32_i8 v218, v63, v218, 0
	v_dot4_i32_i8 v218, v64, v219, v218
	;; [unrolled: 1-line block ×4, first 2 shown]
	s_waitcnt lgkmcnt(0)
	v_bfe_i32 v228, v34, 0, 8
	v_bfe_i32 v229, v34, 8, 8
	v_ashrrev_i32_e32 v226, 24, v34
	v_bfe_i32 v227, v34, 16, 8
	v_dot4_i32_i8 v34, v113, v234, 0
	v_dot4_i32_i8 v34, v114, v235, v34
	;; [unrolled: 1-line block ×11, first 2 shown]
	ds_read_b64 v[240:241], v145 offset:43584
	ds_read_b64 v[242:243], v242 offset:43584
	ds_read_b64 v[244:245], v215 offset:43584
	v_dot4_i32_i8 v145, v104, v225, v34
	v_mul_lo_u32 v34, v146, v229
	v_mul_lo_u32 v41, v43, v228
	;; [unrolled: 1-line block ×3, first 2 shown]
	v_dot4_i32_i8 v146, v105, v210, 0
	v_dot4_i32_i8 v146, v106, v211, v146
	;; [unrolled: 1-line block ×3, first 2 shown]
	v_lshlrev_b32_e32 v190, 2, v159
	v_lshlrev_b32_e32 v191, 2, v161
	;; [unrolled: 1-line block ×3, first 2 shown]
	v_dot4_i32_i8 v214, v102, v213, v146
	v_add3_u32 v38, s21, v190, v185
	v_add3_u32 v46, s21, v191, v186
	;; [unrolled: 1-line block ×3, first 2 shown]
	v_mad_u64_u32 v[214:215], s[20:21], v214, v228, v[43:44]
	v_mad_u64_u32 v[215:216], s[20:21], v144, v228, v[34:35]
	v_mul_lo_u32 v145, v249, v228
	v_mad_u64_u32 v[40:41], s[20:21], v40, v229, v[41:42]
	v_cvt_f32_i32_e32 v41, v214
	v_cvt_f32_i32_e32 v34, v215
	v_mad_u64_u32 v[145:146], s[20:21], v248, v229, v[145:146]
	s_waitcnt lgkmcnt(0)
	v_fma_f32 v146, v244, v41, 0
	v_mul_lo_u32 v41, v134, v226
	v_fma_f32 v215, v240, v34, 0
	v_mul_lo_u32 v34, v247, v227
	v_mul_lo_u32 v37, v37, v227
	v_mad_u64_u32 v[143:144], s[20:21], v143, v227, v[41:42]
	v_cvt_f32_i32_e32 v43, v145
	v_mad_u64_u32 v[144:145], s[20:21], v35, v226, v[37:38]
	v_mad_u64_u32 v[34:35], s[20:21], v246, v226, v[34:35]
	v_fma_f32 v43, v242, v43, 0
	v_cvt_f32_i32_e32 v40, v40
	v_cvt_f32_i32_e32 v34, v34
	;; [unrolled: 1-line block ×3, first 2 shown]
	s_and_b64 vcc, exec, s[0:1]
	v_fma_f32 v214, v238, v40, 0
	v_fmac_f32_e32 v43, v243, v34
	v_dot4_i32_i8 v34, v97, v234, 0
	v_dot4_i32_i8 v34, v98, v235, v34
	;; [unrolled: 1-line block ×3, first 2 shown]
	v_fma_f32 v21, v200, v43, v21
	v_dot4_i32_i8 v43, v94, v237, v34
	v_dot4_i32_i8 v34, v99, v230, 0
	v_mul_lo_u32 v40, v217, v226
	v_dot4_i32_i8 v34, v100, v231, v34
	v_dot4_i32_i8 v34, v95, v232, v34
	;; [unrolled: 1-line block ×5, first 2 shown]
	v_mad_u64_u32 v[40:41], s[20:21], v218, v227, v[40:41]
	v_dot4_i32_i8 v34, v87, v224, v34
	v_fmac_f32_e32 v214, v239, v37
	v_dot4_i32_i8 v37, v88, v225, v34
	v_dot4_i32_i8 v34, v89, v210, 0
	;; [unrolled: 1-line block ×4, first 2 shown]
	v_cvt_f32_i32_e32 v35, v40
	v_cvt_f32_i32_e32 v40, v143
	v_dot4_i32_i8 v143, v86, v213, v34
	ds_read_b32 v34, v38
	v_fmac_f32_e32 v146, v245, v35
	v_fmac_f32_e32 v215, v241, v40
	v_fma_f32 v19, v198, v214, v19
	v_fmac_f32_e32 v18, v194, v215
	s_waitcnt lgkmcnt(0)
	v_bfe_i32 v220, v34, 0, 8
	v_bfe_i32 v221, v34, 8, 8
	v_mul_lo_u32 v37, v37, v221
	v_mul_lo_u32 v38, v253, v220
	;; [unrolled: 1-line block ×3, first 2 shown]
	v_ashrrev_i32_e32 v218, 24, v34
	v_bfe_i32 v219, v34, 16, 8
	v_mad_u64_u32 v[40:41], s[20:21], v252, v221, v[38:39]
	v_mad_u64_u32 v[37:38], s[20:21], v143, v220, v[37:38]
	v_mul_lo_u32 v34, v141, v221
	v_mad_u64_u32 v[38:39], s[20:21], v39, v221, v[35:36]
	v_cvt_f32_i32_e32 v37, v37
	v_mad_u64_u32 v[34:35], s[20:21], v140, v220, v[34:35]
	v_cvt_f32_i32_e32 v35, v38
	v_cvt_f32_i32_e32 v38, v40
	v_fma_f32 v42, v244, v37, 0
	v_mul_lo_u32 v37, v133, v218
	v_cvt_f32_i32_e32 v34, v34
	v_fma_f32 v41, v242, v38, 0
	v_fma_f32 v140, v238, v35, 0
	v_mul_lo_u32 v35, v43, v218
	v_mul_lo_u32 v36, v36, v219
	v_mad_u64_u32 v[37:38], s[20:21], v138, v219, v[37:38]
	v_fma_f32 v141, v240, v34, 0
	v_mul_lo_u32 v34, v251, v219
	v_mad_u64_u32 v[38:39], s[20:21], v0, v218, v[36:37]
	v_mad_u64_u32 v[35:36], s[20:21], v134, v219, v[35:36]
	v_cvt_f32_i32_e32 v36, v37
	v_fma_f32 v20, v199, v146, v20
	v_mad_u64_u32 v[39:40], s[20:21], v250, v218, v[34:35]
	v_cvt_f32_i32_e32 v34, v35
	v_cvt_f32_i32_e32 v35, v38
	;; [unrolled: 1-line block ×3, first 2 shown]
	v_fmac_f32_e32 v141, v241, v36
	v_fmac_f32_e32 v42, v245, v34
	v_fmac_f32_e32 v140, v239, v35
	v_fmac_f32_e32 v41, v243, v0
	v_dot4_i32_i8 v0, v81, v234, 0
	v_dot4_i32_i8 v0, v82, v235, v0
	;; [unrolled: 1-line block ×7, first 2 shown]
	v_fma_f32 v33, v203, v41, v33
	v_dot4_i32_i8 v41, v80, v233, v0
	v_dot4_i32_i8 v0, v75, v222, 0
	v_dot4_i32_i8 v0, v76, v223, v0
	v_dot4_i32_i8 v0, v71, v224, v0
	v_dot4_i32_i8 v35, v72, v225, v0
	v_dot4_i32_i8 v0, v73, v210, 0
	v_dot4_i32_i8 v0, v74, v211, v0
	v_dot4_i32_i8 v0, v69, v212, v0
	v_dot4_i32_i8 v38, v70, v213, v0
	ds_read_b32 v0, v46
	v_fma_f32 v32, v202, v42, v32
	v_fma_f32 v31, v201, v140, v31
	v_fmac_f32_e32 v30, v195, v141
	s_mov_b64 s[0:1], 0
	s_waitcnt lgkmcnt(0)
	v_bfe_i32 v216, v0, 0, 8
	v_mul_lo_u32 v36, v136, v216
	v_bfe_i32 v217, v0, 8, 8
	v_mul_lo_u32 v35, v35, v217
	v_ashrrev_i32_e32 v214, 24, v0
	v_mad_u64_u32 v[36:37], s[20:21], v135, v217, v[36:37]
	v_bfe_i32 v215, v0, 16, 8
	v_mul_lo_u32 v0, v132, v217
	v_mul_lo_u32 v34, v48, v216
	v_mad_u64_u32 v[37:38], s[20:21], v38, v216, v[35:36]
	v_cvt_f32_i32_e32 v36, v36
	v_mad_u64_u32 v[38:39], s[20:21], v131, v216, v[0:1]
	v_mad_u64_u32 v[34:35], s[20:21], v47, v217, v[34:35]
	v_cvt_f32_i32_e32 v35, v37
	v_fma_f32 v42, v242, v36, 0
	v_mul_lo_u32 v36, v128, v214
	v_cvt_f32_i32_e32 v0, v38
	v_fma_f32 v43, v244, v35, 0
	v_mul_lo_u32 v35, v45, v215
	v_mad_u64_u32 v[36:37], s[20:21], v130, v215, v[36:37]
	v_fma_f32 v47, v240, v0, 0
	v_mul_lo_u32 v0, v255, v215
	v_mad_u64_u32 v[37:38], s[20:21], v44, v214, v[35:36]
	v_cvt_f32_i32_e32 v34, v34
	v_mad_u64_u32 v[38:39], s[20:21], v254, v214, v[0:1]
	v_cvt_f32_i32_e32 v36, v36
	v_fma_f32 v46, v238, v34, 0
	v_cvt_f32_i32_e32 v0, v38
	v_mul_lo_u32 v34, v40, v214
	v_fmac_f32_e32 v47, v241, v36
	v_fmac_f32_e32 v26, v196, v47
	v_fmac_f32_e32 v42, v243, v0
	v_dot4_i32_i8 v0, v67, v234, 0
	v_dot4_i32_i8 v0, v68, v235, v0
	;; [unrolled: 1-line block ×5, first 2 shown]
	v_mad_u64_u32 v[34:35], s[20:21], v41, v215, v[34:35]
	v_dot4_i32_i8 v0, v64, v231, v0
	v_cvt_f32_i32_e32 v35, v37
	v_dot4_i32_i8 v0, v61, v232, v0
	v_dot4_i32_i8 v41, v62, v233, v0
	;; [unrolled: 1-line block ×5, first 2 shown]
	v_fmac_f32_e32 v46, v239, v35
	v_dot4_i32_i8 v35, v58, v225, v0
	v_dot4_i32_i8 v0, v55, v210, 0
	v_dot4_i32_i8 v0, v56, v211, v0
	v_dot4_i32_i8 v0, v53, v212, v0
	v_dot4_i32_i8 v38, v54, v213, v0
	ds_read_b32 v0, v49
	v_cvt_f32_i32_e32 v34, v34
	v_fma_f32 v29, v206, v42, v29
	v_fma_f32 v27, v204, v46, v27
	s_waitcnt lgkmcnt(0)
	v_bfe_i32 v212, v0, 0, 8
	v_mul_lo_u32 v36, v148, v212
	v_bfe_i32 v213, v0, 8, 8
	v_mul_lo_u32 v35, v35, v213
	v_ashrrev_i32_e32 v210, 24, v0
	v_mad_u64_u32 v[36:37], s[20:21], v1, v213, v[36:37]
	v_bfe_i32 v211, v0, 16, 8
	v_mul_lo_u32 v0, v127, v213
	v_fmac_f32_e32 v43, v245, v34
	v_mul_lo_u32 v34, v123, v212
	v_mad_u64_u32 v[37:38], s[20:21], v38, v212, v[35:36]
	v_mad_u64_u32 v[38:39], s[20:21], v126, v212, v[0:1]
	;; [unrolled: 1-line block ×3, first 2 shown]
	v_cvt_f32_i32_e32 v35, v36
	v_mul_lo_u32 v36, v124, v210
	v_cvt_f32_i32_e32 v0, v38
	v_cvt_f32_i32_e32 v1, v34
	;; [unrolled: 1-line block ×3, first 2 shown]
	v_fma_f32 v42, v242, v35, 0
	v_mul_lo_u32 v35, v117, v211
	v_mad_u64_u32 v[36:37], s[20:21], v125, v211, v[36:37]
	v_fma_f32 v44, v240, v0, 0
	v_mul_lo_u32 v0, v129, v211
	v_fma_f32 v28, v205, v43, v28
	v_fma_f32 v43, v244, v34, 0
	v_mul_lo_u32 v34, v40, v210
	v_fma_f32 v1, v238, v1, 0
	v_mad_u64_u32 v[37:38], s[20:21], v50, v210, v[35:36]
	v_mad_u64_u32 v[38:39], s[20:21], v137, v210, v[0:1]
	;; [unrolled: 1-line block ×3, first 2 shown]
	v_cvt_f32_i32_e32 v0, v38
	v_cvt_f32_i32_e32 v35, v37
	;; [unrolled: 1-line block ×4, first 2 shown]
	v_fmac_f32_e32 v42, v243, v0
	v_fmac_f32_e32 v1, v239, v35
	v_or_b32_e32 v0, s19, v168
	v_fmac_f32_e32 v44, v241, v36
	v_fmac_f32_e32 v43, v245, v34
	v_fma_f32 v23, v207, v1, v23
	v_lshlrev_b32_e32 v1, 2, v0
	v_fma_f32 v25, v209, v42, v25
	v_fma_f32 v24, v208, v43, v24
	v_fmac_f32_e32 v22, v197, v44
	ds_read_b128 v[34:37], v1 offset:33280
	ds_read_b128 v[38:41], v1 offset:33296
	;; [unrolled: 1-line block ×4, first 2 shown]
	v_lshrrev_b32_e32 v127, 1, v0
	s_waitcnt lgkmcnt(0)
	v_dot4_i32_i8 v0, v113, v46, 0
	v_dot4_i32_i8 v0, v114, v47, v0
	;; [unrolled: 1-line block ×64, first 2 shown]
	v_or_b32_e32 v0, s19, v169
	v_lshlrev_b32_e32 v1, 2, v0
	ds_read_b128 v[34:37], v1 offset:33280
	ds_read_b128 v[38:41], v1 offset:33296
	;; [unrolled: 1-line block ×4, first 2 shown]
	v_lshrrev_b32_e32 v133, 1, v0
	s_waitcnt lgkmcnt(0)
	v_dot4_i32_i8 v0, v113, v46, 0
	v_dot4_i32_i8 v0, v114, v47, v0
	;; [unrolled: 1-line block ×64, first 2 shown]
	v_or_b32_e32 v0, s19, v170
	v_lshlrev_b32_e32 v1, 2, v0
	ds_read_b128 v[34:37], v1 offset:33280
	ds_read_b128 v[38:41], v1 offset:33296
	;; [unrolled: 1-line block ×4, first 2 shown]
	v_lshrrev_b32_e32 v134, 1, v0
	v_mul_lo_u32 v50, v50, v226
	s_waitcnt lgkmcnt(2)
	v_dot4_i32_i8 v1, v91, v38, 0
	v_dot4_i32_i8 v1, v92, v39, v1
	;; [unrolled: 1-line block ×8, first 2 shown]
	s_waitcnt lgkmcnt(0)
	v_dot4_i32_i8 v1, v81, v46, 0
	v_dot4_i32_i8 v1, v82, v47, v1
	;; [unrolled: 1-line block ×54, first 2 shown]
	v_or_b32_e32 v1, s19, v171
	v_dot4_i32_i8 v0, v95, v44, v0
	v_lshlrev_b32_e32 v46, 2, v1
	v_dot4_i32_i8 v0, v96, v45, v0
	ds_read_b128 v[34:37], v46 offset:33280
	ds_read_b128 v[38:41], v46 offset:33296
	;; [unrolled: 1-line block ×4, first 2 shown]
	v_lshrrev_b32_e32 v132, 1, v1
	v_mul_lo_u32 v0, v0, v219
	s_waitcnt lgkmcnt(0)
	v_dot4_i32_i8 v1, v113, v46, 0
	v_dot4_i32_i8 v1, v114, v47, v1
	;; [unrolled: 1-line block ×10, first 2 shown]
	v_mul_lo_u32 v115, v131, v228
	v_dot4_i32_i8 v1, v103, v40, v1
	v_dot4_i32_i8 v111, v104, v41, v1
	;; [unrolled: 1-line block ×3, first 2 shown]
	v_mul_lo_u32 v111, v111, v229
	v_dot4_i32_i8 v1, v106, v35, v1
	v_mul_lo_u32 v113, v125, v229
	v_mul_lo_u32 v114, v146, v228
	v_mad_u64_u32 v[115:116], s[20:21], v130, v229, v[115:116]
	v_dot4_i32_i8 v1, v101, v36, v1
	v_dot4_i32_i8 v112, v102, v37, v1
	v_mad_u64_u32 v[111:112], s[20:21], v112, v228, v[111:112]
	v_mad_u64_u32 v[130:131], s[20:21], v145, v229, v[114:115]
	;; [unrolled: 1-line block ×3, first 2 shown]
	ds_read_b64 v[101:102], v127 offset:43584
	ds_read_b64 v[105:106], v133 offset:43584
	;; [unrolled: 1-line block ×4, first 2 shown]
	v_cvt_f32_i32_e32 v111, v111
	v_cvt_f32_i32_e32 v1, v112
	v_cvt_f32_i32_e32 v112, v130
	v_mul_lo_u32 v110, v110, v226
	s_waitcnt lgkmcnt(0)
	v_fma_f32 v124, v107, v111, 0
	v_mul_lo_u32 v111, v128, v227
	v_cvt_f32_i32_e32 v113, v115
	v_fma_f32 v125, v101, v112, 0
	v_mul_lo_u32 v112, v144, v227
	v_mad_u64_u32 v[109:110], s[20:21], v109, v227, v[110:111]
	v_fma_f32 v116, v103, v113, 0
	v_mad_u64_u32 v[113:114], s[20:21], v123, v227, v[50:51]
	v_mad_u64_u32 v[110:111], s[20:21], v126, v226, v[111:112]
	v_cvt_f32_i32_e32 v111, v113
	v_fma_f32 v1, v105, v1, 0
	v_cvt_f32_i32_e32 v50, v110
	v_mad_u64_u32 v[114:115], s[20:21], v143, v226, v[112:113]
	v_fmac_f32_e32 v1, v106, v111
	v_fmac_f32_e32 v116, v104, v50
	v_dot4_i32_i8 v50, v99, v42, 0
	v_fmac_f32_e32 v14, v194, v1
	v_dot4_i32_i8 v1, v97, v46, 0
	v_dot4_i32_i8 v50, v100, v43, v50
	;; [unrolled: 1-line block ×14, first 2 shown]
	v_mul_lo_u32 v86, v87, v221
	v_mul_lo_u32 v87, v141, v220
	;; [unrolled: 1-line block ×4, first 2 shown]
	v_dot4_i32_i8 v1, v94, v49, v1
	v_mad_u64_u32 v[87:88], s[20:21], v140, v221, v[87:88]
	v_cvt_f32_i32_e32 v109, v109
	v_cvt_f32_i32_e32 v110, v114
	v_mad_u64_u32 v[88:89], s[20:21], v89, v220, v[86:87]
	v_mad_u64_u32 v[85:86], s[20:21], v244, v221, v[85:86]
	v_cvt_f32_i32_e32 v86, v88
	v_mad_u64_u32 v[89:90], s[20:21], v117, v220, v[50:51]
	v_cvt_f32_i32_e32 v85, v85
	v_cvt_f32_i32_e32 v87, v87
	v_fma_f32 v92, v107, v86, 0
	v_mul_lo_u32 v86, v254, v218
	v_cvt_f32_i32_e32 v50, v89
	v_fma_f32 v91, v103, v87, 0
	v_fma_f32 v94, v101, v85, 0
	v_mul_lo_u32 v85, v243, v219
	v_mad_u64_u32 v[86:87], s[20:21], v255, v219, v[86:87]
	v_fma_f32 v95, v105, v50, 0
	v_mul_lo_u32 v50, v1, v218
	v_mad_u64_u32 v[87:88], s[20:21], v242, v218, v[85:86]
	v_cvt_f32_i32_e32 v85, v86
	v_mad_u64_u32 v[88:89], s[20:21], v93, v219, v[50:51]
	v_mad_u64_u32 v[89:90], s[20:21], v138, v218, v[0:1]
	v_cvt_f32_i32_e32 v1, v88
	v_cvt_f32_i32_e32 v50, v87
	;; [unrolled: 1-line block ×3, first 2 shown]
	v_fmac_f32_e32 v125, v102, v110
	v_fmac_f32_e32 v92, v108, v1
	;; [unrolled: 1-line block ×4, first 2 shown]
	v_dot4_i32_i8 v0, v81, v46, 0
	v_dot4_i32_i8 v0, v82, v47, v0
	;; [unrolled: 1-line block ×16, first 2 shown]
	v_mul_lo_u32 v70, v253, v216
	v_mul_lo_u32 v69, v71, v217
	;; [unrolled: 1-line block ×4, first 2 shown]
	v_mad_u64_u32 v[70:71], s[20:21], v252, v217, v[70:71]
	v_fmac_f32_e32 v124, v108, v109
	v_fmac_f32_e32 v95, v106, v85
	v_mad_u64_u32 v[71:72], s[20:21], v72, v216, v[69:70]
	v_cvt_f32_i32_e32 v70, v70
	v_mad_u64_u32 v[72:73], s[20:21], v232, v217, v[50:51]
	v_mad_u64_u32 v[73:74], s[20:21], v248, v216, v[0:1]
	v_cvt_f32_i32_e32 v69, v71
	v_fma_f32 v75, v103, v70, 0
	v_mul_lo_u32 v70, v246, v214
	v_cvt_f32_i32_e32 v50, v72
	v_cvt_f32_i32_e32 v0, v73
	v_fma_f32 v76, v107, v69, 0
	v_mul_lo_u32 v69, v231, v215
	v_mad_u64_u32 v[70:71], s[20:21], v247, v215, v[70:71]
	v_fma_f32 v78, v101, v50, 0
	v_mul_lo_u32 v50, v1, v214
	v_fma_f32 v79, v105, v0, 0
	v_mul_lo_u32 v0, v251, v215
	v_mad_u64_u32 v[71:72], s[20:21], v230, v214, v[69:70]
	v_mad_u64_u32 v[72:73], s[20:21], v77, v215, v[50:51]
	;; [unrolled: 1-line block ×3, first 2 shown]
	v_cvt_f32_i32_e32 v1, v72
	v_cvt_f32_i32_e32 v50, v71
	;; [unrolled: 1-line block ×4, first 2 shown]
	v_fmac_f32_e32 v76, v108, v1
	v_fmac_f32_e32 v78, v102, v50
	;; [unrolled: 1-line block ×3, first 2 shown]
	v_dot4_i32_i8 v0, v67, v46, 0
	v_dot4_i32_i8 v0, v68, v47, v0
	;; [unrolled: 1-line block ×15, first 2 shown]
	v_mul_lo_u32 v36, v241, v212
	v_dot4_i32_i8 v39, v54, v37, v0
	v_mul_lo_u32 v35, v38, v213
	v_mul_lo_u32 v0, v237, v213
	v_mad_u64_u32 v[36:37], s[20:21], v240, v213, v[36:37]
	v_mul_lo_u32 v34, v225, v212
	v_fmac_f32_e32 v79, v106, v69
	v_mad_u64_u32 v[37:38], s[20:21], v39, v212, v[35:36]
	v_cvt_f32_i32_e32 v36, v36
	v_mad_u64_u32 v[34:35], s[20:21], v224, v213, v[34:35]
	v_mad_u64_u32 v[38:39], s[20:21], v236, v212, v[0:1]
	v_cvt_f32_i32_e32 v35, v37
	v_fma_f32 v40, v103, v36, 0
	v_mul_lo_u32 v36, v233, v210
	v_cvt_f32_i32_e32 v0, v38
	v_cvt_f32_i32_e32 v34, v34
	v_fma_f32 v41, v107, v35, 0
	v_mul_lo_u32 v35, v223, v211
	v_mad_u64_u32 v[36:37], s[20:21], v234, v211, v[36:37]
	v_fma_f32 v43, v101, v34, 0
	v_fma_f32 v44, v105, v0, 0
	v_mul_lo_u32 v0, v239, v211
	v_mul_lo_u32 v34, v1, v210
	v_mad_u64_u32 v[37:38], s[20:21], v222, v210, v[35:36]
	v_mad_u64_u32 v[38:39], s[20:21], v238, v210, v[0:1]
	;; [unrolled: 1-line block ×3, first 2 shown]
	v_cvt_f32_i32_e32 v0, v38
	v_cvt_f32_i32_e32 v35, v36
	;; [unrolled: 1-line block ×4, first 2 shown]
	v_fmac_f32_e32 v40, v104, v0
	v_fmac_f32_e32 v44, v106, v35
	;; [unrolled: 1-line block ×4, first 2 shown]
	v_fma_f32 v17, v200, v116, v17
	v_fma_f32 v16, v199, v124, v16
	;; [unrolled: 1-line block ×6, first 2 shown]
	v_fmac_f32_e32 v10, v195, v95
	v_fma_f32 v9, v206, v75, v9
	v_fma_f32 v8, v205, v76, v8
	v_fma_f32 v7, v204, v78, v7
	v_fmac_f32_e32 v6, v196, v79
	v_fma_f32 v5, v209, v40, v5
	v_fma_f32 v4, v208, v41, v4
	;; [unrolled: 1-line block ×3, first 2 shown]
	v_fmac_f32_e32 v2, v197, v44
	s_mov_b32 s20, 8
	s_cbranch_vccnz .LBB175_6
; %bb.7:                                ;   in Loop: Header=BB175_5 Depth=1
	v_add_u32_e32 v0, s18, v159
	v_add_u32_e32 v1, v0, v151
	v_mad_i64_i32 v[34:35], s[0:1], v1, 36, v[51:52]
	v_add_u32_e32 v1, v0, v152
	v_mad_i64_i32 v[36:37], s[0:1], v1, 36, v[51:52]
	v_add_u32_e32 v1, v0, v154
	s_barrier
	v_mad_i64_i32 v[38:39], s[0:1], v1, 36, v[51:52]
	buffer_load_dword v1, off, s[24:27], 0  ; 4-byte Folded Reload
	v_mov_b32_e32 v155, v151
	v_mov_b32_e32 v156, v152
	;; [unrolled: 1-line block ×4, first 2 shown]
	s_waitcnt vmcnt(0)
	v_add_u32_e32 v1, v0, v1
	v_mad_i64_i32 v[40:41], s[0:1], v1, 36, v[51:52]
	buffer_load_dword v1, off, s[24:27], 0 offset:4 ; 4-byte Folded Reload
	s_waitcnt vmcnt(0)
	v_add_u32_e32 v1, v0, v1
	v_mad_i64_i32 v[42:43], s[0:1], v1, 36, v[51:52]
	buffer_load_dword v1, off, s[24:27], 0 offset:8 ; 4-byte Folded Reload
	;; [unrolled: 4-line block ×3, first 2 shown]
	s_waitcnt vmcnt(0)
	v_add_u32_e32 v1, v0, v1
	v_mad_i64_i32 v[46:47], s[0:1], v1, 36, v[51:52]
	v_add_u32_e32 v1, 4, v193
	v_mad_u64_u32 v[48:49], s[0:1], v1, 36, s[2:3]
	buffer_load_dword v1, off, s[24:27], 0 offset:16 ; 4-byte Folded Reload
	s_waitcnt vmcnt(0)
	v_add_u32_e32 v0, v0, v1
	v_mad_i64_i32 v[53:54], s[0:1], v0, 36, v[51:52]
	global_load_dword v0, v[48:49], off
	global_load_dword v1, v[34:35], off offset:4
	s_nop 0
	global_load_dword v34, v[36:37], off offset:4
	global_load_dword v35, v[38:39], off offset:4
	s_nop 0
	global_load_dword v36, v[40:41], off offset:4
	global_load_dword v37, v[42:43], off offset:4
	;; [unrolled: 1-line block ×3, first 2 shown]
                                        ; kill: killed $vgpr42_vgpr43
                                        ; kill: killed $vgpr44_vgpr45
	global_load_dword v39, v[46:47], off offset:4
	s_nop 0
	global_load_dword v40, v[53:54], off offset:4
	s_mov_b32 s0, 16
	s_waitcnt vmcnt(7)
	ds_write_b32 v176, v1
	s_waitcnt vmcnt(6)
	ds_write_b32 v177, v34
	;; [unrolled: 2-line block ×8, first 2 shown]
	v_cvt_f32_f16_e32 v0, v0
	ds_write_b32 v150, v0
	s_waitcnt lgkmcnt(0)
	s_barrier
	ds_read_b32 v193, v158
	ds_read_b32 v194, v160 offset:128
	ds_read_b32 v195, v162 offset:256
	;; [unrolled: 1-line block ×3, first 2 shown]
	s_waitcnt lgkmcnt(3)
	v_mov_b32_e32 v197, v193
	v_mov_b32_e32 v198, v193
	v_mov_b32_e32 v199, v193
	s_waitcnt lgkmcnt(2)
	v_mov_b32_e32 v200, v194
	v_mov_b32_e32 v201, v194
	v_mov_b32_e32 v202, v194
	;; [unrolled: 4-line block ×4, first 2 shown]
.LBB175_8:                              ;   Parent Loop BB175_5 Depth=1
                                        ; =>  This Inner Loop Header: Depth=2
	s_lshl_b32 s1, s0, 1
	s_and_b32 s1, s1, 16
	v_or_b32_e32 v0, s1, v139
	s_lshr_b32 s18, s0, 1
	s_lshl_b32 s19, s0, 3
	v_lshlrev_b32_e32 v1, 2, v0
	s_add_i32 s18, s18, 0xa200
	v_add_u32_e32 v35, s19, v172
	ds_read_b128 v[123:126], v1 offset:33280
	ds_read_b128 v[130:133], v1 offset:33296
	;; [unrolled: 1-line block ×4, first 2 shown]
	v_add3_u32 v1, s18, v188, v189
	ds_read2_b32 v[103:104], v35 offset0:6 offset1:7
	ds_read2_b32 v[107:108], v35 offset0:4 offset1:5
	;; [unrolled: 1-line block ×3, first 2 shown]
	ds_read2_b32 v[105:106], v35 offset1:1
	ds_read_b32 v45, v1
	ds_read2_b32 v[109:110], v35 offset0:14 offset1:15
	ds_read2_b32 v[113:114], v35 offset0:12 offset1:13
	ds_read2_b32 v[111:112], v35 offset0:10 offset1:11
	ds_read2_b32 v[115:116], v35 offset0:8 offset1:9
	v_add_u32_e32 v36, s19, v173
	v_add_u32_e32 v39, s19, v174
	v_add_u32_e32 v50, s19, v175
	s_waitcnt lgkmcnt(2)
	v_dot4_i32_i8 v1, v113, v73, 0
	v_dot4_i32_i8 v1, v114, v74, v1
	;; [unrolled: 1-line block ×4, first 2 shown]
	s_waitcnt lgkmcnt(0)
	v_dot4_i32_i8 v1, v115, v143, 0
	v_dot4_i32_i8 v1, v116, v144, v1
	v_dot4_i32_i8 v1, v111, v145, v1
	v_dot4_i32_i8 v37, v112, v146, v1
	v_dot4_i32_i8 v1, v107, v130, 0
	v_dot4_i32_i8 v1, v108, v131, v1
	v_dot4_i32_i8 v1, v103, v132, v1
	v_dot4_i32_i8 v42, v104, v133, v1
	v_dot4_i32_i8 v1, v105, v123, 0
	v_dot4_i32_i8 v1, v106, v124, v1
	v_dot4_i32_i8 v1, v101, v125, v1
	v_dot4_i32_i8 v48, v102, v126, v1
	v_add3_u32 v1, s18, v190, v185
	ds_read2_b32 v[89:90], v36 offset0:6 offset1:7
	ds_read2_b32 v[91:92], v36 offset0:4 offset1:5
	;; [unrolled: 1-line block ×3, first 2 shown]
	ds_read2_b32 v[87:88], v36 offset1:1
	ds_read_b32 v40, v1
	ds_read2_b32 v[93:94], v36 offset0:14 offset1:15
	ds_read2_b32 v[97:98], v36 offset0:12 offset1:13
	;; [unrolled: 1-line block ×4, first 2 shown]
	v_lshrrev_b32_e32 v0, 1, v0
	v_bfe_i32 v215, v45, 8, 8
	v_bfe_i32 v216, v45, 0, 8
	s_waitcnt lgkmcnt(2)
	v_dot4_i32_i8 v1, v97, v73, 0
	v_dot4_i32_i8 v1, v98, v74, v1
	;; [unrolled: 1-line block ×4, first 2 shown]
	s_waitcnt lgkmcnt(0)
	v_dot4_i32_i8 v1, v99, v143, 0
	v_dot4_i32_i8 v1, v100, v144, v1
	;; [unrolled: 1-line block ×12, first 2 shown]
	v_add3_u32 v1, s18, v191, v186
	ds_read2_b32 v[65:66], v39 offset0:6 offset1:7
	ds_read2_b32 v[67:68], v39 offset0:4 offset1:5
	;; [unrolled: 1-line block ×3, first 2 shown]
	ds_read2_b32 v[63:64], v39 offset1:1
	ds_read_b32 v41, v1
	ds_read2_b32 v[77:78], v39 offset0:14 offset1:15
	ds_read2_b32 v[81:82], v39 offset0:12 offset1:13
	;; [unrolled: 1-line block ×4, first 2 shown]
	v_bfe_i32 v213, v40, 8, 8
	v_bfe_i32 v214, v40, 0, 8
	s_waitcnt lgkmcnt(4)
	v_bfe_i32 v211, v41, 8, 8
	s_waitcnt lgkmcnt(2)
	v_dot4_i32_i8 v1, v81, v73, 0
	v_dot4_i32_i8 v1, v82, v74, v1
	;; [unrolled: 1-line block ×4, first 2 shown]
	s_waitcnt lgkmcnt(0)
	v_dot4_i32_i8 v1, v83, v143, 0
	v_dot4_i32_i8 v1, v84, v144, v1
	;; [unrolled: 1-line block ×12, first 2 shown]
	v_add3_u32 v1, s18, v192, v187
	ds_read2_b32 v[53:54], v50 offset0:6 offset1:7
	ds_read2_b32 v[59:60], v50 offset0:4 offset1:5
	;; [unrolled: 1-line block ×3, first 2 shown]
	ds_read2_b32 v[57:58], v50 offset1:1
	ds_read_b32 v117, v1
	ds_read2_b32 v[69:70], v50 offset0:14 offset1:15
	ds_read2_b32 v[71:72], v50 offset0:12 offset1:13
	v_bfe_i32 v212, v41, 0, 8
	s_waitcnt lgkmcnt(3)
	v_dot4_i32_i8 v118, v57, v123, 0
	v_dot4_i32_i8 v118, v58, v124, v118
	;; [unrolled: 1-line block ×3, first 2 shown]
	s_waitcnt lgkmcnt(0)
	v_dot4_i32_i8 v1, v71, v73, 0
	v_dot4_i32_i8 v1, v72, v74, v1
	;; [unrolled: 1-line block ×4, first 2 shown]
	ds_read2_b32 v[73:74], v50 offset0:10 offset1:11
	ds_read2_b32 v[75:76], v50 offset0:8 offset1:9
	v_dot4_i32_i8 v129, v56, v126, v118
	v_or_b32_e32 v118, s1, v165
	v_lshlrev_b32_e32 v127, 2, v118
	v_lshrrev_b32_e32 v118, 1, v118
	s_waitcnt lgkmcnt(0)
	v_dot4_i32_i8 v1, v75, v143, 0
	v_dot4_i32_i8 v1, v76, v144, v1
	;; [unrolled: 1-line block ×8, first 2 shown]
	ds_read_b128 v[123:126], v127 offset:33280
	ds_read_b128 v[130:133], v127 offset:33296
	;; [unrolled: 1-line block ×4, first 2 shown]
	v_bfe_i32 v210, v117, 0, 8
	v_bfe_i32 v209, v117, 8, 8
	s_waitcnt lgkmcnt(0)
	v_dot4_i32_i8 v127, v113, v217, 0
	v_dot4_i32_i8 v127, v114, v218, v127
	;; [unrolled: 1-line block ×63, first 2 shown]
	v_or_b32_e32 v123, s1, v166
	v_dot4_i32_i8 v241, v54, v133, v127
	v_lshlrev_b32_e32 v127, 2, v123
	v_lshrrev_b32_e32 v140, 1, v123
	ds_read_b128 v[123:126], v127 offset:33280
	ds_read_b128 v[130:133], v127 offset:33296
	;; [unrolled: 1-line block ×4, first 2 shown]
	s_waitcnt lgkmcnt(0)
	v_dot4_i32_i8 v127, v113, v217, 0
	v_dot4_i32_i8 v127, v114, v218, v127
	;; [unrolled: 1-line block ×63, first 2 shown]
	v_or_b32_e32 v123, s1, v167
	v_dot4_i32_i8 v255, v54, v133, v127
	v_lshlrev_b32_e32 v127, 2, v123
	v_lshrrev_b32_e32 v227, 1, v123
	ds_read_b128 v[123:126], v127 offset:33280
	ds_read_b128 v[130:133], v127 offset:33296
	;; [unrolled: 1-line block ×4, first 2 shown]
	ds_read_b64 v[127:128], v0 offset:43584
	ds_read_b64 v[145:146], v118 offset:43584
	;; [unrolled: 1-line block ×4, first 2 shown]
	v_ashrrev_i32_e32 v143, 24, v45
	v_bfe_i32 v144, v45, 16, 8
	s_waitcnt lgkmcnt(4)
	v_dot4_i32_i8 v0, v113, v221, 0
	v_dot4_i32_i8 v0, v114, v222, v0
	;; [unrolled: 1-line block ×12, first 2 shown]
	v_mul_lo_u32 v0, v136, v215
	v_mul_lo_u32 v45, v48, v216
	;; [unrolled: 1-line block ×3, first 2 shown]
	v_dot4_i32_i8 v136, v105, v123, 0
	v_dot4_i32_i8 v136, v106, v124, v136
	;; [unrolled: 1-line block ×4, first 2 shown]
	v_mul_lo_u32 v118, v229, v216
	v_mad_u64_u32 v[229:230], s[18:19], v136, v216, v[48:49]
	v_mad_u64_u32 v[230:231], s[18:19], v42, v215, v[45:46]
	;; [unrolled: 1-line block ×3, first 2 shown]
	v_cvt_f32_i32_e32 v42, v230
	v_mul_lo_u32 v37, v37, v144
	v_cvt_f32_i32_e32 v0, v231
	v_cvt_f32_i32_e32 v45, v229
	s_waitcnt lgkmcnt(3)
	v_fma_f32 v136, v127, v42, 0
	v_mul_lo_u32 v42, v151, v143
	s_waitcnt lgkmcnt(2)
	v_fma_f32 v137, v145, v0, 0
	v_mul_lo_u32 v0, v244, v144
	v_mad_u64_u32 v[229:230], s[18:19], v34, v143, v[37:38]
	v_mad_u64_u32 v[140:141], s[18:19], v141, v215, v[118:119]
	;; [unrolled: 1-line block ×4, first 2 shown]
	v_cvt_f32_i32_e32 v48, v140
	s_waitcnt lgkmcnt(0)
	v_fma_f32 v118, v227, v45, 0
	v_cvt_f32_i32_e32 v0, v231
	v_mul_lo_u32 v45, v134, v143
	v_fma_f32 v48, v225, v48, 0
	v_cvt_f32_i32_e32 v34, v230
	v_fmac_f32_e32 v48, v226, v0
	v_dot4_i32_i8 v0, v97, v221, 0
	v_dot4_i32_i8 v0, v98, v222, v0
	;; [unrolled: 1-line block ×3, first 2 shown]
	v_fma_f32 v21, v199, v48, v21
	v_dot4_i32_i8 v48, v94, v224, v0
	v_dot4_i32_i8 v0, v99, v217, 0
	v_mad_u64_u32 v[140:141], s[18:19], v135, v144, v[45:46]
	v_dot4_i32_i8 v0, v100, v218, v0
	v_cvt_f32_i32_e32 v37, v229
	v_fmac_f32_e32 v118, v228, v34
	v_dot4_i32_i8 v0, v95, v219, v0
	v_fma_f32 v20, v198, v118, v20
	v_dot4_i32_i8 v118, v96, v220, v0
	v_dot4_i32_i8 v0, v91, v130, 0
	;; [unrolled: 1-line block ×3, first 2 shown]
	v_cvt_f32_i32_e32 v42, v140
	v_dot4_i32_i8 v0, v89, v132, v0
	v_fmac_f32_e32 v136, v128, v37
	v_dot4_i32_i8 v37, v90, v133, v0
	v_dot4_i32_i8 v0, v87, v123, 0
	v_dot4_i32_i8 v0, v88, v124, v0
	v_dot4_i32_i8 v0, v85, v125, v0
	v_mul_lo_u32 v37, v37, v213
	v_fmac_f32_e32 v137, v146, v42
	v_dot4_i32_i8 v42, v86, v126, v0
	v_mul_lo_u32 v0, v233, v213
	v_mad_u64_u32 v[229:230], s[18:19], v42, v214, v[37:38]
	v_ashrrev_i32_e32 v140, 24, v40
	v_mad_u64_u32 v[230:231], s[18:19], v234, v214, v[0:1]
	v_bfe_i32 v141, v40, 16, 8
	v_mul_lo_u32 v40, v248, v214
	v_cvt_f32_i32_e32 v0, v230
	v_fma_f32 v19, v197, v136, v19
	v_mul_lo_u32 v34, v46, v214
	v_mad_u64_u32 v[45:46], s[18:19], v247, v213, v[40:41]
	v_fma_f32 v136, v145, v0, 0
	v_mul_lo_u32 v0, v246, v141
	v_mad_u64_u32 v[42:43], s[18:19], v43, v213, v[34:35]
	v_cvt_f32_i32_e32 v40, v45
	v_mad_u64_u32 v[45:46], s[18:19], v245, v140, v[0:1]
	v_cvt_f32_i32_e32 v37, v229
	v_cvt_f32_i32_e32 v34, v42
	;; [unrolled: 1-line block ×3, first 2 shown]
	v_fma_f32 v40, v225, v40, 0
	v_fma_f32 v134, v227, v37, 0
	v_mul_lo_u32 v37, v38, v141
	v_mul_lo_u32 v38, v138, v140
	v_fma_f32 v135, v127, v34, 0
	v_mul_lo_u32 v34, v48, v140
	v_fmac_f32_e32 v40, v226, v0
	v_dot4_i32_i8 v0, v81, v221, 0
	v_mad_u64_u32 v[42:43], s[18:19], v148, v141, v[38:39]
	v_mad_u64_u32 v[37:38], s[18:19], v35, v140, v[37:38]
	v_dot4_i32_i8 v0, v82, v222, v0
	v_dot4_i32_i8 v0, v77, v223, v0
	;; [unrolled: 1-line block ×4, first 2 shown]
	v_mad_u64_u32 v[34:35], s[18:19], v118, v141, v[34:35]
	v_dot4_i32_i8 v0, v84, v218, v0
	v_cvt_f32_i32_e32 v35, v37
	v_dot4_i32_i8 v0, v79, v219, v0
	v_dot4_i32_i8 v45, v80, v220, v0
	;; [unrolled: 1-line block ×5, first 2 shown]
	v_cvt_f32_i32_e32 v34, v34
	v_cvt_f32_i32_e32 v37, v42
	v_fmac_f32_e32 v135, v128, v35
	v_dot4_i32_i8 v35, v66, v133, v0
	v_dot4_i32_i8 v0, v63, v123, 0
	v_mul_lo_u32 v35, v35, v211
	v_dot4_i32_i8 v0, v64, v124, v0
	v_dot4_i32_i8 v0, v61, v125, v0
	v_fmac_f32_e32 v136, v146, v37
	v_fmac_f32_e32 v134, v228, v34
	v_fma_f32 v33, v202, v40, v33
	v_dot4_i32_i8 v40, v62, v126, v0
	v_mul_lo_u32 v34, v49, v212
	v_mul_lo_u32 v37, v252, v212
	v_ashrrev_i32_e32 v118, 24, v41
	v_bfe_i32 v138, v41, 16, 8
	v_mad_u64_u32 v[40:41], s[18:19], v40, v212, v[35:36]
	v_mul_lo_u32 v0, v237, v211
	v_mad_u64_u32 v[37:38], s[18:19], v251, v211, v[37:38]
	v_mad_u64_u32 v[34:35], s[18:19], v44, v211, v[34:35]
	v_cvt_f32_i32_e32 v35, v40
	v_mad_u64_u32 v[41:42], s[18:19], v238, v212, v[0:1]
	v_cvt_f32_i32_e32 v37, v37
	v_cvt_f32_i32_e32 v34, v34
	v_fma_f32 v42, v227, v35, 0
	v_mul_lo_u32 v35, v39, v138
	v_cvt_f32_i32_e32 v0, v41
	v_fma_f32 v41, v225, v37, 0
	v_mul_lo_u32 v37, v235, v118
	v_fma_f32 v44, v127, v34, 0
	v_mul_lo_u32 v34, v43, v118
	v_mad_u64_u32 v[35:36], s[18:19], v36, v118, v[35:36]
	v_fma_f32 v46, v145, v0, 0
	v_mul_lo_u32 v0, v250, v138
	v_mad_u64_u32 v[37:38], s[18:19], v236, v138, v[37:38]
	v_mad_u64_u32 v[38:39], s[18:19], v45, v138, v[34:35]
	v_mad_u64_u32 v[39:40], s[18:19], v249, v118, v[0:1]
	v_cvt_f32_i32_e32 v34, v38
	v_cvt_f32_i32_e32 v36, v37
	;; [unrolled: 1-line block ×4, first 2 shown]
	v_fmac_f32_e32 v42, v228, v34
	v_fma_f32 v28, v204, v42, v28
	v_fmac_f32_e32 v41, v226, v0
	v_dot4_i32_i8 v0, v71, v221, 0
	v_dot4_i32_i8 v0, v72, v222, v0
	;; [unrolled: 1-line block ×3, first 2 shown]
	v_fma_f32 v29, v205, v41, v29
	v_dot4_i32_i8 v41, v70, v224, v0
	v_dot4_i32_i8 v0, v75, v217, 0
	;; [unrolled: 1-line block ×6, first 2 shown]
	v_mul_lo_u32 v37, v150, v210
	v_dot4_i32_i8 v0, v60, v131, v0
	v_dot4_i32_i8 v0, v53, v132, v0
	v_fmac_f32_e32 v46, v146, v36
	v_dot4_i32_i8 v36, v54, v133, v0
	v_fmac_f32_e32 v44, v128, v35
	v_dot4_i32_i8 v0, v57, v123, 0
	v_mul_lo_u32 v35, v129, v210
	v_mul_lo_u32 v36, v36, v209
	v_mad_u64_u32 v[37:38], s[18:19], v255, v209, v[37:38]
	v_dot4_i32_i8 v0, v58, v124, v0
	v_dot4_i32_i8 v0, v55, v125, v0
	;; [unrolled: 1-line block ×3, first 2 shown]
	v_mul_lo_u32 v34, v241, v209
	v_mad_u64_u32 v[38:39], s[18:19], v39, v210, v[36:37]
	v_mad_u64_u32 v[35:36], s[18:19], v1, v209, v[35:36]
	v_ashrrev_i32_e32 v0, 24, v117
	v_cvt_f32_i32_e32 v36, v37
	v_mad_u64_u32 v[39:40], s[18:19], v242, v210, v[34:35]
	v_cvt_f32_i32_e32 v34, v35
	v_cvt_f32_i32_e32 v35, v38
	v_mul_lo_u32 v37, v239, v0
	v_bfe_i32 v117, v117, 16, 8
	v_fma_f32 v27, v203, v44, v27
	v_fma_f32 v43, v225, v36, 0
	;; [unrolled: 1-line block ×3, first 2 shown]
	v_mul_lo_u32 v35, v41, v0
	v_mul_lo_u32 v36, v50, v117
	v_mad_u64_u32 v[37:38], s[18:19], v240, v117, v[37:38]
	v_cvt_f32_i32_e32 v1, v39
	v_fma_f32 v45, v127, v34, 0
	v_mul_lo_u32 v34, v254, v117
	v_mad_u64_u32 v[38:39], s[18:19], v47, v0, v[36:37]
	v_mad_u64_u32 v[35:36], s[18:19], v42, v117, v[35:36]
	v_cvt_f32_i32_e32 v37, v37
	v_cvt_f32_i32_e32 v36, v38
	v_mad_u64_u32 v[39:40], s[18:19], v253, v0, v[34:35]
	v_cvt_f32_i32_e32 v35, v35
	v_fma_f32 v1, v145, v1, 0
	v_cvt_f32_i32_e32 v34, v39
	v_fmac_f32_e32 v1, v146, v37
	v_fmac_f32_e32 v22, v196, v1
	v_or_b32_e32 v1, s1, v168
	v_fmac_f32_e32 v26, v195, v46
	v_fmac_f32_e32 v45, v128, v36
	;; [unrolled: 1-line block ×4, first 2 shown]
	v_lshlrev_b32_e32 v46, 2, v1
	v_fma_f32 v25, v208, v43, v25
	v_fma_f32 v24, v207, v44, v24
	;; [unrolled: 1-line block ×3, first 2 shown]
	ds_read_b128 v[34:37], v46 offset:33280
	ds_read_b128 v[38:41], v46 offset:33296
	ds_read_b128 v[42:45], v46 offset:33312
	ds_read_b128 v[46:49], v46 offset:33328
	v_fma_f32 v31, v200, v135, v31
	v_fma_f32 v32, v201, v134, v32
	v_lshrrev_b32_e32 v1, 1, v1
	v_fmac_f32_e32 v18, v193, v137
	s_waitcnt lgkmcnt(0)
	v_dot4_i32_i8 v50, v113, v46, 0
	v_dot4_i32_i8 v50, v114, v47, v50
	;; [unrolled: 1-line block ×57, first 2 shown]
	v_or_b32_e32 v34, s1, v169
	v_dot4_i32_i8 v50, v61, v36, v50
	v_dot4_i32_i8 v145, v70, v49, v46
	;; [unrolled: 1-line block ×4, first 2 shown]
	v_lshlrev_b32_e32 v46, 2, v34
	v_dot4_i32_i8 v222, v62, v37, v50
	v_dot4_i32_i8 v146, v74, v45, v42
	;; [unrolled: 1-line block ×3, first 2 shown]
	v_lshrrev_b32_e32 v129, 1, v34
	ds_read_b128 v[34:37], v46 offset:33280
	ds_read_b128 v[38:41], v46 offset:33296
	;; [unrolled: 1-line block ×4, first 2 shown]
	v_fmac_f32_e32 v30, v194, v136
	s_waitcnt lgkmcnt(0)
	v_dot4_i32_i8 v50, v113, v46, 0
	v_dot4_i32_i8 v50, v114, v47, v50
	;; [unrolled: 1-line block ×58, first 2 shown]
	v_or_b32_e32 v34, s1, v170
	v_dot4_i32_i8 v128, v62, v37, v50
	v_dot4_i32_i8 v50, v70, v49, v46
	;; [unrolled: 1-line block ×4, first 2 shown]
	v_lshlrev_b32_e32 v46, 2, v34
	v_dot4_i32_i8 v123, v74, v45, v42
	v_dot4_i32_i8 v224, v54, v41, v38
	v_lshrrev_b32_e32 v135, 1, v34
	ds_read_b128 v[34:37], v46 offset:33280
	ds_read_b128 v[38:41], v46 offset:33296
	;; [unrolled: 1-line block ×4, first 2 shown]
	s_waitcnt lgkmcnt(0)
	v_dot4_i32_i8 v132, v113, v46, 0
	v_dot4_i32_i8 v132, v114, v47, v132
	v_dot4_i32_i8 v132, v109, v48, v132
	v_dot4_i32_i8 v133, v110, v49, v132
	v_dot4_i32_i8 v132, v115, v42, 0
	v_dot4_i32_i8 v132, v116, v43, v132
	v_dot4_i32_i8 v132, v111, v44, v132
	v_dot4_i32_i8 v249, v112, v45, v132
	v_dot4_i32_i8 v132, v107, v38, 0
	v_dot4_i32_i8 v132, v108, v39, v132
	v_dot4_i32_i8 v132, v103, v40, v132
	v_dot4_i32_i8 v250, v104, v41, v132
	v_dot4_i32_i8 v132, v105, v34, 0
	v_dot4_i32_i8 v132, v106, v35, v132
	v_dot4_i32_i8 v132, v101, v36, v132
	v_dot4_i32_i8 v251, v102, v37, v132
	v_dot4_i32_i8 v132, v97, v46, 0
	v_dot4_i32_i8 v132, v98, v47, v132
	v_dot4_i32_i8 v132, v93, v48, v132
	v_dot4_i32_i8 v245, v94, v49, v132
	v_dot4_i32_i8 v132, v99, v42, 0
	v_dot4_i32_i8 v132, v100, v43, v132
	v_dot4_i32_i8 v132, v95, v44, v132
	v_dot4_i32_i8 v246, v96, v45, v132
	v_dot4_i32_i8 v132, v91, v38, 0
	v_dot4_i32_i8 v132, v92, v39, v132
	v_dot4_i32_i8 v132, v89, v40, v132
	v_dot4_i32_i8 v247, v90, v41, v132
	v_dot4_i32_i8 v132, v87, v34, 0
	v_dot4_i32_i8 v132, v88, v35, v132
	v_dot4_i32_i8 v132, v85, v36, v132
	v_dot4_i32_i8 v248, v86, v37, v132
	v_dot4_i32_i8 v132, v81, v46, 0
	v_dot4_i32_i8 v132, v82, v47, v132
	v_dot4_i32_i8 v132, v77, v48, v132
	v_dot4_i32_i8 v237, v78, v49, v132
	v_dot4_i32_i8 v132, v83, v42, 0
	v_dot4_i32_i8 v132, v84, v43, v132
	v_dot4_i32_i8 v132, v79, v44, v132
	v_dot4_i32_i8 v238, v80, v45, v132
	v_dot4_i32_i8 v132, v67, v38, 0
	v_dot4_i32_i8 v132, v68, v39, v132
	v_dot4_i32_i8 v132, v65, v40, v132
	v_dot4_i32_i8 v241, v66, v41, v132
	v_dot4_i32_i8 v132, v63, v34, 0
	v_dot4_i32_i8 v34, v57, v34, 0
	v_dot4_i32_i8 v46, v71, v46, 0
	v_dot4_i32_i8 v34, v58, v35, v34
	v_dot4_i32_i8 v132, v64, v35, v132
	v_dot4_i32_i8 v46, v72, v47, v46
	v_dot4_i32_i8 v42, v75, v42, 0
	v_dot4_i32_i8 v38, v59, v38, 0
	v_dot4_i32_i8 v34, v55, v36, v34
	v_dot4_i32_i8 v132, v61, v36, v132
	v_dot4_i32_i8 v46, v69, v48, v46
	v_dot4_i32_i8 v42, v76, v43, v42
	v_dot4_i32_i8 v38, v60, v39, v38
	v_dot4_i32_i8 v236, v56, v37, v34
	v_or_b32_e32 v34, s1, v171
	v_dot4_i32_i8 v242, v62, v37, v132
	v_dot4_i32_i8 v132, v70, v49, v46
	;; [unrolled: 1-line block ×4, first 2 shown]
	v_lshlrev_b32_e32 v46, 2, v34
	v_dot4_i32_i8 v232, v74, v45, v42
	v_dot4_i32_i8 v233, v54, v41, v38
	v_lshrrev_b32_e32 v134, 1, v34
	ds_read_b128 v[34:37], v46 offset:33280
	ds_read_b128 v[38:41], v46 offset:33296
	;; [unrolled: 1-line block ×4, first 2 shown]
	s_add_i32 s1, s0, 8
	s_waitcnt lgkmcnt(3)
	v_dot4_i32_i8 v87, v87, v34, 0
	s_waitcnt lgkmcnt(2)
	v_dot4_i32_i8 v107, v107, v38, 0
	v_dot4_i32_i8 v107, v108, v39, v107
	s_waitcnt lgkmcnt(0)
	v_dot4_i32_i8 v113, v113, v46, 0
	v_dot4_i32_i8 v113, v114, v47, v113
	;; [unrolled: 1-line block ×5, first 2 shown]
	v_mul_lo_u32 v115, v251, v216
	v_dot4_i32_i8 v109, v116, v43, v109
	v_mul_lo_u32 v114, v229, v216
	v_dot4_i32_i8 v103, v103, v40, v107
	v_mad_u64_u32 v[115:116], s[18:19], v250, v215, v[115:116]
	v_mul_lo_u32 v113, v244, v215
	v_dot4_i32_i8 v107, v104, v41, v103
	v_dot4_i32_i8 v103, v105, v34, 0
	v_mul_lo_u32 v107, v107, v215
	v_dot4_i32_i8 v103, v106, v35, v103
	v_mad_u64_u32 v[228:229], s[18:19], v228, v215, v[114:115]
	v_dot4_i32_i8 v101, v101, v36, v103
	v_mad_u64_u32 v[113:114], s[18:19], v243, v216, v[113:114]
	;; [unrolled: 2-line block ×3, first 2 shown]
	v_dot4_i32_i8 v109, v111, v44, v109
	v_cvt_f32_i32_e32 v108, v228
	v_dot4_i32_i8 v109, v112, v45, v109
	ds_read_b64 v[101:102], v1 offset:43584
	ds_read_b64 v[105:106], v129 offset:43584
	;; [unrolled: 1-line block ×4, first 2 shown]
	v_cvt_f32_i32_e32 v1, v113
	v_cvt_f32_i32_e32 v113, v115
	;; [unrolled: 1-line block ×3, first 2 shown]
	s_waitcnt lgkmcnt(3)
	v_fma_f32 v134, v101, v108, 0
	v_mul_lo_u32 v108, v110, v143
	s_waitcnt lgkmcnt(1)
	v_fma_f32 v116, v103, v113, 0
	v_mul_lo_u32 v113, v239, v143
	v_dot4_i32_i8 v91, v91, v38, 0
	v_dot4_i32_i8 v87, v88, v35, v87
	v_mul_lo_u32 v88, v248, v214
	v_dot4_i32_i8 v91, v92, v39, v91
	s_waitcnt lgkmcnt(0)
	v_fma_f32 v129, v111, v107, 0
	v_mul_lo_u32 v107, v249, v144
	v_mul_lo_u32 v110, v227, v144
	v_mad_u64_u32 v[108:109], s[18:19], v109, v144, v[108:109]
	v_dot4_i32_i8 v89, v89, v40, v91
	v_mad_u64_u32 v[113:114], s[18:19], v240, v144, v[113:114]
	v_dot4_i32_i8 v89, v90, v41, v89
	v_dot4_i32_i8 v85, v85, v36, v87
	;; [unrolled: 1-line block ×3, first 2 shown]
	v_mul_lo_u32 v86, v226, v214
	v_mul_lo_u32 v87, v89, v213
	v_mad_u64_u32 v[88:89], s[18:19], v247, v213, v[88:89]
	v_mad_u64_u32 v[114:115], s[18:19], v131, v143, v[110:111]
	;; [unrolled: 1-line block ×3, first 2 shown]
	v_cvt_f32_i32_e32 v110, v113
	v_mul_lo_u32 v85, v235, v213
	v_mad_u64_u32 v[89:90], s[18:19], v90, v214, v[87:88]
	v_mad_u64_u32 v[86:87], s[18:19], v225, v213, v[86:87]
	v_cvt_f32_i32_e32 v88, v88
	v_fma_f32 v1, v105, v1, 0
	v_fmac_f32_e32 v1, v106, v110
	v_fmac_f32_e32 v14, v193, v1
	v_dot4_i32_i8 v1, v97, v46, 0
	v_mad_u64_u32 v[90:91], s[18:19], v234, v214, v[85:86]
	v_cvt_f32_i32_e32 v86, v86
	v_cvt_f32_i32_e32 v87, v89
	v_fma_f32 v92, v103, v88, 0
	v_mul_lo_u32 v88, v230, v140
	v_dot4_i32_i8 v1, v98, v47, v1
	v_dot4_i32_i8 v1, v93, v48, v1
	v_dot4_i32_i8 v93, v99, v42, 0
	v_dot4_i32_i8 v1, v94, v49, v1
	v_dot4_i32_i8 v93, v100, v43, v93
	v_dot4_i32_i8 v93, v95, v44, v93
	v_cvt_f32_i32_e32 v85, v90
	v_fma_f32 v94, v111, v87, 0
	v_fma_f32 v95, v101, v86, 0
	v_mul_lo_u32 v86, v1, v140
	v_mul_lo_u32 v87, v125, v141
	v_mad_u64_u32 v[88:89], s[18:19], v231, v141, v[88:89]
	v_dot4_i32_i8 v93, v96, v45, v93
	v_dot4_i32_i8 v63, v63, v34, 0
	v_fma_f32 v96, v105, v85, 0
	v_mul_lo_u32 v85, v246, v141
	v_mad_u64_u32 v[89:90], s[18:19], v124, v140, v[87:88]
	v_mad_u64_u32 v[86:87], s[18:19], v93, v141, v[86:87]
	v_dot4_i32_i8 v67, v67, v38, 0
	v_dot4_i32_i8 v63, v64, v35, v63
	v_mul_lo_u32 v64, v242, v212
	v_dot4_i32_i8 v67, v68, v39, v67
	v_dot4_i32_i8 v65, v65, v40, v67
	;; [unrolled: 1-line block ×4, first 2 shown]
	v_mad_u64_u32 v[90:91], s[18:19], v245, v140, v[85:86]
	v_dot4_i32_i8 v66, v62, v37, v61
	v_mul_lo_u32 v62, v222, v212
	v_mul_lo_u32 v63, v65, v211
	v_mad_u64_u32 v[64:65], s[18:19], v241, v211, v[64:65]
	v_cvt_f32_i32_e32 v1, v90
	v_mul_lo_u32 v61, v130, v211
	v_mad_u64_u32 v[65:66], s[18:19], v66, v212, v[63:64]
	v_mad_u64_u32 v[62:63], s[18:19], v221, v211, v[62:63]
	v_cvt_f32_i32_e32 v64, v64
	v_fmac_f32_e32 v92, v104, v1
	v_dot4_i32_i8 v1, v81, v46, 0
	v_mad_u64_u32 v[66:67], s[18:19], v128, v212, v[61:62]
	v_cvt_f32_i32_e32 v62, v62
	v_cvt_f32_i32_e32 v63, v65
	v_fma_f32 v68, v103, v64, 0
	v_mul_lo_u32 v64, v126, v118
	v_dot4_i32_i8 v1, v82, v47, v1
	v_dot4_i32_i8 v1, v77, v48, v1
	;; [unrolled: 1-line block ×6, first 2 shown]
	v_cvt_f32_i32_e32 v61, v66
	v_fma_f32 v78, v111, v63, 0
	v_fma_f32 v79, v101, v62, 0
	v_mul_lo_u32 v62, v1, v118
	v_mul_lo_u32 v63, v220, v138
	v_mad_u64_u32 v[64:65], s[18:19], v127, v138, v[64:65]
	v_dot4_i32_i8 v34, v57, v34, 0
	v_dot4_i32_i8 v34, v58, v35, v34
	v_dot4_i32_i8 v77, v80, v45, v77
	v_dot4_i32_i8 v38, v59, v38, 0
	v_dot4_i32_i8 v34, v55, v36, v34
	v_fma_f32 v80, v105, v61, 0
	v_mul_lo_u32 v61, v238, v138
	v_mad_u64_u32 v[65:66], s[18:19], v219, v118, v[63:64]
	v_mad_u64_u32 v[62:63], s[18:19], v77, v138, v[62:63]
	v_dot4_i32_i8 v38, v60, v39, v38
	v_dot4_i32_i8 v39, v56, v37, v34
	v_mul_lo_u32 v37, v236, v210
	v_dot4_i32_i8 v38, v53, v40, v38
	v_dot4_i32_i8 v38, v54, v41, v38
	v_mad_u64_u32 v[66:67], s[18:19], v237, v118, v[61:62]
	v_mul_lo_u32 v35, v218, v210
	v_mul_lo_u32 v36, v38, v209
	v_mad_u64_u32 v[37:38], s[18:19], v233, v209, v[37:38]
	v_cvt_f32_i32_e32 v1, v66
	v_mul_lo_u32 v34, v224, v209
	v_mad_u64_u32 v[38:39], s[18:19], v39, v210, v[36:37]
	v_mad_u64_u32 v[35:36], s[18:19], v217, v209, v[35:36]
	v_cvt_f32_i32_e32 v37, v37
	v_fmac_f32_e32 v68, v104, v1
	v_dot4_i32_i8 v1, v71, v46, 0
	v_mad_u64_u32 v[39:40], s[18:19], v223, v210, v[34:35]
	v_cvt_f32_i32_e32 v35, v35
	v_cvt_f32_i32_e32 v36, v38
	v_fma_f32 v41, v103, v37, 0
	v_mul_lo_u32 v37, v50, v0
	v_dot4_i32_i8 v1, v72, v47, v1
	v_dot4_i32_i8 v1, v69, v48, v1
	;; [unrolled: 1-line block ×6, first 2 shown]
	v_cvt_f32_i32_e32 v34, v39
	v_fma_f32 v43, v111, v36, 0
	v_fma_f32 v44, v101, v35, 0
	v_mul_lo_u32 v35, v1, v0
	v_mul_lo_u32 v36, v146, v117
	v_mad_u64_u32 v[37:38], s[18:19], v123, v117, v[37:38]
	v_dot4_i32_i8 v42, v74, v45, v42
	v_fma_f32 v45, v105, v34, 0
	v_mul_lo_u32 v34, v232, v117
	v_mad_u64_u32 v[38:39], s[18:19], v145, v0, v[36:37]
	v_mad_u64_u32 v[35:36], s[18:19], v42, v117, v[35:36]
	v_cvt_f32_i32_e32 v107, v109
	v_cvt_f32_i32_e32 v108, v108
	v_mad_u64_u32 v[39:40], s[18:19], v132, v0, v[34:35]
	v_cvt_f32_i32_e32 v109, v114
	v_cvt_f32_i32_e32 v85, v86
	;; [unrolled: 1-line block ×11, first 2 shown]
	v_fmac_f32_e32 v134, v102, v109
	v_fmac_f32_e32 v129, v112, v108
	;; [unrolled: 1-line block ×13, first 2 shown]
	v_fma_f32 v17, v199, v116, v17
	v_fma_f32 v16, v198, v129, v16
	;; [unrolled: 1-line block ×6, first 2 shown]
	v_fmac_f32_e32 v10, v194, v96
	v_fma_f32 v9, v205, v68, v9
	v_fma_f32 v8, v204, v78, v8
	;; [unrolled: 1-line block ×3, first 2 shown]
	v_fmac_f32_e32 v6, v195, v80
	v_fma_f32 v5, v208, v41, v5
	v_fma_f32 v4, v207, v43, v4
	;; [unrolled: 1-line block ×3, first 2 shown]
	v_fmac_f32_e32 v2, v196, v45
	s_cmp_lt_u32 s0, 24
	s_mov_b32 s0, s1
	s_cbranch_scc1 .LBB175_8
; %bb.9:                                ;   in Loop: Header=BB175_5 Depth=1
	s_add_i32 s14, s14, 1
	s_cmp_eq_u32 s14, s4
	v_mov_b32_e32 v38, v153
	v_mov_b32_e32 v150, v154
	;; [unrolled: 1-line block ×5, first 2 shown]
	s_barrier
	s_cbranch_scc0 .LBB175_5
; %bb.10:
	buffer_load_dword v0, off, s[24:27], 0 offset:120 ; 4-byte Folded Reload
	buffer_load_dword v1, off, s[24:27], 0 offset:116 ; 4-byte Folded Reload
.LBB175_11:
	s_waitcnt vmcnt(1)
	v_cmp_gt_u32_e32 vcc, s8, v0
	s_and_saveexec_b64 s[0:1], vcc
	s_cbranch_execz .LBB175_62
; %bb.12:
	v_mul_lo_u32 v34, v0, s10
	s_waitcnt vmcnt(0)
	v_add_u32_e32 v0, s6, v1
	v_cmp_gt_u32_e64 s[0:1], s10, v0
	s_and_saveexec_b64 s[2:3], s[0:1]
	s_cbranch_execz .LBB175_14
; %bb.13:
	v_add_u32_e32 v35, v0, v34
	v_mov_b32_e32 v36, 0
	v_bfe_u32 v1, v19, 16, 1
	s_movk_i32 s4, 0x7fff
	v_lshlrev_b64 v[35:36], 1, v[35:36]
	v_add3_u32 v1, v19, v1, s4
	v_cmp_o_f32_e32 vcc, v19, v19
	v_mov_b32_e32 v19, 0x7fc0
	v_cndmask_b32_sdwa v1, v19, v1, vcc dst_sel:DWORD dst_unused:UNUSED_PAD src0_sel:DWORD src1_sel:WORD_1
	s_waitcnt lgkmcnt(0)
	v_mov_b32_e32 v19, s13
	v_add_co_u32_e32 v35, vcc, s12, v35
	v_addc_co_u32_e32 v36, vcc, v19, v36, vcc
	global_store_short v[35:36], v1, off
.LBB175_14:
	s_or_b64 exec, exec, s[2:3]
	v_add_u32_e32 v19, 32, v0
	v_cmp_gt_u32_e64 s[2:3], s10, v19
	s_and_saveexec_b64 s[4:5], s[2:3]
	s_cbranch_execz .LBB175_16
; %bb.15:
	v_add_u32_e32 v35, v19, v34
	v_mov_b32_e32 v36, 0
	v_bfe_u32 v1, v31, 16, 1
	s_movk_i32 s6, 0x7fff
	v_lshlrev_b64 v[35:36], 1, v[35:36]
	v_add3_u32 v1, v31, v1, s6
	v_cmp_o_f32_e32 vcc, v31, v31
	v_mov_b32_e32 v31, 0x7fc0
	v_cndmask_b32_sdwa v1, v31, v1, vcc dst_sel:DWORD dst_unused:UNUSED_PAD src0_sel:DWORD src1_sel:WORD_1
	s_waitcnt lgkmcnt(0)
	v_mov_b32_e32 v31, s13
	v_add_co_u32_e32 v35, vcc, s12, v35
	v_addc_co_u32_e32 v36, vcc, v31, v36, vcc
	global_store_short v[35:36], v1, off
.LBB175_16:
	s_or_b64 exec, exec, s[4:5]
	;; [unrolled: 21-line block ×4, first 2 shown]
	v_add3_u32 v23, v38, s11, 8
	v_cmp_gt_u32_e32 vcc, s8, v23
	s_and_b64 exec, exec, vcc
	s_cbranch_execz .LBB175_62
; %bb.21:
	v_mul_lo_u32 v23, v23, s10
	s_and_saveexec_b64 s[14:15], s[0:1]
	s_cbranch_execnz .LBB175_63
; %bb.22:
	s_or_b64 exec, exec, s[14:15]
	s_and_saveexec_b64 s[14:15], s[2:3]
	s_cbranch_execnz .LBB175_64
.LBB175_23:
	s_or_b64 exec, exec, s[14:15]
	s_and_saveexec_b64 s[14:15], s[4:5]
	s_cbranch_execnz .LBB175_65
.LBB175_24:
	s_or_b64 exec, exec, s[14:15]
	s_and_saveexec_b64 s[14:15], s[6:7]
	s_cbranch_execz .LBB175_26
.LBB175_25:
	v_bfe_u32 v1, v22, 16, 1
	s_movk_i32 s9, 0x7fff
	v_add3_u32 v1, v22, v1, s9
	v_cmp_o_f32_e32 vcc, v22, v22
	v_add_u32_e32 v22, v23, v27
	v_mov_b32_e32 v23, 0
	v_lshlrev_b64 v[22:23], 1, v[22:23]
	v_mov_b32_e32 v18, 0x7fc0
	v_cndmask_b32_sdwa v1, v18, v1, vcc dst_sel:DWORD dst_unused:UNUSED_PAD src0_sel:DWORD src1_sel:WORD_1
	s_waitcnt lgkmcnt(0)
	v_mov_b32_e32 v18, s13
	v_add_co_u32_e32 v22, vcc, s12, v22
	v_addc_co_u32_e32 v23, vcc, v18, v23, vcc
	global_store_short v[22:23], v1, off
.LBB175_26:
	s_or_b64 exec, exec, s[14:15]
	v_add3_u32 v18, v38, s11, 16
	v_cmp_gt_u32_e32 vcc, s8, v18
	s_and_b64 exec, exec, vcc
	s_cbranch_execz .LBB175_62
; %bb.27:
	v_mul_lo_u32 v18, v18, s10
	s_and_saveexec_b64 s[14:15], s[0:1]
	s_cbranch_execnz .LBB175_66
; %bb.28:
	s_or_b64 exec, exec, s[14:15]
	s_and_saveexec_b64 s[14:15], s[2:3]
	s_cbranch_execnz .LBB175_67
.LBB175_29:
	s_or_b64 exec, exec, s[14:15]
	s_and_saveexec_b64 s[14:15], s[4:5]
	s_cbranch_execnz .LBB175_68
.LBB175_30:
	s_or_b64 exec, exec, s[14:15]
	s_and_saveexec_b64 s[14:15], s[6:7]
	s_cbranch_execz .LBB175_32
.LBB175_31:
	v_bfe_u32 v1, v25, 16, 1
	s_movk_i32 s9, 0x7fff
	v_add3_u32 v1, v25, v1, s9
	v_cmp_o_f32_e32 vcc, v25, v25
	v_mov_b32_e32 v21, 0x7fc0
	v_cndmask_b32_sdwa v1, v21, v1, vcc dst_sel:DWORD dst_unused:UNUSED_PAD src0_sel:DWORD src1_sel:WORD_1
	v_add_u32_e32 v21, v18, v27
	v_mov_b32_e32 v22, 0
	v_lshlrev_b64 v[21:22], 1, v[21:22]
	s_waitcnt lgkmcnt(0)
	v_mov_b32_e32 v18, s13
	v_add_co_u32_e32 v21, vcc, s12, v21
	v_addc_co_u32_e32 v22, vcc, v18, v22, vcc
	global_store_short v[21:22], v1, off
.LBB175_32:
	s_or_b64 exec, exec, s[14:15]
	v_add3_u32 v18, v38, s11, 24
	v_cmp_gt_u32_e32 vcc, s8, v18
	s_and_b64 exec, exec, vcc
	s_cbranch_execz .LBB175_62
; %bb.33:
	v_mul_lo_u32 v18, v18, s10
	s_and_saveexec_b64 s[14:15], s[0:1]
	s_cbranch_execnz .LBB175_69
; %bb.34:
	s_or_b64 exec, exec, s[14:15]
	s_and_saveexec_b64 s[14:15], s[2:3]
	s_cbranch_execnz .LBB175_70
.LBB175_35:
	s_or_b64 exec, exec, s[14:15]
	s_and_saveexec_b64 s[14:15], s[4:5]
	s_cbranch_execnz .LBB175_71
.LBB175_36:
	s_or_b64 exec, exec, s[14:15]
	s_and_saveexec_b64 s[14:15], s[6:7]
	s_cbranch_execz .LBB175_38
.LBB175_37:
	v_bfe_u32 v1, v24, 16, 1
	s_movk_i32 s9, 0x7fff
	v_add3_u32 v1, v24, v1, s9
	v_cmp_o_f32_e32 vcc, v24, v24
	v_mov_b32_e32 v20, 0x7fc0
	v_cndmask_b32_sdwa v1, v20, v1, vcc dst_sel:DWORD dst_unused:UNUSED_PAD src0_sel:DWORD src1_sel:WORD_1
	v_add_u32_e32 v20, v18, v27
	v_mov_b32_e32 v21, 0
	v_lshlrev_b64 v[20:21], 1, v[20:21]
	s_waitcnt lgkmcnt(0)
	v_mov_b32_e32 v18, s13
	v_add_co_u32_e32 v20, vcc, s12, v20
	v_addc_co_u32_e32 v21, vcc, v18, v21, vcc
	global_store_short v[20:21], v1, off
.LBB175_38:
	s_or_b64 exec, exec, s[14:15]
	v_add3_u32 v18, v38, s11, 32
	v_cmp_gt_u32_e32 vcc, s8, v18
	s_and_b64 exec, exec, vcc
	s_cbranch_execz .LBB175_62
; %bb.39:
	v_mul_lo_u32 v18, v18, s10
	s_and_saveexec_b64 s[14:15], s[0:1]
	s_cbranch_execnz .LBB175_72
; %bb.40:
	s_or_b64 exec, exec, s[14:15]
	s_and_saveexec_b64 s[14:15], s[2:3]
	s_cbranch_execnz .LBB175_73
.LBB175_41:
	s_or_b64 exec, exec, s[14:15]
	s_and_saveexec_b64 s[14:15], s[4:5]
	s_cbranch_execnz .LBB175_74
.LBB175_42:
	s_or_b64 exec, exec, s[14:15]
	s_and_saveexec_b64 s[14:15], s[6:7]
	s_cbranch_execz .LBB175_44
.LBB175_43:
	v_add_u32_e32 v20, v18, v27
	v_mov_b32_e32 v21, 0
	v_bfe_u32 v1, v3, 16, 1
	s_movk_i32 s9, 0x7fff
	v_lshlrev_b64 v[20:21], 1, v[20:21]
	v_add3_u32 v1, v3, v1, s9
	v_cmp_o_f32_e32 vcc, v3, v3
	v_mov_b32_e32 v3, 0x7fc0
	v_cndmask_b32_sdwa v1, v3, v1, vcc dst_sel:DWORD dst_unused:UNUSED_PAD src0_sel:DWORD src1_sel:WORD_1
	s_waitcnt lgkmcnt(0)
	v_mov_b32_e32 v3, s13
	v_add_co_u32_e32 v20, vcc, s12, v20
	v_addc_co_u32_e32 v21, vcc, v3, v21, vcc
	global_store_short v[20:21], v1, off
.LBB175_44:
	s_or_b64 exec, exec, s[14:15]
	v_add3_u32 v3, v38, s11, 40
	v_cmp_gt_u32_e32 vcc, s8, v3
	s_and_b64 exec, exec, vcc
	s_cbranch_execz .LBB175_62
; %bb.45:
	v_mul_lo_u32 v3, v3, s10
	s_and_saveexec_b64 s[14:15], s[0:1]
	s_cbranch_execnz .LBB175_75
; %bb.46:
	s_or_b64 exec, exec, s[14:15]
	s_and_saveexec_b64 s[14:15], s[2:3]
	s_cbranch_execnz .LBB175_76
.LBB175_47:
	s_or_b64 exec, exec, s[14:15]
	s_and_saveexec_b64 s[14:15], s[4:5]
	s_cbranch_execnz .LBB175_77
.LBB175_48:
	s_or_b64 exec, exec, s[14:15]
	s_and_saveexec_b64 s[14:15], s[6:7]
	s_cbranch_execz .LBB175_50
.LBB175_49:
	v_bfe_u32 v1, v2, 16, 1
	s_movk_i32 s9, 0x7fff
	v_add3_u32 v1, v2, v1, s9
	v_cmp_o_f32_e32 vcc, v2, v2
	v_mov_b32_e32 v2, 0x7fc0
	v_cndmask_b32_sdwa v1, v2, v1, vcc dst_sel:DWORD dst_unused:UNUSED_PAD src0_sel:DWORD src1_sel:WORD_1
	v_add_u32_e32 v2, v3, v27
	v_mov_b32_e32 v3, 0
	v_lshlrev_b64 v[2:3], 1, v[2:3]
	s_waitcnt lgkmcnt(0)
	v_mov_b32_e32 v6, s13
	v_add_co_u32_e32 v2, vcc, s12, v2
	v_addc_co_u32_e32 v3, vcc, v6, v3, vcc
	global_store_short v[2:3], v1, off
.LBB175_50:
	s_or_b64 exec, exec, s[14:15]
	v_add3_u32 v2, v38, s11, 48
	v_cmp_gt_u32_e32 vcc, s8, v2
	s_and_b64 exec, exec, vcc
	s_cbranch_execz .LBB175_62
; %bb.51:
	v_mul_lo_u32 v2, v2, s10
	s_and_saveexec_b64 s[14:15], s[0:1]
	s_cbranch_execnz .LBB175_78
; %bb.52:
	s_or_b64 exec, exec, s[14:15]
	s_and_saveexec_b64 s[14:15], s[2:3]
	s_cbranch_execnz .LBB175_79
.LBB175_53:
	s_or_b64 exec, exec, s[14:15]
	s_and_saveexec_b64 s[14:15], s[4:5]
	s_cbranch_execnz .LBB175_80
.LBB175_54:
	s_or_b64 exec, exec, s[14:15]
	s_and_saveexec_b64 s[14:15], s[6:7]
	s_cbranch_execz .LBB175_56
.LBB175_55:
	v_bfe_u32 v1, v5, 16, 1
	s_movk_i32 s9, 0x7fff
	v_add3_u32 v1, v5, v1, s9
	v_cmp_o_f32_e32 vcc, v5, v5
	v_mov_b32_e32 v3, 0x7fc0
	v_cndmask_b32_sdwa v1, v3, v1, vcc dst_sel:DWORD dst_unused:UNUSED_PAD src0_sel:DWORD src1_sel:WORD_1
	v_add_u32_e32 v2, v2, v27
	v_mov_b32_e32 v3, 0
	v_lshlrev_b64 v[2:3], 1, v[2:3]
	s_waitcnt lgkmcnt(0)
	v_mov_b32_e32 v5, s13
	v_add_co_u32_e32 v2, vcc, s12, v2
	v_addc_co_u32_e32 v3, vcc, v5, v3, vcc
	global_store_short v[2:3], v1, off
.LBB175_56:
	s_or_b64 exec, exec, s[14:15]
	v_add3_u32 v1, v38, s11, 56
	v_cmp_gt_u32_e32 vcc, s8, v1
	s_and_b64 exec, exec, vcc
	s_cbranch_execz .LBB175_62
; %bb.57:
	v_mul_lo_u32 v1, v1, s10
	s_and_saveexec_b64 s[8:9], s[0:1]
	s_cbranch_execnz .LBB175_81
; %bb.58:
	s_or_b64 exec, exec, s[8:9]
	s_and_saveexec_b64 s[0:1], s[2:3]
	s_cbranch_execnz .LBB175_82
.LBB175_59:
	s_or_b64 exec, exec, s[0:1]
	s_and_saveexec_b64 s[0:1], s[4:5]
	s_cbranch_execnz .LBB175_83
.LBB175_60:
	s_or_b64 exec, exec, s[0:1]
	s_and_b64 exec, exec, s[6:7]
	s_cbranch_execz .LBB175_62
.LBB175_61:
	v_bfe_u32 v0, v4, 16, 1
	s_movk_i32 s0, 0x7fff
	v_add3_u32 v0, v4, v0, s0
	v_cmp_o_f32_e32 vcc, v4, v4
	v_mov_b32_e32 v2, 0x7fc0
	v_cndmask_b32_sdwa v2, v2, v0, vcc dst_sel:DWORD dst_unused:UNUSED_PAD src0_sel:DWORD src1_sel:WORD_1
	v_add_u32_e32 v0, v1, v27
	v_mov_b32_e32 v1, 0
	v_lshlrev_b64 v[0:1], 1, v[0:1]
	s_waitcnt lgkmcnt(0)
	v_mov_b32_e32 v3, s13
	v_add_co_u32_e32 v0, vcc, s12, v0
	v_addc_co_u32_e32 v1, vcc, v3, v1, vcc
	global_store_short v[0:1], v2, off
.LBB175_62:
	s_endpgm
.LBB175_63:
	v_add_u32_e32 v34, v23, v0
	v_mov_b32_e32 v35, 0
	v_bfe_u32 v1, v18, 16, 1
	s_movk_i32 s9, 0x7fff
	v_lshlrev_b64 v[34:35], 1, v[34:35]
	v_add3_u32 v1, v18, v1, s9
	v_cmp_o_f32_e32 vcc, v18, v18
	v_mov_b32_e32 v18, 0x7fc0
	v_cndmask_b32_sdwa v1, v18, v1, vcc dst_sel:DWORD dst_unused:UNUSED_PAD src0_sel:DWORD src1_sel:WORD_1
	s_waitcnt lgkmcnt(0)
	v_mov_b32_e32 v18, s13
	v_add_co_u32_e32 v34, vcc, s12, v34
	v_addc_co_u32_e32 v35, vcc, v18, v35, vcc
	global_store_short v[34:35], v1, off
	s_or_b64 exec, exec, s[14:15]
	s_and_saveexec_b64 s[14:15], s[2:3]
	s_cbranch_execz .LBB175_23
.LBB175_64:
	v_add_u32_e32 v34, v23, v19
	v_mov_b32_e32 v35, 0
	v_bfe_u32 v1, v30, 16, 1
	s_movk_i32 s9, 0x7fff
	v_lshlrev_b64 v[34:35], 1, v[34:35]
	v_add3_u32 v1, v30, v1, s9
	v_cmp_o_f32_e32 vcc, v30, v30
	v_mov_b32_e32 v18, 0x7fc0
	v_cndmask_b32_sdwa v1, v18, v1, vcc dst_sel:DWORD dst_unused:UNUSED_PAD src0_sel:DWORD src1_sel:WORD_1
	s_waitcnt lgkmcnt(0)
	v_mov_b32_e32 v18, s13
	v_add_co_u32_e32 v34, vcc, s12, v34
	v_addc_co_u32_e32 v35, vcc, v18, v35, vcc
	global_store_short v[34:35], v1, off
	s_or_b64 exec, exec, s[14:15]
	s_and_saveexec_b64 s[14:15], s[4:5]
	s_cbranch_execz .LBB175_24
.LBB175_65:
	v_add_u32_e32 v34, v23, v31
	v_mov_b32_e32 v35, 0
	v_bfe_u32 v1, v26, 16, 1
	s_movk_i32 s9, 0x7fff
	v_lshlrev_b64 v[34:35], 1, v[34:35]
	v_add3_u32 v1, v26, v1, s9
	v_cmp_o_f32_e32 vcc, v26, v26
	v_mov_b32_e32 v18, 0x7fc0
	v_cndmask_b32_sdwa v1, v18, v1, vcc dst_sel:DWORD dst_unused:UNUSED_PAD src0_sel:DWORD src1_sel:WORD_1
	s_waitcnt lgkmcnt(0)
	v_mov_b32_e32 v18, s13
	v_add_co_u32_e32 v34, vcc, s12, v34
	v_addc_co_u32_e32 v35, vcc, v18, v35, vcc
	global_store_short v[34:35], v1, off
	s_or_b64 exec, exec, s[14:15]
	s_and_saveexec_b64 s[14:15], s[6:7]
	s_cbranch_execnz .LBB175_25
	s_branch .LBB175_26
.LBB175_66:
	v_bfe_u32 v1, v21, 16, 1
	s_movk_i32 s9, 0x7fff
	v_add3_u32 v1, v21, v1, s9
	v_cmp_o_f32_e32 vcc, v21, v21
	v_mov_b32_e32 v21, 0x7fc0
	v_cndmask_b32_sdwa v1, v21, v1, vcc dst_sel:DWORD dst_unused:UNUSED_PAD src0_sel:DWORD src1_sel:WORD_1
	v_add_u32_e32 v21, v18, v0
	v_mov_b32_e32 v22, 0
	v_lshlrev_b64 v[21:22], 1, v[21:22]
	s_waitcnt lgkmcnt(0)
	v_mov_b32_e32 v23, s13
	v_add_co_u32_e32 v21, vcc, s12, v21
	v_addc_co_u32_e32 v22, vcc, v23, v22, vcc
	global_store_short v[21:22], v1, off
	s_or_b64 exec, exec, s[14:15]
	s_and_saveexec_b64 s[14:15], s[2:3]
	s_cbranch_execz .LBB175_29
.LBB175_67:
	v_bfe_u32 v1, v33, 16, 1
	s_movk_i32 s9, 0x7fff
	v_add3_u32 v1, v33, v1, s9
	v_cmp_o_f32_e32 vcc, v33, v33
	v_mov_b32_e32 v21, 0x7fc0
	v_cndmask_b32_sdwa v1, v21, v1, vcc dst_sel:DWORD dst_unused:UNUSED_PAD src0_sel:DWORD src1_sel:WORD_1
	v_add_u32_e32 v21, v18, v19
	v_mov_b32_e32 v22, 0
	v_lshlrev_b64 v[21:22], 1, v[21:22]
	s_waitcnt lgkmcnt(0)
	v_mov_b32_e32 v23, s13
	v_add_co_u32_e32 v21, vcc, s12, v21
	v_addc_co_u32_e32 v22, vcc, v23, v22, vcc
	global_store_short v[21:22], v1, off
	s_or_b64 exec, exec, s[14:15]
	s_and_saveexec_b64 s[14:15], s[4:5]
	s_cbranch_execz .LBB175_30
.LBB175_68:
	v_bfe_u32 v1, v29, 16, 1
	s_movk_i32 s9, 0x7fff
	v_add3_u32 v1, v29, v1, s9
	v_cmp_o_f32_e32 vcc, v29, v29
	v_mov_b32_e32 v21, 0x7fc0
	v_cndmask_b32_sdwa v1, v21, v1, vcc dst_sel:DWORD dst_unused:UNUSED_PAD src0_sel:DWORD src1_sel:WORD_1
	v_add_u32_e32 v21, v18, v31
	v_mov_b32_e32 v22, 0
	v_lshlrev_b64 v[21:22], 1, v[21:22]
	s_waitcnt lgkmcnt(0)
	v_mov_b32_e32 v23, s13
	v_add_co_u32_e32 v21, vcc, s12, v21
	v_addc_co_u32_e32 v22, vcc, v23, v22, vcc
	global_store_short v[21:22], v1, off
	s_or_b64 exec, exec, s[14:15]
	s_and_saveexec_b64 s[14:15], s[6:7]
	s_cbranch_execnz .LBB175_31
	s_branch .LBB175_32
.LBB175_69:
	v_bfe_u32 v1, v20, 16, 1
	s_movk_i32 s9, 0x7fff
	v_add3_u32 v1, v20, v1, s9
	v_cmp_o_f32_e32 vcc, v20, v20
	v_mov_b32_e32 v20, 0x7fc0
	v_cndmask_b32_sdwa v1, v20, v1, vcc dst_sel:DWORD dst_unused:UNUSED_PAD src0_sel:DWORD src1_sel:WORD_1
	v_add_u32_e32 v20, v18, v0
	v_mov_b32_e32 v21, 0
	v_lshlrev_b64 v[20:21], 1, v[20:21]
	s_waitcnt lgkmcnt(0)
	v_mov_b32_e32 v22, s13
	v_add_co_u32_e32 v20, vcc, s12, v20
	v_addc_co_u32_e32 v21, vcc, v22, v21, vcc
	global_store_short v[20:21], v1, off
	s_or_b64 exec, exec, s[14:15]
	s_and_saveexec_b64 s[14:15], s[2:3]
	s_cbranch_execz .LBB175_35
.LBB175_70:
	v_bfe_u32 v1, v32, 16, 1
	s_movk_i32 s9, 0x7fff
	v_add3_u32 v1, v32, v1, s9
	v_cmp_o_f32_e32 vcc, v32, v32
	v_mov_b32_e32 v20, 0x7fc0
	v_cndmask_b32_sdwa v1, v20, v1, vcc dst_sel:DWORD dst_unused:UNUSED_PAD src0_sel:DWORD src1_sel:WORD_1
	v_add_u32_e32 v20, v18, v19
	v_mov_b32_e32 v21, 0
	v_lshlrev_b64 v[20:21], 1, v[20:21]
	s_waitcnt lgkmcnt(0)
	v_mov_b32_e32 v22, s13
	v_add_co_u32_e32 v20, vcc, s12, v20
	v_addc_co_u32_e32 v21, vcc, v22, v21, vcc
	global_store_short v[20:21], v1, off
	s_or_b64 exec, exec, s[14:15]
	s_and_saveexec_b64 s[14:15], s[4:5]
	s_cbranch_execz .LBB175_36
.LBB175_71:
	v_bfe_u32 v1, v28, 16, 1
	s_movk_i32 s9, 0x7fff
	v_add3_u32 v1, v28, v1, s9
	v_cmp_o_f32_e32 vcc, v28, v28
	v_mov_b32_e32 v20, 0x7fc0
	v_cndmask_b32_sdwa v1, v20, v1, vcc dst_sel:DWORD dst_unused:UNUSED_PAD src0_sel:DWORD src1_sel:WORD_1
	v_add_u32_e32 v20, v18, v31
	v_mov_b32_e32 v21, 0
	v_lshlrev_b64 v[20:21], 1, v[20:21]
	s_waitcnt lgkmcnt(0)
	v_mov_b32_e32 v22, s13
	v_add_co_u32_e32 v20, vcc, s12, v20
	v_addc_co_u32_e32 v21, vcc, v22, v21, vcc
	global_store_short v[20:21], v1, off
	s_or_b64 exec, exec, s[14:15]
	s_and_saveexec_b64 s[14:15], s[6:7]
	s_cbranch_execnz .LBB175_37
	s_branch .LBB175_38
.LBB175_72:
	v_add_u32_e32 v20, v18, v0
	v_mov_b32_e32 v21, 0
	v_bfe_u32 v1, v15, 16, 1
	s_movk_i32 s9, 0x7fff
	v_lshlrev_b64 v[20:21], 1, v[20:21]
	v_add3_u32 v1, v15, v1, s9
	v_cmp_o_f32_e32 vcc, v15, v15
	v_mov_b32_e32 v15, 0x7fc0
	v_cndmask_b32_sdwa v1, v15, v1, vcc dst_sel:DWORD dst_unused:UNUSED_PAD src0_sel:DWORD src1_sel:WORD_1
	s_waitcnt lgkmcnt(0)
	v_mov_b32_e32 v15, s13
	v_add_co_u32_e32 v20, vcc, s12, v20
	v_addc_co_u32_e32 v21, vcc, v15, v21, vcc
	global_store_short v[20:21], v1, off
	s_or_b64 exec, exec, s[14:15]
	s_and_saveexec_b64 s[14:15], s[2:3]
	s_cbranch_execz .LBB175_41
.LBB175_73:
	v_add_u32_e32 v20, v18, v19
	v_mov_b32_e32 v21, 0
	v_bfe_u32 v1, v11, 16, 1
	s_movk_i32 s9, 0x7fff
	v_lshlrev_b64 v[20:21], 1, v[20:21]
	v_add3_u32 v1, v11, v1, s9
	v_cmp_o_f32_e32 vcc, v11, v11
	v_mov_b32_e32 v11, 0x7fc0
	v_cndmask_b32_sdwa v1, v11, v1, vcc dst_sel:DWORD dst_unused:UNUSED_PAD src0_sel:DWORD src1_sel:WORD_1
	s_waitcnt lgkmcnt(0)
	v_mov_b32_e32 v11, s13
	v_add_co_u32_e32 v20, vcc, s12, v20
	v_addc_co_u32_e32 v21, vcc, v11, v21, vcc
	global_store_short v[20:21], v1, off
	s_or_b64 exec, exec, s[14:15]
	s_and_saveexec_b64 s[14:15], s[4:5]
	s_cbranch_execz .LBB175_42
.LBB175_74:
	v_add_u32_e32 v20, v18, v31
	v_mov_b32_e32 v21, 0
	v_bfe_u32 v1, v7, 16, 1
	s_movk_i32 s9, 0x7fff
	v_lshlrev_b64 v[20:21], 1, v[20:21]
	v_add3_u32 v1, v7, v1, s9
	v_cmp_o_f32_e32 vcc, v7, v7
	v_mov_b32_e32 v7, 0x7fc0
	v_cndmask_b32_sdwa v1, v7, v1, vcc dst_sel:DWORD dst_unused:UNUSED_PAD src0_sel:DWORD src1_sel:WORD_1
	s_waitcnt lgkmcnt(0)
	v_mov_b32_e32 v7, s13
	v_add_co_u32_e32 v20, vcc, s12, v20
	v_addc_co_u32_e32 v21, vcc, v7, v21, vcc
	global_store_short v[20:21], v1, off
	s_or_b64 exec, exec, s[14:15]
	s_and_saveexec_b64 s[14:15], s[6:7]
	s_cbranch_execnz .LBB175_43
	s_branch .LBB175_44
.LBB175_75:
	v_bfe_u32 v1, v14, 16, 1
	s_movk_i32 s9, 0x7fff
	v_add3_u32 v1, v14, v1, s9
	v_cmp_o_f32_e32 vcc, v14, v14
	v_add_u32_e32 v14, v3, v0
	v_mov_b32_e32 v15, 0
	v_lshlrev_b64 v[14:15], 1, v[14:15]
	v_mov_b32_e32 v7, 0x7fc0
	v_cndmask_b32_sdwa v1, v7, v1, vcc dst_sel:DWORD dst_unused:UNUSED_PAD src0_sel:DWORD src1_sel:WORD_1
	s_waitcnt lgkmcnt(0)
	v_mov_b32_e32 v7, s13
	v_add_co_u32_e32 v14, vcc, s12, v14
	v_addc_co_u32_e32 v15, vcc, v7, v15, vcc
	global_store_short v[14:15], v1, off
	s_or_b64 exec, exec, s[14:15]
	s_and_saveexec_b64 s[14:15], s[2:3]
	s_cbranch_execz .LBB175_47
.LBB175_76:
	v_bfe_u32 v1, v10, 16, 1
	s_movk_i32 s9, 0x7fff
	v_add3_u32 v1, v10, v1, s9
	v_cmp_o_f32_e32 vcc, v10, v10
	v_add_u32_e32 v10, v3, v19
	v_mov_b32_e32 v11, 0
	v_lshlrev_b64 v[10:11], 1, v[10:11]
	v_mov_b32_e32 v7, 0x7fc0
	v_cndmask_b32_sdwa v1, v7, v1, vcc dst_sel:DWORD dst_unused:UNUSED_PAD src0_sel:DWORD src1_sel:WORD_1
	s_waitcnt lgkmcnt(0)
	v_mov_b32_e32 v7, s13
	v_add_co_u32_e32 v10, vcc, s12, v10
	v_addc_co_u32_e32 v11, vcc, v7, v11, vcc
	global_store_short v[10:11], v1, off
	s_or_b64 exec, exec, s[14:15]
	s_and_saveexec_b64 s[14:15], s[4:5]
	s_cbranch_execz .LBB175_48
.LBB175_77:
	v_bfe_u32 v1, v6, 16, 1
	s_movk_i32 s9, 0x7fff
	v_add3_u32 v1, v6, v1, s9
	v_cmp_o_f32_e32 vcc, v6, v6
	v_mov_b32_e32 v6, 0x7fc0
	v_cndmask_b32_sdwa v1, v6, v1, vcc dst_sel:DWORD dst_unused:UNUSED_PAD src0_sel:DWORD src1_sel:WORD_1
	v_add_u32_e32 v6, v3, v31
	v_mov_b32_e32 v7, 0
	v_lshlrev_b64 v[6:7], 1, v[6:7]
	s_waitcnt lgkmcnt(0)
	v_mov_b32_e32 v10, s13
	v_add_co_u32_e32 v6, vcc, s12, v6
	v_addc_co_u32_e32 v7, vcc, v10, v7, vcc
	global_store_short v[6:7], v1, off
	s_or_b64 exec, exec, s[14:15]
	s_and_saveexec_b64 s[14:15], s[6:7]
	s_cbranch_execnz .LBB175_49
	s_branch .LBB175_50
.LBB175_78:
	v_add_u32_e32 v6, v2, v0
	v_mov_b32_e32 v7, 0
	v_bfe_u32 v1, v17, 16, 1
	s_movk_i32 s9, 0x7fff
	v_lshlrev_b64 v[6:7], 1, v[6:7]
	v_add3_u32 v1, v17, v1, s9
	v_cmp_o_f32_e32 vcc, v17, v17
	v_mov_b32_e32 v3, 0x7fc0
	v_cndmask_b32_sdwa v1, v3, v1, vcc dst_sel:DWORD dst_unused:UNUSED_PAD src0_sel:DWORD src1_sel:WORD_1
	s_waitcnt lgkmcnt(0)
	v_mov_b32_e32 v3, s13
	v_add_co_u32_e32 v6, vcc, s12, v6
	v_addc_co_u32_e32 v7, vcc, v3, v7, vcc
	global_store_short v[6:7], v1, off
	s_or_b64 exec, exec, s[14:15]
	s_and_saveexec_b64 s[14:15], s[2:3]
	s_cbranch_execz .LBB175_53
.LBB175_79:
	v_add_u32_e32 v6, v2, v19
	v_mov_b32_e32 v7, 0
	v_bfe_u32 v1, v13, 16, 1
	s_movk_i32 s9, 0x7fff
	v_lshlrev_b64 v[6:7], 1, v[6:7]
	v_add3_u32 v1, v13, v1, s9
	v_cmp_o_f32_e32 vcc, v13, v13
	v_mov_b32_e32 v3, 0x7fc0
	v_cndmask_b32_sdwa v1, v3, v1, vcc dst_sel:DWORD dst_unused:UNUSED_PAD src0_sel:DWORD src1_sel:WORD_1
	s_waitcnt lgkmcnt(0)
	v_mov_b32_e32 v3, s13
	v_add_co_u32_e32 v6, vcc, s12, v6
	v_addc_co_u32_e32 v7, vcc, v3, v7, vcc
	global_store_short v[6:7], v1, off
	s_or_b64 exec, exec, s[14:15]
	s_and_saveexec_b64 s[14:15], s[4:5]
	s_cbranch_execz .LBB175_54
.LBB175_80:
	v_add_u32_e32 v6, v2, v31
	v_mov_b32_e32 v7, 0
	v_bfe_u32 v1, v9, 16, 1
	s_movk_i32 s9, 0x7fff
	v_lshlrev_b64 v[6:7], 1, v[6:7]
	v_add3_u32 v1, v9, v1, s9
	v_cmp_o_f32_e32 vcc, v9, v9
	v_mov_b32_e32 v3, 0x7fc0
	v_cndmask_b32_sdwa v1, v3, v1, vcc dst_sel:DWORD dst_unused:UNUSED_PAD src0_sel:DWORD src1_sel:WORD_1
	s_waitcnt lgkmcnt(0)
	v_mov_b32_e32 v3, s13
	v_add_co_u32_e32 v6, vcc, s12, v6
	v_addc_co_u32_e32 v7, vcc, v3, v7, vcc
	global_store_short v[6:7], v1, off
	s_or_b64 exec, exec, s[14:15]
	s_and_saveexec_b64 s[14:15], s[6:7]
	s_cbranch_execnz .LBB175_55
	s_branch .LBB175_56
.LBB175_81:
	v_bfe_u32 v2, v16, 16, 1
	s_movk_i32 s0, 0x7fff
	v_add3_u32 v2, v16, v2, s0
	v_cmp_o_f32_e32 vcc, v16, v16
	v_mov_b32_e32 v3, 0x7fc0
	v_cndmask_b32_sdwa v5, v3, v2, vcc dst_sel:DWORD dst_unused:UNUSED_PAD src0_sel:DWORD src1_sel:WORD_1
	v_add_u32_e32 v2, v1, v0
	v_mov_b32_e32 v3, 0
	v_lshlrev_b64 v[2:3], 1, v[2:3]
	s_waitcnt lgkmcnt(0)
	v_mov_b32_e32 v0, s13
	v_add_co_u32_e32 v2, vcc, s12, v2
	v_addc_co_u32_e32 v3, vcc, v0, v3, vcc
	global_store_short v[2:3], v5, off
	s_or_b64 exec, exec, s[8:9]
	s_and_saveexec_b64 s[0:1], s[2:3]
	s_cbranch_execz .LBB175_59
.LBB175_82:
	v_bfe_u32 v0, v12, 16, 1
	s_movk_i32 s2, 0x7fff
	v_add3_u32 v0, v12, v0, s2
	v_cmp_o_f32_e32 vcc, v12, v12
	v_mov_b32_e32 v2, 0x7fc0
	v_cndmask_b32_sdwa v0, v2, v0, vcc dst_sel:DWORD dst_unused:UNUSED_PAD src0_sel:DWORD src1_sel:WORD_1
	v_add_u32_e32 v2, v1, v19
	v_mov_b32_e32 v3, 0
	v_lshlrev_b64 v[2:3], 1, v[2:3]
	s_waitcnt lgkmcnt(0)
	v_mov_b32_e32 v5, s13
	v_add_co_u32_e32 v2, vcc, s12, v2
	v_addc_co_u32_e32 v3, vcc, v5, v3, vcc
	global_store_short v[2:3], v0, off
	s_or_b64 exec, exec, s[0:1]
	s_and_saveexec_b64 s[0:1], s[4:5]
	s_cbranch_execz .LBB175_60
.LBB175_83:
	v_bfe_u32 v0, v8, 16, 1
	s_movk_i32 s2, 0x7fff
	v_add3_u32 v0, v8, v0, s2
	v_cmp_o_f32_e32 vcc, v8, v8
	v_mov_b32_e32 v2, 0x7fc0
	v_cndmask_b32_sdwa v0, v2, v0, vcc dst_sel:DWORD dst_unused:UNUSED_PAD src0_sel:DWORD src1_sel:WORD_1
	v_add_u32_e32 v2, v1, v31
	v_mov_b32_e32 v3, 0
	v_lshlrev_b64 v[2:3], 1, v[2:3]
	s_waitcnt lgkmcnt(0)
	v_mov_b32_e32 v5, s13
	v_add_co_u32_e32 v2, vcc, s12, v2
	v_addc_co_u32_e32 v3, vcc, v5, v3, vcc
	global_store_short v[2:3], v0, off
	s_or_b64 exec, exec, s[0:1]
	s_and_b64 exec, exec, s[6:7]
	s_cbranch_execnz .LBB175_61
	s_branch .LBB175_62
	.section	.rodata,"a",@progbits
	.p2align	6, 0x0
	.amdhsa_kernel _ZL12mul_mat_q6_KIN3c108BFloat16ELb0EEvPKvS3_PT_iiiii
		.amdhsa_group_segment_fixed_size 45136
		.amdhsa_private_segment_fixed_size 128
		.amdhsa_kernarg_size 44
		.amdhsa_user_sgpr_count 6
		.amdhsa_user_sgpr_private_segment_buffer 1
		.amdhsa_user_sgpr_dispatch_ptr 0
		.amdhsa_user_sgpr_queue_ptr 0
		.amdhsa_user_sgpr_kernarg_segment_ptr 1
		.amdhsa_user_sgpr_dispatch_id 0
		.amdhsa_user_sgpr_flat_scratch_init 0
		.amdhsa_user_sgpr_private_segment_size 0
		.amdhsa_uses_dynamic_stack 0
		.amdhsa_system_sgpr_private_segment_wavefront_offset 1
		.amdhsa_system_sgpr_workgroup_id_x 1
		.amdhsa_system_sgpr_workgroup_id_y 1
		.amdhsa_system_sgpr_workgroup_id_z 0
		.amdhsa_system_sgpr_workgroup_info 0
		.amdhsa_system_vgpr_workitem_id 1
		.amdhsa_next_free_vgpr 256
		.amdhsa_next_free_sgpr 98
		.amdhsa_reserve_vcc 1
		.amdhsa_reserve_flat_scratch 0
		.amdhsa_float_round_mode_32 0
		.amdhsa_float_round_mode_16_64 0
		.amdhsa_float_denorm_mode_32 3
		.amdhsa_float_denorm_mode_16_64 3
		.amdhsa_dx10_clamp 1
		.amdhsa_ieee_mode 1
		.amdhsa_fp16_overflow 0
		.amdhsa_exception_fp_ieee_invalid_op 0
		.amdhsa_exception_fp_denorm_src 0
		.amdhsa_exception_fp_ieee_div_zero 0
		.amdhsa_exception_fp_ieee_overflow 0
		.amdhsa_exception_fp_ieee_underflow 0
		.amdhsa_exception_fp_ieee_inexact 0
		.amdhsa_exception_int_div_zero 0
	.end_amdhsa_kernel
	.section	.text._ZL12mul_mat_q6_KIN3c108BFloat16ELb0EEvPKvS3_PT_iiiii,"axG",@progbits,_ZL12mul_mat_q6_KIN3c108BFloat16ELb0EEvPKvS3_PT_iiiii,comdat
.Lfunc_end175:
	.size	_ZL12mul_mat_q6_KIN3c108BFloat16ELb0EEvPKvS3_PT_iiiii, .Lfunc_end175-_ZL12mul_mat_q6_KIN3c108BFloat16ELb0EEvPKvS3_PT_iiiii
                                        ; -- End function
	.set _ZL12mul_mat_q6_KIN3c108BFloat16ELb0EEvPKvS3_PT_iiiii.num_vgpr, 256
	.set _ZL12mul_mat_q6_KIN3c108BFloat16ELb0EEvPKvS3_PT_iiiii.num_agpr, 0
	.set _ZL12mul_mat_q6_KIN3c108BFloat16ELb0EEvPKvS3_PT_iiiii.numbered_sgpr, 28
	.set _ZL12mul_mat_q6_KIN3c108BFloat16ELb0EEvPKvS3_PT_iiiii.num_named_barrier, 0
	.set _ZL12mul_mat_q6_KIN3c108BFloat16ELb0EEvPKvS3_PT_iiiii.private_seg_size, 128
	.set _ZL12mul_mat_q6_KIN3c108BFloat16ELb0EEvPKvS3_PT_iiiii.uses_vcc, 1
	.set _ZL12mul_mat_q6_KIN3c108BFloat16ELb0EEvPKvS3_PT_iiiii.uses_flat_scratch, 0
	.set _ZL12mul_mat_q6_KIN3c108BFloat16ELb0EEvPKvS3_PT_iiiii.has_dyn_sized_stack, 0
	.set _ZL12mul_mat_q6_KIN3c108BFloat16ELb0EEvPKvS3_PT_iiiii.has_recursion, 0
	.set _ZL12mul_mat_q6_KIN3c108BFloat16ELb0EEvPKvS3_PT_iiiii.has_indirect_call, 0
	.section	.AMDGPU.csdata,"",@progbits
; Kernel info:
; codeLenInByte = 24668
; TotalNumSgprs: 32
; NumVgprs: 256
; ScratchSize: 128
; MemoryBound: 0
; FloatMode: 240
; IeeeMode: 1
; LDSByteSize: 45136 bytes/workgroup (compile time only)
; SGPRBlocks: 12
; VGPRBlocks: 63
; NumSGPRsForWavesPerEU: 102
; NumVGPRsForWavesPerEU: 256
; Occupancy: 1
; WaveLimiterHint : 0
; COMPUTE_PGM_RSRC2:SCRATCH_EN: 1
; COMPUTE_PGM_RSRC2:USER_SGPR: 6
; COMPUTE_PGM_RSRC2:TRAP_HANDLER: 0
; COMPUTE_PGM_RSRC2:TGID_X_EN: 1
; COMPUTE_PGM_RSRC2:TGID_Y_EN: 1
; COMPUTE_PGM_RSRC2:TGID_Z_EN: 0
; COMPUTE_PGM_RSRC2:TIDIG_COMP_CNT: 1
	.section	.text._ZL12mul_mat_q6_KIN3c108BFloat16ELb1EEvPKvS3_PT_iiiii,"axG",@progbits,_ZL12mul_mat_q6_KIN3c108BFloat16ELb1EEvPKvS3_PT_iiiii,comdat
	.globl	_ZL12mul_mat_q6_KIN3c108BFloat16ELb1EEvPKvS3_PT_iiiii ; -- Begin function _ZL12mul_mat_q6_KIN3c108BFloat16ELb1EEvPKvS3_PT_iiiii
	.p2align	8
	.type	_ZL12mul_mat_q6_KIN3c108BFloat16ELb1EEvPKvS3_PT_iiiii,@function
_ZL12mul_mat_q6_KIN3c108BFloat16ELb1EEvPKvS3_PT_iiiii: ; @_ZL12mul_mat_q6_KIN3c108BFloat16ELb1EEvPKvS3_PT_iiiii
; %bb.0:
	s_mov_b64 s[26:27], s[2:3]
	s_mov_b64 s[24:25], s[0:1]
	s_add_u32 s24, s24, s8
	s_load_dwordx4 s[8:11], s[4:5], 0x18
	s_load_dword s14, s[4:5], 0x28
	s_addc_u32 s25, s25, 0
	v_mov_b32_e32 v37, v1
	s_lshl_b32 s15, s7, 6
	v_mov_b32_e32 v35, v0
	s_waitcnt lgkmcnt(0)
	s_cmpk_gt_i32 s8, 0xff
	v_add_u32_e32 v34, s15, v37
	s_cbranch_scc1 .LBB176_2
; %bb.1:
	v_add_u32_e32 v0, s15, v37
	s_mov_b64 s[0:1], 0
	s_branch .LBB176_3
.LBB176_2:
	s_mov_b64 s[0:1], -1
                                        ; implicit-def: $vgpr0
.LBB176_3:
	s_load_dwordx2 s[12:13], s[4:5], 0x10
	s_lshl_b32 s6, s6, 7
	v_mov_b32_e32 v4, 0
	s_andn2_b64 vcc, exec, s[0:1]
	v_mov_b32_e32 v5, 0
	v_mov_b32_e32 v2, 0
	;; [unrolled: 1-line block ×31, first 2 shown]
	s_cbranch_vccnz .LBB176_11
; %bb.4:
	s_load_dwordx4 s[0:3], s[4:5], 0x0
	s_ashr_i32 s4, s8, 31
	s_lshr_b32 s4, s4, 24
	s_add_i32 s4, s8, s4
	s_ashr_i32 s5, s11, 31
	s_ashr_i32 s4, s4, 8
	s_lshr_b32 s5, s5, 27
	s_add_i32 s5, s11, s5
	s_mul_i32 s7, s4, s6
	v_lshrrev_b32_e32 v2, 1, v35
	v_and_b32_e32 v3, 7, v35
	s_ashr_i32 s11, s5, 5
	s_mul_hi_i32 s8, s7, 0xd2
	s_mulk_i32 s7, 0xd2
	v_and_b32_e32 v0, 31, v35
	v_and_or_b32 v2, v2, 8, v3
	s_waitcnt lgkmcnt(0)
	s_add_u32 s7, s0, s7
	v_lshlrev_b32_e32 v136, 2, v2
	v_add_u16_e32 v2, -16, v0
	v_cmp_gt_u32_e32 vcc, 16, v0
	s_addc_u32 s8, s1, s8
	s_not_b32 s0, s6
	v_lshlrev_b32_e32 v1, 1, v0
	v_lshlrev_b32_e32 v135, 2, v0
	v_cndmask_b32_e32 v0, v2, v0, vcc
	s_add_i32 s18, s9, s0
	v_cmp_lt_u16_e64 s[0:1], 7, v0
	v_add_u32_e32 v0, 0xe0, v1
	v_cndmask_b32_e32 v0, v0, v1, vcc
	v_and_b32_e32 v0, 0xfe, v0
	v_sub_u32_e32 v0, v1, v0
	v_and_b32_e32 v1, 15, v35
	v_cndmask_b32_e64 v137, 0, 2, s[0:1]
	v_min_i32_e32 v2, s18, v37
	v_add_lshl_u32 v0, v0, v1, 2
	s_movk_i32 s0, 0x104
	v_mul_lo_u32 v3, v2, s4
	v_mad_u64_u32 v[1:2], s[16:17], v2, s0, v[0:1]
	v_add_u32_e32 v13, 8, v37
	buffer_store_dword v3, off, s[24:27], 0 offset:8 ; 4-byte Folded Spill
	buffer_store_dword v1, off, s[24:27], 0 offset:12 ; 4-byte Folded Spill
	s_nop 0
	buffer_store_dword v2, off, s[24:27], 0 offset:16 ; 4-byte Folded Spill
	v_min_i32_e32 v1, s18, v13
	v_mul_lo_u32 v2, v1, s4
	v_add_u32_e32 v14, 16, v37
	v_add_u32_e32 v15, 24, v37
	;; [unrolled: 1-line block ×3, first 2 shown]
	buffer_store_dword v2, off, s[24:27], 0 offset:20 ; 4-byte Folded Spill
	v_mad_u64_u32 v[1:2], s[16:17], v1, s0, v[0:1]
	buffer_store_dword v1, off, s[24:27], 0 offset:24 ; 4-byte Folded Spill
	s_nop 0
	buffer_store_dword v2, off, s[24:27], 0 offset:28 ; 4-byte Folded Spill
	v_min_i32_e32 v1, s18, v14
	v_mul_lo_u32 v2, v1, s4
	v_add_u32_e32 v17, 40, v37
	v_add_u32_e32 v19, 48, v37
	;; [unrolled: 1-line block ×3, first 2 shown]
	buffer_store_dword v2, off, s[24:27], 0 offset:32 ; 4-byte Folded Spill
	v_mad_u64_u32 v[1:2], s[16:17], v1, s0, v[0:1]
	buffer_store_dword v1, off, s[24:27], 0 offset:36 ; 4-byte Folded Spill
	s_nop 0
	buffer_store_dword v2, off, s[24:27], 0 offset:40 ; 4-byte Folded Spill
	v_min_i32_e32 v1, s18, v15
	v_mul_lo_u32 v2, v1, s4
	v_lshlrev_b32_e32 v154, 5, v37
	s_mov_b32 s1, 0xae40
	v_add_u32_e32 v7, 16, v34
	buffer_store_dword v2, off, s[24:27], 0 offset:44 ; 4-byte Folded Spill
	v_mad_u64_u32 v[1:2], s[16:17], v1, s0, v[0:1]
	buffer_store_dword v1, off, s[24:27], 0 offset:48 ; 4-byte Folded Spill
	s_nop 0
	buffer_store_dword v2, off, s[24:27], 0 offset:52 ; 4-byte Folded Spill
	v_min_i32_e32 v1, s18, v16
	v_mul_lo_u32 v2, v1, s4
	v_cvt_f64_u32_e32 v[7:8], v7
	v_lshrrev_b32_e32 v31, 5, v35
	v_lshlrev_b32_e32 v160, 2, v35
	buffer_store_dword v2, off, s[24:27], 0 offset:56 ; 4-byte Folded Spill
	v_mad_u64_u32 v[1:2], s[16:17], v1, s0, v[0:1]
	buffer_store_dword v1, off, s[24:27], 0 offset:60 ; 4-byte Folded Spill
	s_nop 0
	buffer_store_dword v2, off, s[24:27], 0 offset:64 ; 4-byte Folded Spill
	v_min_i32_e32 v1, s18, v17
	v_mul_lo_u32 v2, v1, s4
	v_and_b32_e32 v21, 28, v160
	v_add_co_u32_e32 v67, vcc, s2, v21
	buffer_store_dword v2, off, s[24:27], 0 offset:68 ; 4-byte Folded Spill
	v_mad_u64_u32 v[1:2], s[16:17], v1, s0, v[0:1]
	buffer_store_dword v1, off, s[24:27], 0 offset:72 ; 4-byte Folded Spill
	s_nop 0
	buffer_store_dword v2, off, s[24:27], 0 offset:76 ; 4-byte Folded Spill
	v_min_i32_e32 v1, s18, v19
	v_mul_lo_u32 v2, v1, s4
	v_mov_b32_e32 v18, 0
	v_or_b32_e32 v26, 0x8200, v135
	v_lshlrev_b32_e32 v27, 7, v37
	buffer_store_dword v2, off, s[24:27], 0 offset:80 ; 4-byte Folded Spill
	v_mad_u64_u32 v[1:2], s[16:17], v1, s0, v[0:1]
	buffer_store_dword v1, off, s[24:27], 0 offset:84 ; 4-byte Folded Spill
	s_nop 0
	buffer_store_dword v2, off, s[24:27], 0 offset:88 ; 4-byte Folded Spill
	v_min_i32_e32 v1, s18, v20
	v_mul_lo_u32 v2, v1, s4
	v_lshlrev_b32_e32 v28, 7, v13
	v_lshlrev_b32_e32 v29, 7, v14
	v_mov_b32_e32 v21, v18
	buffer_store_dword v2, off, s[24:27], 0 offset:92 ; 4-byte Folded Spill
	v_mad_u64_u32 v[1:2], s[16:17], v1, s0, v[0:1]
	buffer_store_dword v1, off, s[24:27], 0 offset:96 ; 4-byte Folded Spill
	s_nop 0
	buffer_store_dword v2, off, s[24:27], 0 offset:100 ; 4-byte Folded Spill
	v_add_u32_e32 v1, 64, v37
	v_min_i32_e32 v1, s18, v1
	v_mul_lo_u32 v2, v1, s4
	v_lshlrev_b32_e32 v178, 5, v13
	v_lshlrev_b32_e32 v179, 5, v14
	;; [unrolled: 1-line block ×3, first 2 shown]
	buffer_store_dword v2, off, s[24:27], 0 offset:104 ; 4-byte Folded Spill
	v_mad_u64_u32 v[1:2], s[16:17], v1, s0, v[0:1]
	buffer_store_dword v1, off, s[24:27], 0 offset:108 ; 4-byte Folded Spill
	s_nop 0
	buffer_store_dword v2, off, s[24:27], 0 offset:112 ; 4-byte Folded Spill
	v_add_u32_e32 v1, 0x48, v37
	v_min_i32_e32 v1, s18, v1
	v_mul_lo_u32 v2, v1, s4
	v_lshlrev_b32_e32 v181, 5, v16
	v_lshlrev_b32_e32 v182, 5, v17
	;; [unrolled: 1-line block ×3, first 2 shown]
	buffer_store_dword v2, off, s[24:27], 0 offset:116 ; 4-byte Folded Spill
	v_mad_u64_u32 v[1:2], s[16:17], v1, s0, v[0:1]
	buffer_store_dword v1, off, s[24:27], 0 offset:120 ; 4-byte Folded Spill
	s_nop 0
	buffer_store_dword v2, off, s[24:27], 0 offset:124 ; 4-byte Folded Spill
	v_add_u32_e32 v1, 0x50, v37
	v_min_i32_e32 v1, s18, v1
	v_mul_lo_u32 v2, v1, s4
	v_lshlrev_b32_e32 v184, 5, v20
	v_add_u32_e32 v191, v26, v27
	v_add_u32_e32 v192, v26, v28
	buffer_store_dword v2, off, s[24:27], 0 offset:128 ; 4-byte Folded Spill
	v_mad_u64_u32 v[1:2], s[16:17], v1, s0, v[0:1]
	buffer_store_dword v1, off, s[24:27], 0 offset:132 ; 4-byte Folded Spill
	s_nop 0
	buffer_store_dword v2, off, s[24:27], 0 offset:136 ; 4-byte Folded Spill
	v_add_u32_e32 v1, 0x58, v37
	v_min_i32_e32 v1, s18, v1
	v_mul_lo_u32 v2, v1, s4
	v_add_u32_e32 v193, v26, v29
	s_movk_i32 s5, 0xd2
	s_mov_b32 s9, 0
	buffer_store_dword v2, off, s[24:27], 0 offset:140 ; 4-byte Folded Spill
	v_mad_u64_u32 v[1:2], s[16:17], v1, s0, v[0:1]
	buffer_store_dword v1, off, s[24:27], 0 offset:144 ; 4-byte Folded Spill
	s_nop 0
	buffer_store_dword v2, off, s[24:27], 0 offset:148 ; 4-byte Folded Spill
	v_add_u32_e32 v1, 0x60, v37
	v_min_i32_e32 v1, s18, v1
	v_mul_lo_u32 v2, v1, s4
	v_lshrrev_b32_e32 v162, 3, v35
	v_mul_u32_u24_e32 v185, 0x104, v35
	v_mov_b32_e32 v199, 8
	buffer_store_dword v2, off, s[24:27], 0 offset:152 ; 4-byte Folded Spill
	v_mad_u64_u32 v[1:2], s[16:17], v1, s0, v[0:1]
	buffer_store_dword v1, off, s[24:27], 0 offset:156 ; 4-byte Folded Spill
	s_nop 0
	buffer_store_dword v2, off, s[24:27], 0 offset:160 ; 4-byte Folded Spill
	v_add_u32_e32 v1, 0x68, v37
	v_min_i32_e32 v1, s18, v1
	v_mul_lo_u32 v2, v1, s4
	buffer_store_dword v2, off, s[24:27], 0 offset:164 ; 4-byte Folded Spill
	v_mad_u64_u32 v[1:2], s[16:17], v1, s0, v[0:1]
	buffer_store_dword v1, off, s[24:27], 0 offset:168 ; 4-byte Folded Spill
	s_nop 0
	buffer_store_dword v2, off, s[24:27], 0 offset:172 ; 4-byte Folded Spill
	v_add_u32_e32 v1, 0x70, v37
	v_min_i32_e32 v1, s18, v1
	v_mul_lo_u32 v2, v1, s4
	;; [unrolled: 8-line block ×3, first 2 shown]
	v_mad_u64_u32 v[0:1], s[16:17], v1, s0, v[0:1]
	s_mov_b32 s16, 0xa200
	buffer_store_dword v2, off, s[24:27], 0 offset:188 ; 4-byte Folded Spill
	buffer_store_dword v0, off, s[24:27], 0 offset:192 ; 4-byte Folded Spill
	s_nop 0
	buffer_store_dword v1, off, s[24:27], 0 offset:196 ; 4-byte Folded Spill
	v_add_u32_e32 v0, v154, v35
	v_and_b32_e32 v0, 0x7f, v0
	v_min_i32_e32 v0, s18, v0
	v_mul_lo_u32 v1, v0, s4
	buffer_store_dword v1, off, s[24:27], 0 offset:200 ; 4-byte Folded Spill
	v_ashrrev_i32_e32 v1, 31, v0
	v_lshrrev_b32_e32 v1, 27, v1
	v_add_u32_e32 v1, v0, v1
	v_ashrrev_i32_e32 v1, 5, v1
	v_lshlrev_b32_e32 v1, 2, v1
	v_lshlrev_b32_e32 v0, 2, v0
	v_add3_u32 v0, v1, v0, s1
	buffer_store_dword v0, off, s[24:27], 0 offset:204 ; 4-byte Folded Spill
	v_lshrrev_b32_e32 v0, 2, v35
	v_lshl_add_u32 v5, v37, 3, v0
	v_and_b32_e32 v1, 0x7f, v5
	v_min_i32_e32 v2, s18, v1
	v_mul_lo_u32 v3, v2, s4
	v_xor_b32_e32 v1, 64, v1
	v_min_i32_e32 v1, s18, v1
	v_lshlrev_b32_e32 v23, 4, v2
	buffer_store_dword v3, off, s[24:27], 0 offset:208 ; 4-byte Folded Spill
	v_ashrrev_i32_e32 v3, 31, v2
	v_lshrrev_b32_e32 v3, 29, v3
	v_add_u32_e32 v3, v2, v3
	v_mul_lo_u32 v2, v1, s4
	v_and_b32_e32 v0, 3, v35
	v_ashrrev_i32_e32 v3, 3, v3
	v_lshlrev_b32_e32 v157, 2, v0
	buffer_store_dword v2, off, s[24:27], 0 offset:212 ; 4-byte Folded Spill
	v_ashrrev_i32_e32 v2, 31, v1
	v_lshrrev_b32_e32 v2, 29, v2
	v_add_u32_e32 v2, v1, v2
	v_ashrrev_i32_e32 v2, 3, v2
	v_lshlrev_b32_e32 v3, 2, v3
	v_lshlrev_b32_e32 v2, 2, v2
	v_add3_u32 v22, v3, v157, s16
	v_add3_u32 v24, v2, v157, s16
	s_add_i32 s16, s10, -1
	v_lshlrev_b32_e32 v25, 4, v1
	v_cvt_f64_i32_e32 v[1:2], s16
	v_cvt_f64_u32_e32 v[3:4], v34
	v_and_b32_e32 v9, 63, v5
	v_add_u32_e32 v5, 8, v34
	v_cvt_f64_u32_e32 v[5:6], v5
	v_min_f64 v[3:4], v[3:4], v[1:2]
	v_min_f64 v[7:8], v[7:8], v[1:2]
	v_or_b32_e32 v10, s15, v9
	v_min_f64 v[5:6], v[5:6], v[1:2]
	v_min_i32_e32 v10, s16, v10
	v_mad_u64_u32 v[10:11], s[16:17], v10, s11, v[0:1]
	v_lshl_or_b32 v0, v9, 4, v157
	v_cvt_i32_f64_e32 v3, v[3:4]
	v_add_u32_e32 v66, 0xaa40, v0
	buffer_store_dword v10, off, s[24:27], 0 offset:216 ; 4-byte Folded Spill
	s_nop 0
	buffer_store_dword v11, off, s[24:27], 0 offset:220 ; 4-byte Folded Spill
	v_cvt_i32_f64_e32 v0, v[5:6]
	v_mul_lo_u32 v161, s11, v3
	v_cvt_i32_f64_e32 v3, v[7:8]
	buffer_store_dword v31, off, s[24:27], 0 offset:4 ; 4-byte Folded Spill
	v_mul_lo_u32 v163, s11, v0
	v_add_u32_e32 v0, 24, v34
	v_mul_lo_u32 v189, s11, v3
	v_cvt_f64_u32_e32 v[3:4], v0
	v_add_u32_e32 v0, 32, v34
	v_cvt_f64_u32_e32 v[5:6], v0
	v_add_u32_e32 v0, 40, v34
	v_min_f64 v[3:4], v[3:4], v[1:2]
	v_cvt_f64_u32_e32 v[7:8], v0
	v_add_u32_e32 v0, 48, v34
	v_cvt_f64_u32_e32 v[9:10], v0
	v_min_f64 v[5:6], v[5:6], v[1:2]
	v_min_f64 v[7:8], v[7:8], v[1:2]
	v_add_u32_e32 v0, 56, v34
	v_cvt_f64_u32_e32 v[11:12], v0
	v_cvt_i32_f64_e32 v30, v[3:4]
	v_min_f64 v[3:4], v[9:10], v[1:2]
	s_movk_i32 s16, 0x3f00
	v_min_f64 v[0:1], v[11:12], v[1:2]
	v_cvt_i32_f64_e32 v5, v[5:6]
	v_cvt_i32_f64_e32 v6, v[7:8]
	v_mul_lo_u32 v190, s11, v30
	v_lshlrev_b32_e32 v2, 7, v15
	v_mul_lo_u32 v5, s11, v5
	v_cvt_i32_f64_e32 v3, v[3:4]
	v_lshlrev_b32_e32 v4, 2, v31
	v_add3_u32 v171, v160, v4, s1
	v_add_u32_e32 v4, 32, v35
	v_lshrrev_b32_e32 v172, 3, v4
	v_mul_lo_u32 v168, s11, v6
	v_lshlrev_b32_e32 v6, 2, v4
	v_and_b32_e32 v4, 60, v172
	v_add3_u32 v173, v160, v4, s1
	v_add_u32_e32 v4, 64, v35
	v_lshrrev_b32_e32 v174, 3, v4
	v_lshlrev_b32_e32 v7, 2, v4
	v_and_b32_e32 v4, 60, v174
	v_add3_u32 v175, v160, v4, s1
	v_add_u32_e32 v4, 0x60, v35
	v_lshrrev_b32_e32 v176, 3, v4
	v_lshlrev_b32_e32 v8, 2, v4
	v_and_b32_e32 v4, 60, v176
	v_cvt_i32_f64_e32 v0, v[0:1]
	v_add3_u32 v177, v160, v4, s1
	v_mov_b32_e32 v4, 0x2080
	v_mad_u32_u24 v186, v35, s0, v4
	v_mov_b32_e32 v4, 0x4100
	v_mad_u32_u24 v187, v35, s0, v4
	v_mov_b32_e32 v4, 0x6180
	v_mad_u32_u24 v188, v35, s0, v4
	v_mov_b32_e32 v4, s3
	v_mul_lo_u32 v169, s11, v3
	v_mul_lo_u32 v170, s11, v0
	v_addc_co_u32_e32 v68, vcc, 0, v4, vcc
	v_add_u32_e32 v4, v22, v23
	buffer_store_dword v5, off, s[24:27], 0 ; 4-byte Folded Spill
	v_lshlrev_b32_e32 v5, 7, v16
	v_lshlrev_b32_e32 v1, 7, v17
	;; [unrolled: 1-line block ×4, first 2 shown]
	buffer_store_dword v4, off, s[24:27], 0 offset:224 ; 4-byte Folded Spill
	v_add_u32_e32 v4, v24, v25
	v_mov_b32_e32 v19, v18
	v_mov_b32_e32 v20, v18
	buffer_store_dword v4, off, s[24:27], 0 offset:228 ; 4-byte Folded Spill
	v_add_u32_e32 v194, v26, v2
	v_add_u32_e32 v195, v26, v5
	;; [unrolled: 1-line block ×5, first 2 shown]
	v_lshlrev_b32_e32 v200, 2, v6
	v_lshlrev_b32_e32 v201, 2, v7
	;; [unrolled: 1-line block ×3, first 2 shown]
	v_mov_b32_e32 v14, v18
	v_mov_b32_e32 v33, v21
	;; [unrolled: 1-line block ×7, first 2 shown]
	s_mov_b32 s11, 0x30303030
	s_movk_i32 s17, 0xe000
	v_mov_b32_e32 v15, v19
	v_mov_b32_e32 v16, v20
	;; [unrolled: 1-line block ×21, first 2 shown]
	buffer_store_dword v37, off, s[24:27], 0 offset:232 ; 4-byte Folded Spill
	buffer_store_dword v34, off, s[24:27], 0 offset:240 ; 4-byte Folded Spill
	;; [unrolled: 1-line block ×3, first 2 shown]
.LBB176_5:                              ; =>This Loop Header: Depth=1
                                        ;     Child Loop BB176_6 Depth 2
                                        ;     Child Loop BB176_8 Depth 2
	buffer_load_dword v0, off, s[24:27], 0 offset:4 ; 4-byte Folded Reload
	buffer_load_dword v40, off, s[24:27], 0 offset:20 ; 4-byte Folded Reload
	s_mul_i32 s0, s9, 0xd2
	s_mul_hi_u32 s1, s9, 0xd2
	s_add_u32 s0, s7, s0
	s_addc_u32 s1, s8, s1
	v_mov_b32_e32 v35, s1
	v_mov_b32_e32 v34, s0
	s_lshl_b32 s18, s9, 3
	s_mov_b32 s20, 0
	s_waitcnt vmcnt(1)
	v_mad_u64_u32 v[36:37], s[0:1], v0, s5, v[34:35]
	buffer_load_dword v0, off, s[24:27], 0 offset:8 ; 4-byte Folded Reload
	s_waitcnt vmcnt(1)
	v_mad_i64_i32 v[40:41], s[0:1], v40, s5, v[36:37]
	s_waitcnt vmcnt(0)
	v_mad_i64_i32 v[0:1], s[0:1], v0, s5, v[36:37]
	v_add_co_u32_e32 v38, vcc, v0, v135
	v_addc_co_u32_e32 v39, vcc, 0, v1, vcc
	v_add_co_u32_e32 v0, vcc, v0, v136
	v_addc_co_u32_e32 v1, vcc, 0, v1, vcc
	;; [unrolled: 2-line block ×3, first 2 shown]
	global_load_dword v44, v[38:39], off
	global_load_dword v45, v[0:1], off offset:128
	s_nop 0
	global_load_dword v42, v[42:43], off
	v_add_co_u32_e32 v0, vcc, v40, v136
	v_addc_co_u32_e32 v1, vcc, 0, v41, vcc
	global_load_dword v40, v[0:1], off offset:128
	s_waitcnt vmcnt(0)
	v_ashrrev_i32_e32 v40, v137, v40
	buffer_load_dword v0, off, s[24:27], 0 offset:32 ; 4-byte Folded Reload
	s_waitcnt vmcnt(0)
	v_mad_i64_i32 v[0:1], s[0:1], v0, s5, v[36:37]
	v_add_co_u32_e32 v38, vcc, v0, v135
	v_addc_co_u32_e32 v39, vcc, 0, v1, vcc
	v_add_co_u32_e32 v0, vcc, v0, v136
	v_addc_co_u32_e32 v1, vcc, 0, v1, vcc
	global_load_dword v41, v[38:39], off
	global_load_dword v43, v[0:1], off offset:128
	s_nop 0
	buffer_load_dword v0, off, s[24:27], 0 offset:44 ; 4-byte Folded Reload
	s_waitcnt vmcnt(0)
	v_mad_i64_i32 v[0:1], s[0:1], v0, s5, v[36:37]
	v_add_co_u32_e32 v38, vcc, v0, v135
	v_addc_co_u32_e32 v39, vcc, 0, v1, vcc
	v_add_co_u32_e32 v0, vcc, v0, v136
	v_addc_co_u32_e32 v1, vcc, 0, v1, vcc
	global_load_dword v46, v[38:39], off
	global_load_dword v47, v[0:1], off offset:128
	v_lshrrev_b32_e32 v1, 4, v44
	v_ashrrev_i32_e32 v38, v137, v45
	v_and_b32_e32 v0, 0xf0f0f0f, v44
	v_and_b32_e32 v39, 0xf0f0f0f, v42
	;; [unrolled: 1-line block ×3, first 2 shown]
	v_lshlrev_b32_e32 v44, 4, v38
	v_lshlrev_b32_e32 v45, 4, v40
	v_and_or_b32 v0, v44, s11, v0
	v_and_or_b32 v1, v38, s11, v1
	;; [unrolled: 1-line block ×3, first 2 shown]
	v_and_b32_e32 v39, 0x3f00, v0
	v_lshlrev_b16_e32 v44, 8, v0
	v_and_b32_sdwa v45, v0, s16 dst_sel:DWORD dst_unused:UNUSED_PAD src0_sel:WORD_1 src1_sel:DWORD
	v_lshlrev_b16_sdwa v0, v199, v0 dst_sel:DWORD dst_unused:UNUSED_PAD src0_sel:DWORD src1_sel:WORD_1
	v_and_b32_e32 v48, 0x3f00, v1
	v_lshlrev_b16_e32 v49, 8, v1
	v_and_b32_sdwa v50, v1, s16 dst_sel:DWORD dst_unused:UNUSED_PAD src0_sel:WORD_1 src1_sel:DWORD
	v_lshlrev_b16_sdwa v1, v199, v1 dst_sel:DWORD dst_unused:UNUSED_PAD src0_sel:DWORD src1_sel:WORD_1
	;; [unrolled: 4-line block ×3, first 2 shown]
	v_add_u16_e32 v44, 0xe000, v44
	v_add_u16_e32 v0, 0xe000, v0
	;; [unrolled: 1-line block ×6, first 2 shown]
	v_or_b32_sdwa v39, v39, v44 dst_sel:DWORD dst_unused:UNUSED_PAD src0_sel:DWORD src1_sel:BYTE_1
	v_or_b32_sdwa v0, v45, v0 dst_sel:DWORD dst_unused:UNUSED_PAD src0_sel:DWORD src1_sel:BYTE_1
	;; [unrolled: 1-line block ×6, first 2 shown]
	v_add_u16_e32 v44, 0xe000, v44
	v_add_u16_sdwa v1, v1, s17 dst_sel:WORD_1 dst_unused:UNUSED_PAD src0_sel:DWORD src1_sel:DWORD
	v_add_u16_e32 v45, 0xe000, v45
	v_add_u16_sdwa v38, v38, s17 dst_sel:WORD_1 dst_unused:UNUSED_PAD src0_sel:DWORD src1_sel:DWORD
	v_or_b32_e32 v1, v44, v1
	v_or_b32_e32 v38, v45, v38
	buffer_load_dword v44, off, s[24:27], 0 offset:12 ; 4-byte Folded Reload
	buffer_load_dword v45, off, s[24:27], 0 offset:16 ; 4-byte Folded Reload
	v_lshrrev_b32_e32 v42, 4, v42
	v_add_u16_e32 v39, 0xe000, v39
	v_add_u16_sdwa v0, v0, s17 dst_sel:WORD_1 dst_unused:UNUSED_PAD src0_sel:DWORD src1_sel:DWORD
	v_and_b32_e32 v42, 0xf0f0f0f, v42
	v_or_b32_e32 v0, v39, v0
	v_add_u32_e32 v52, s18, v162
	s_waitcnt vmcnt(1)
	ds_write2_b32 v44, v0, v1 offset1:16
	v_and_or_b32 v0, v40, s11, v42
	v_lshlrev_b16_e32 v39, 8, v0
	v_and_b32_e32 v1, 0x3f00, v0
	v_add_u16_e32 v39, 0xe000, v39
	v_or_b32_sdwa v1, v1, v39 dst_sel:DWORD dst_unused:UNUSED_PAD src0_sel:DWORD src1_sel:BYTE_1
	v_and_b32_sdwa v39, v0, s16 dst_sel:DWORD dst_unused:UNUSED_PAD src0_sel:WORD_1 src1_sel:DWORD
	v_lshlrev_b16_sdwa v0, v199, v0 dst_sel:DWORD dst_unused:UNUSED_PAD src0_sel:DWORD src1_sel:WORD_1
	v_add_u16_e32 v0, 0xe000, v0
	v_or_b32_sdwa v0, v39, v0 dst_sel:DWORD dst_unused:UNUSED_PAD src0_sel:DWORD src1_sel:BYTE_1
	buffer_load_dword v39, off, s[24:27], 0 offset:24 ; 4-byte Folded Reload
	buffer_load_dword v40, off, s[24:27], 0 offset:28 ; 4-byte Folded Reload
	v_add_u16_e32 v1, 0xe000, v1
	v_add_u16_sdwa v0, v0, s17 dst_sel:WORD_1 dst_unused:UNUSED_PAD src0_sel:DWORD src1_sel:DWORD
	v_or_b32_e32 v0, v1, v0
	v_lshrrev_b32_e32 v1, 4, v41
	v_and_b32_e32 v1, 0xf0f0f0f, v1
	s_waitcnt vmcnt(1)
	ds_write2_b32 v39, v38, v0 offset1:16
	v_ashrrev_i32_e32 v38, v137, v43
	v_and_b32_e32 v0, 0xf0f0f0f, v41
	v_lshlrev_b32_e32 v39, 4, v38
	v_and_or_b32 v0, v39, s11, v0
	s_waitcnt vmcnt(0)
	v_lshlrev_b16_e32 v40, 8, v0
	v_and_b32_e32 v39, 0x3f00, v0
	v_add_u16_e32 v40, 0xe000, v40
	v_or_b32_sdwa v39, v39, v40 dst_sel:DWORD dst_unused:UNUSED_PAD src0_sel:DWORD src1_sel:BYTE_1
	v_and_b32_sdwa v40, v0, s16 dst_sel:DWORD dst_unused:UNUSED_PAD src0_sel:WORD_1 src1_sel:DWORD
	v_lshlrev_b16_sdwa v0, v199, v0 dst_sel:DWORD dst_unused:UNUSED_PAD src0_sel:DWORD src1_sel:WORD_1
	v_add_u16_e32 v0, 0xe000, v0
	v_or_b32_sdwa v0, v40, v0 dst_sel:DWORD dst_unused:UNUSED_PAD src0_sel:DWORD src1_sel:BYTE_1
	v_add_u16_e32 v39, 0xe000, v39
	v_add_u16_sdwa v0, v0, s17 dst_sel:WORD_1 dst_unused:UNUSED_PAD src0_sel:DWORD src1_sel:DWORD
	v_or_b32_e32 v40, v39, v0
	buffer_load_dword v0, off, s[24:27], 0 offset:56 ; 4-byte Folded Reload
	v_and_or_b32 v41, v38, s11, v1
	v_lshlrev_b16_e32 v43, 8, v41
	v_and_b32_e32 v42, 0x3f00, v41
	s_waitcnt vmcnt(0)
	v_mad_i64_i32 v[0:1], s[0:1], v0, s5, v[36:37]
	v_add_co_u32_e32 v38, vcc, v0, v135
	v_addc_co_u32_e32 v39, vcc, 0, v1, vcc
	v_add_co_u32_e32 v0, vcc, v0, v136
	v_addc_co_u32_e32 v1, vcc, 0, v1, vcc
	global_load_dword v44, v[38:39], off
	global_load_dword v45, v[0:1], off offset:128
	v_lshlrev_b16_sdwa v38, v199, v41 dst_sel:DWORD dst_unused:UNUSED_PAD src0_sel:DWORD src1_sel:WORD_1
	v_and_b32_sdwa v1, v41, s16 dst_sel:DWORD dst_unused:UNUSED_PAD src0_sel:WORD_1 src1_sel:DWORD
	v_add_u16_e32 v38, 0xe000, v38
	v_or_b32_sdwa v1, v1, v38 dst_sel:DWORD dst_unused:UNUSED_PAD src0_sel:DWORD src1_sel:BYTE_1
	buffer_load_dword v38, off, s[24:27], 0 offset:36 ; 4-byte Folded Reload
	buffer_load_dword v39, off, s[24:27], 0 offset:40 ; 4-byte Folded Reload
	v_add_u16_e32 v0, 0xe000, v43
	v_or_b32_sdwa v0, v42, v0 dst_sel:DWORD dst_unused:UNUSED_PAD src0_sel:DWORD src1_sel:BYTE_1
	v_add_u16_e32 v0, 0xe000, v0
	v_add_u16_sdwa v1, v1, s17 dst_sel:WORD_1 dst_unused:UNUSED_PAD src0_sel:DWORD src1_sel:DWORD
	v_or_b32_e32 v0, v0, v1
	v_lshrrev_b32_e32 v1, 4, v46
	v_ashrrev_i32_e32 v41, v137, v47
	s_waitcnt vmcnt(1)
	ds_write2_b32 v38, v40, v0 offset1:16
	v_and_b32_e32 v0, 0xf0f0f0f, v46
	v_and_b32_e32 v40, 0xf0f0f0f, v1
	v_lshlrev_b32_e32 v1, 4, v41
	v_and_or_b32 v42, v1, s11, v0
	buffer_load_dword v0, off, s[24:27], 0 offset:68 ; 4-byte Folded Reload
	v_lshlrev_b16_e32 v46, 8, v42
	v_and_b32_e32 v43, 0x3f00, v42
	s_waitcnt vmcnt(0)
	v_mad_i64_i32 v[0:1], s[0:1], v0, s5, v[36:37]
	v_add_co_u32_e32 v38, vcc, v0, v135
	v_addc_co_u32_e32 v39, vcc, 0, v1, vcc
	v_add_co_u32_e32 v0, vcc, v0, v136
	v_addc_co_u32_e32 v1, vcc, 0, v1, vcc
	global_load_dword v47, v[38:39], off
	global_load_dword v48, v[0:1], off offset:128
	v_lshlrev_b16_sdwa v38, v199, v42 dst_sel:DWORD dst_unused:UNUSED_PAD src0_sel:DWORD src1_sel:WORD_1
	v_add_u16_e32 v0, 0xe000, v46
	v_and_b32_sdwa v1, v42, s16 dst_sel:DWORD dst_unused:UNUSED_PAD src0_sel:WORD_1 src1_sel:DWORD
	v_add_u16_e32 v38, 0xe000, v38
	v_or_b32_sdwa v0, v43, v0 dst_sel:DWORD dst_unused:UNUSED_PAD src0_sel:DWORD src1_sel:BYTE_1
	v_or_b32_sdwa v1, v1, v38 dst_sel:DWORD dst_unused:UNUSED_PAD src0_sel:DWORD src1_sel:BYTE_1
	v_add_u16_e32 v0, 0xe000, v0
	v_add_u16_sdwa v1, v1, s17 dst_sel:WORD_1 dst_unused:UNUSED_PAD src0_sel:DWORD src1_sel:DWORD
	v_and_or_b32 v38, v41, s11, v40
	v_or_b32_e32 v42, v0, v1
	v_lshlrev_b16_e32 v1, 8, v38
	v_and_b32_e32 v0, 0x3f00, v38
	v_add_u16_e32 v1, 0xe000, v1
	v_or_b32_sdwa v0, v0, v1 dst_sel:DWORD dst_unused:UNUSED_PAD src0_sel:DWORD src1_sel:BYTE_1
	v_add_u16_e32 v40, 0xe000, v0
	buffer_load_dword v0, off, s[24:27], 0 offset:80 ; 4-byte Folded Reload
	v_and_b32_sdwa v41, v38, s16 dst_sel:DWORD dst_unused:UNUSED_PAD src0_sel:WORD_1 src1_sel:DWORD
	v_lshlrev_b16_sdwa v38, v199, v38 dst_sel:DWORD dst_unused:UNUSED_PAD src0_sel:DWORD src1_sel:WORD_1
	v_add_u16_e32 v43, 0xe000, v38
	s_waitcnt vmcnt(0)
	v_mad_i64_i32 v[0:1], s[0:1], v0, s5, v[36:37]
	v_add_co_u32_e32 v38, vcc, v0, v135
	v_addc_co_u32_e32 v39, vcc, 0, v1, vcc
	v_add_co_u32_e32 v0, vcc, v0, v136
	v_addc_co_u32_e32 v1, vcc, 0, v1, vcc
	global_load_dword v46, v[38:39], off
	global_load_dword v49, v[0:1], off offset:128
	v_or_b32_sdwa v0, v41, v43 dst_sel:DWORD dst_unused:UNUSED_PAD src0_sel:DWORD src1_sel:BYTE_1
	v_add_u16_sdwa v38, v0, s17 dst_sel:WORD_1 dst_unused:UNUSED_PAD src0_sel:DWORD src1_sel:DWORD
	buffer_load_dword v0, off, s[24:27], 0 offset:92 ; 4-byte Folded Reload
	v_or_b32_e32 v38, v40, v38
	buffer_load_dword v39, off, s[24:27], 0 offset:48 ; 4-byte Folded Reload
	buffer_load_dword v40, off, s[24:27], 0 offset:52 ; 4-byte Folded Reload
	s_waitcnt vmcnt(2)
	v_mad_i64_i32 v[0:1], s[0:1], v0, s5, v[36:37]
	s_waitcnt vmcnt(1)
	ds_write2_b32 v39, v42, v38 offset1:16
	v_add_co_u32_e32 v38, vcc, v0, v135
	v_addc_co_u32_e32 v39, vcc, 0, v1, vcc
	v_add_co_u32_e32 v0, vcc, v0, v136
	v_addc_co_u32_e32 v1, vcc, 0, v1, vcc
	global_load_dword v40, v[38:39], off
	global_load_dword v41, v[0:1], off offset:128
	v_ashrrev_i32_e32 v38, v137, v45
	v_and_b32_e32 v0, 0xf0f0f0f, v44
	v_lshlrev_b32_e32 v39, 4, v38
	v_and_or_b32 v0, v39, s11, v0
	v_lshlrev_b16_e32 v42, 8, v0
	v_and_b32_e32 v39, 0x3f00, v0
	v_add_u16_e32 v42, 0xe000, v42
	v_or_b32_sdwa v39, v39, v42 dst_sel:DWORD dst_unused:UNUSED_PAD src0_sel:DWORD src1_sel:BYTE_1
	v_and_b32_sdwa v42, v0, s16 dst_sel:DWORD dst_unused:UNUSED_PAD src0_sel:WORD_1 src1_sel:DWORD
	v_lshlrev_b16_sdwa v0, v199, v0 dst_sel:DWORD dst_unused:UNUSED_PAD src0_sel:DWORD src1_sel:WORD_1
	v_lshrrev_b32_e32 v1, 4, v44
	v_add_u16_e32 v0, 0xe000, v0
	v_and_b32_e32 v1, 0xf0f0f0f, v1
	v_or_b32_sdwa v0, v42, v0 dst_sel:DWORD dst_unused:UNUSED_PAD src0_sel:DWORD src1_sel:BYTE_1
	v_add_u16_e32 v39, 0xe000, v39
	v_add_u16_sdwa v0, v0, s17 dst_sel:WORD_1 dst_unused:UNUSED_PAD src0_sel:DWORD src1_sel:DWORD
	v_and_or_b32 v1, v38, s11, v1
	v_or_b32_e32 v0, v39, v0
	v_lshlrev_b16_e32 v39, 8, v1
	v_and_b32_e32 v38, 0x3f00, v1
	v_add_u16_e32 v39, 0xe000, v39
	v_or_b32_sdwa v38, v38, v39 dst_sel:DWORD dst_unused:UNUSED_PAD src0_sel:DWORD src1_sel:BYTE_1
	v_and_b32_sdwa v39, v1, s16 dst_sel:DWORD dst_unused:UNUSED_PAD src0_sel:WORD_1 src1_sel:DWORD
	v_lshlrev_b16_sdwa v1, v199, v1 dst_sel:DWORD dst_unused:UNUSED_PAD src0_sel:DWORD src1_sel:WORD_1
	v_add_u16_e32 v1, 0xe000, v1
	v_or_b32_sdwa v1, v39, v1 dst_sel:DWORD dst_unused:UNUSED_PAD src0_sel:DWORD src1_sel:BYTE_1
	v_add_u16_e32 v38, 0xe000, v38
	v_add_u16_sdwa v1, v1, s17 dst_sel:WORD_1 dst_unused:UNUSED_PAD src0_sel:DWORD src1_sel:DWORD
	v_or_b32_e32 v1, v38, v1
	buffer_load_dword v38, off, s[24:27], 0 offset:60 ; 4-byte Folded Reload
	buffer_load_dword v39, off, s[24:27], 0 offset:64 ; 4-byte Folded Reload
	s_waitcnt vmcnt(2)
	v_ashrrev_i32_e32 v41, v137, v41
	s_waitcnt vmcnt(1)
	ds_write2_b32 v38, v0, v1 offset1:16
	v_ashrrev_i32_e32 v38, v137, v48
	v_and_b32_e32 v0, 0xf0f0f0f, v47
	s_waitcnt vmcnt(0)
	v_lshlrev_b32_e32 v39, 4, v38
	v_and_or_b32 v0, v39, s11, v0
	v_lshlrev_b16_e32 v42, 8, v0
	v_and_b32_e32 v39, 0x3f00, v0
	v_add_u16_e32 v42, 0xe000, v42
	v_or_b32_sdwa v39, v39, v42 dst_sel:DWORD dst_unused:UNUSED_PAD src0_sel:DWORD src1_sel:BYTE_1
	v_and_b32_sdwa v42, v0, s16 dst_sel:DWORD dst_unused:UNUSED_PAD src0_sel:WORD_1 src1_sel:DWORD
	v_lshlrev_b16_sdwa v0, v199, v0 dst_sel:DWORD dst_unused:UNUSED_PAD src0_sel:DWORD src1_sel:WORD_1
	v_lshrrev_b32_e32 v1, 4, v47
	v_add_u16_e32 v0, 0xe000, v0
	v_and_b32_e32 v1, 0xf0f0f0f, v1
	v_or_b32_sdwa v0, v42, v0 dst_sel:DWORD dst_unused:UNUSED_PAD src0_sel:DWORD src1_sel:BYTE_1
	v_add_u16_e32 v39, 0xe000, v39
	v_add_u16_sdwa v0, v0, s17 dst_sel:WORD_1 dst_unused:UNUSED_PAD src0_sel:DWORD src1_sel:DWORD
	v_and_or_b32 v1, v38, s11, v1
	v_or_b32_e32 v0, v39, v0
	v_lshlrev_b16_e32 v39, 8, v1
	v_and_b32_e32 v38, 0x3f00, v1
	v_add_u16_e32 v39, 0xe000, v39
	v_or_b32_sdwa v38, v38, v39 dst_sel:DWORD dst_unused:UNUSED_PAD src0_sel:DWORD src1_sel:BYTE_1
	v_and_b32_sdwa v39, v1, s16 dst_sel:DWORD dst_unused:UNUSED_PAD src0_sel:WORD_1 src1_sel:DWORD
	v_lshlrev_b16_sdwa v1, v199, v1 dst_sel:DWORD dst_unused:UNUSED_PAD src0_sel:DWORD src1_sel:WORD_1
	v_add_u16_e32 v1, 0xe000, v1
	v_or_b32_sdwa v1, v39, v1 dst_sel:DWORD dst_unused:UNUSED_PAD src0_sel:DWORD src1_sel:BYTE_1
	v_add_u16_e32 v38, 0xe000, v38
	v_add_u16_sdwa v1, v1, s17 dst_sel:WORD_1 dst_unused:UNUSED_PAD src0_sel:DWORD src1_sel:DWORD
	v_or_b32_e32 v1, v38, v1
	buffer_load_dword v38, off, s[24:27], 0 offset:72 ; 4-byte Folded Reload
	buffer_load_dword v39, off, s[24:27], 0 offset:76 ; 4-byte Folded Reload
	s_waitcnt vmcnt(1)
	ds_write2_b32 v38, v0, v1 offset1:16
	v_ashrrev_i32_e32 v38, v137, v49
	v_and_b32_e32 v0, 0xf0f0f0f, v46
	s_waitcnt vmcnt(0)
	v_lshlrev_b32_e32 v39, 4, v38
	v_and_or_b32 v0, v39, s11, v0
	v_lshlrev_b16_e32 v42, 8, v0
	v_and_b32_e32 v39, 0x3f00, v0
	v_add_u16_e32 v42, 0xe000, v42
	v_or_b32_sdwa v39, v39, v42 dst_sel:DWORD dst_unused:UNUSED_PAD src0_sel:DWORD src1_sel:BYTE_1
	v_and_b32_sdwa v42, v0, s16 dst_sel:DWORD dst_unused:UNUSED_PAD src0_sel:WORD_1 src1_sel:DWORD
	v_lshlrev_b16_sdwa v0, v199, v0 dst_sel:DWORD dst_unused:UNUSED_PAD src0_sel:DWORD src1_sel:WORD_1
	v_add_u16_e32 v0, 0xe000, v0
	v_or_b32_sdwa v0, v42, v0 dst_sel:DWORD dst_unused:UNUSED_PAD src0_sel:DWORD src1_sel:BYTE_1
	v_add_u16_e32 v39, 0xe000, v39
	v_add_u16_sdwa v0, v0, s17 dst_sel:WORD_1 dst_unused:UNUSED_PAD src0_sel:DWORD src1_sel:DWORD
	v_or_b32_e32 v42, v39, v0
	buffer_load_dword v0, off, s[24:27], 0 offset:104 ; 4-byte Folded Reload
	v_lshrrev_b32_e32 v1, 4, v46
	v_and_b32_e32 v1, 0xf0f0f0f, v1
	v_and_or_b32 v43, v38, s11, v1
	v_lshlrev_b16_e32 v45, 8, v43
	v_and_b32_e32 v44, 0x3f00, v43
	s_waitcnt vmcnt(0)
	v_mad_i64_i32 v[0:1], s[0:1], v0, s5, v[36:37]
	v_add_co_u32_e32 v38, vcc, v0, v135
	v_addc_co_u32_e32 v39, vcc, 0, v1, vcc
	v_add_co_u32_e32 v0, vcc, v0, v136
	v_addc_co_u32_e32 v1, vcc, 0, v1, vcc
	global_load_dword v46, v[38:39], off
	global_load_dword v47, v[0:1], off offset:128
	v_lshlrev_b16_sdwa v38, v199, v43 dst_sel:DWORD dst_unused:UNUSED_PAD src0_sel:DWORD src1_sel:WORD_1
	v_and_b32_sdwa v1, v43, s16 dst_sel:DWORD dst_unused:UNUSED_PAD src0_sel:WORD_1 src1_sel:DWORD
	v_add_u16_e32 v38, 0xe000, v38
	v_or_b32_sdwa v1, v1, v38 dst_sel:DWORD dst_unused:UNUSED_PAD src0_sel:DWORD src1_sel:BYTE_1
	buffer_load_dword v38, off, s[24:27], 0 offset:84 ; 4-byte Folded Reload
	buffer_load_dword v39, off, s[24:27], 0 offset:88 ; 4-byte Folded Reload
	v_add_u16_e32 v0, 0xe000, v45
	v_or_b32_sdwa v0, v44, v0 dst_sel:DWORD dst_unused:UNUSED_PAD src0_sel:DWORD src1_sel:BYTE_1
	v_add_u16_e32 v0, 0xe000, v0
	v_add_u16_sdwa v1, v1, s17 dst_sel:WORD_1 dst_unused:UNUSED_PAD src0_sel:DWORD src1_sel:DWORD
	v_or_b32_e32 v0, v0, v1
	v_lshrrev_b32_e32 v1, 4, v40
	s_waitcnt vmcnt(1)
	ds_write2_b32 v38, v42, v0 offset1:16
	v_and_b32_e32 v0, 0xf0f0f0f, v40
	v_and_b32_e32 v40, 0xf0f0f0f, v1
	v_lshlrev_b32_e32 v1, 4, v41
	v_and_or_b32 v42, v1, s11, v0
	buffer_load_dword v0, off, s[24:27], 0 offset:116 ; 4-byte Folded Reload
	v_lshlrev_b16_e32 v44, 8, v42
	v_and_b32_e32 v43, 0x3f00, v42
	s_waitcnt vmcnt(0)
	v_mad_i64_i32 v[0:1], s[0:1], v0, s5, v[36:37]
	v_add_co_u32_e32 v38, vcc, v0, v135
	v_addc_co_u32_e32 v39, vcc, 0, v1, vcc
	v_add_co_u32_e32 v0, vcc, v0, v136
	v_addc_co_u32_e32 v1, vcc, 0, v1, vcc
	global_load_dword v45, v[38:39], off
	global_load_dword v48, v[0:1], off offset:128
	v_lshlrev_b16_sdwa v38, v199, v42 dst_sel:DWORD dst_unused:UNUSED_PAD src0_sel:DWORD src1_sel:WORD_1
	v_add_u16_e32 v0, 0xe000, v44
	v_and_b32_sdwa v1, v42, s16 dst_sel:DWORD dst_unused:UNUSED_PAD src0_sel:WORD_1 src1_sel:DWORD
	v_add_u16_e32 v38, 0xe000, v38
	v_or_b32_sdwa v0, v43, v0 dst_sel:DWORD dst_unused:UNUSED_PAD src0_sel:DWORD src1_sel:BYTE_1
	v_or_b32_sdwa v1, v1, v38 dst_sel:DWORD dst_unused:UNUSED_PAD src0_sel:DWORD src1_sel:BYTE_1
	v_add_u16_e32 v0, 0xe000, v0
	v_add_u16_sdwa v1, v1, s17 dst_sel:WORD_1 dst_unused:UNUSED_PAD src0_sel:DWORD src1_sel:DWORD
	v_and_or_b32 v38, v41, s11, v40
	v_or_b32_e32 v42, v0, v1
	v_lshlrev_b16_e32 v1, 8, v38
	v_and_b32_e32 v0, 0x3f00, v38
	v_add_u16_e32 v1, 0xe000, v1
	v_or_b32_sdwa v0, v0, v1 dst_sel:DWORD dst_unused:UNUSED_PAD src0_sel:DWORD src1_sel:BYTE_1
	v_add_u16_e32 v40, 0xe000, v0
	buffer_load_dword v0, off, s[24:27], 0 offset:128 ; 4-byte Folded Reload
	v_and_b32_sdwa v41, v38, s16 dst_sel:DWORD dst_unused:UNUSED_PAD src0_sel:WORD_1 src1_sel:DWORD
	v_lshlrev_b16_sdwa v38, v199, v38 dst_sel:DWORD dst_unused:UNUSED_PAD src0_sel:DWORD src1_sel:WORD_1
	v_add_u16_e32 v43, 0xe000, v38
	s_waitcnt vmcnt(0)
	v_mad_i64_i32 v[0:1], s[0:1], v0, s5, v[36:37]
	v_add_co_u32_e32 v38, vcc, v0, v135
	v_addc_co_u32_e32 v39, vcc, 0, v1, vcc
	v_add_co_u32_e32 v0, vcc, v0, v136
	v_addc_co_u32_e32 v1, vcc, 0, v1, vcc
	global_load_dword v44, v[38:39], off
	global_load_dword v49, v[0:1], off offset:128
	v_or_b32_sdwa v0, v41, v43 dst_sel:DWORD dst_unused:UNUSED_PAD src0_sel:DWORD src1_sel:BYTE_1
	v_add_u16_sdwa v38, v0, s17 dst_sel:WORD_1 dst_unused:UNUSED_PAD src0_sel:DWORD src1_sel:DWORD
	buffer_load_dword v0, off, s[24:27], 0 offset:140 ; 4-byte Folded Reload
	v_or_b32_e32 v38, v40, v38
	buffer_load_dword v39, off, s[24:27], 0 offset:96 ; 4-byte Folded Reload
	buffer_load_dword v40, off, s[24:27], 0 offset:100 ; 4-byte Folded Reload
	s_waitcnt vmcnt(2)
	v_mad_i64_i32 v[0:1], s[0:1], v0, s5, v[36:37]
	s_waitcnt vmcnt(1)
	ds_write2_b32 v39, v42, v38 offset1:16
	v_add_co_u32_e32 v38, vcc, v0, v135
	v_addc_co_u32_e32 v39, vcc, 0, v1, vcc
	v_add_co_u32_e32 v0, vcc, v0, v136
	v_addc_co_u32_e32 v1, vcc, 0, v1, vcc
	global_load_dword v40, v[38:39], off
	global_load_dword v41, v[0:1], off offset:128
	v_ashrrev_i32_e32 v38, v137, v47
	v_and_b32_e32 v0, 0xf0f0f0f, v46
	v_lshlrev_b32_e32 v39, 4, v38
	v_and_or_b32 v0, v39, s11, v0
	v_lshlrev_b16_e32 v42, 8, v0
	v_and_b32_e32 v39, 0x3f00, v0
	v_add_u16_e32 v42, 0xe000, v42
	v_or_b32_sdwa v39, v39, v42 dst_sel:DWORD dst_unused:UNUSED_PAD src0_sel:DWORD src1_sel:BYTE_1
	v_and_b32_sdwa v42, v0, s16 dst_sel:DWORD dst_unused:UNUSED_PAD src0_sel:WORD_1 src1_sel:DWORD
	v_lshlrev_b16_sdwa v0, v199, v0 dst_sel:DWORD dst_unused:UNUSED_PAD src0_sel:DWORD src1_sel:WORD_1
	v_lshrrev_b32_e32 v1, 4, v46
	v_add_u16_e32 v0, 0xe000, v0
	v_and_b32_e32 v1, 0xf0f0f0f, v1
	v_or_b32_sdwa v0, v42, v0 dst_sel:DWORD dst_unused:UNUSED_PAD src0_sel:DWORD src1_sel:BYTE_1
	v_add_u16_e32 v39, 0xe000, v39
	v_add_u16_sdwa v0, v0, s17 dst_sel:WORD_1 dst_unused:UNUSED_PAD src0_sel:DWORD src1_sel:DWORD
	v_and_or_b32 v1, v38, s11, v1
	v_or_b32_e32 v0, v39, v0
	v_lshlrev_b16_e32 v39, 8, v1
	v_and_b32_e32 v38, 0x3f00, v1
	v_add_u16_e32 v39, 0xe000, v39
	v_or_b32_sdwa v38, v38, v39 dst_sel:DWORD dst_unused:UNUSED_PAD src0_sel:DWORD src1_sel:BYTE_1
	v_and_b32_sdwa v39, v1, s16 dst_sel:DWORD dst_unused:UNUSED_PAD src0_sel:WORD_1 src1_sel:DWORD
	v_lshlrev_b16_sdwa v1, v199, v1 dst_sel:DWORD dst_unused:UNUSED_PAD src0_sel:DWORD src1_sel:WORD_1
	v_add_u16_e32 v1, 0xe000, v1
	v_or_b32_sdwa v1, v39, v1 dst_sel:DWORD dst_unused:UNUSED_PAD src0_sel:DWORD src1_sel:BYTE_1
	v_add_u16_e32 v38, 0xe000, v38
	v_add_u16_sdwa v1, v1, s17 dst_sel:WORD_1 dst_unused:UNUSED_PAD src0_sel:DWORD src1_sel:DWORD
	v_or_b32_e32 v1, v38, v1
	buffer_load_dword v38, off, s[24:27], 0 offset:108 ; 4-byte Folded Reload
	buffer_load_dword v39, off, s[24:27], 0 offset:112 ; 4-byte Folded Reload
	s_waitcnt vmcnt(2)
	v_ashrrev_i32_e32 v41, v137, v41
	s_waitcnt vmcnt(1)
	ds_write2_b32 v38, v0, v1 offset1:16
	v_ashrrev_i32_e32 v38, v137, v48
	v_and_b32_e32 v0, 0xf0f0f0f, v45
	s_waitcnt vmcnt(0)
	v_lshlrev_b32_e32 v39, 4, v38
	v_and_or_b32 v0, v39, s11, v0
	v_lshlrev_b16_e32 v42, 8, v0
	v_and_b32_e32 v39, 0x3f00, v0
	v_add_u16_e32 v42, 0xe000, v42
	v_or_b32_sdwa v39, v39, v42 dst_sel:DWORD dst_unused:UNUSED_PAD src0_sel:DWORD src1_sel:BYTE_1
	v_and_b32_sdwa v42, v0, s16 dst_sel:DWORD dst_unused:UNUSED_PAD src0_sel:WORD_1 src1_sel:DWORD
	v_lshlrev_b16_sdwa v0, v199, v0 dst_sel:DWORD dst_unused:UNUSED_PAD src0_sel:DWORD src1_sel:WORD_1
	v_lshrrev_b32_e32 v1, 4, v45
	v_add_u16_e32 v0, 0xe000, v0
	v_and_b32_e32 v1, 0xf0f0f0f, v1
	v_or_b32_sdwa v0, v42, v0 dst_sel:DWORD dst_unused:UNUSED_PAD src0_sel:DWORD src1_sel:BYTE_1
	v_add_u16_e32 v39, 0xe000, v39
	v_add_u16_sdwa v0, v0, s17 dst_sel:WORD_1 dst_unused:UNUSED_PAD src0_sel:DWORD src1_sel:DWORD
	v_and_or_b32 v1, v38, s11, v1
	v_or_b32_e32 v0, v39, v0
	v_lshlrev_b16_e32 v39, 8, v1
	v_and_b32_e32 v38, 0x3f00, v1
	v_add_u16_e32 v39, 0xe000, v39
	v_or_b32_sdwa v38, v38, v39 dst_sel:DWORD dst_unused:UNUSED_PAD src0_sel:DWORD src1_sel:BYTE_1
	v_and_b32_sdwa v39, v1, s16 dst_sel:DWORD dst_unused:UNUSED_PAD src0_sel:WORD_1 src1_sel:DWORD
	v_lshlrev_b16_sdwa v1, v199, v1 dst_sel:DWORD dst_unused:UNUSED_PAD src0_sel:DWORD src1_sel:WORD_1
	v_add_u16_e32 v1, 0xe000, v1
	v_or_b32_sdwa v1, v39, v1 dst_sel:DWORD dst_unused:UNUSED_PAD src0_sel:DWORD src1_sel:BYTE_1
	v_add_u16_e32 v38, 0xe000, v38
	v_add_u16_sdwa v1, v1, s17 dst_sel:WORD_1 dst_unused:UNUSED_PAD src0_sel:DWORD src1_sel:DWORD
	v_or_b32_e32 v1, v38, v1
	buffer_load_dword v38, off, s[24:27], 0 offset:120 ; 4-byte Folded Reload
	buffer_load_dword v39, off, s[24:27], 0 offset:124 ; 4-byte Folded Reload
	s_waitcnt vmcnt(1)
	ds_write2_b32 v38, v0, v1 offset1:16
	v_ashrrev_i32_e32 v38, v137, v49
	v_and_b32_e32 v0, 0xf0f0f0f, v44
	s_waitcnt vmcnt(0)
	v_lshlrev_b32_e32 v39, 4, v38
	v_and_or_b32 v0, v39, s11, v0
	v_lshlrev_b16_e32 v42, 8, v0
	v_and_b32_e32 v39, 0x3f00, v0
	v_add_u16_e32 v42, 0xe000, v42
	v_or_b32_sdwa v39, v39, v42 dst_sel:DWORD dst_unused:UNUSED_PAD src0_sel:DWORD src1_sel:BYTE_1
	v_and_b32_sdwa v42, v0, s16 dst_sel:DWORD dst_unused:UNUSED_PAD src0_sel:WORD_1 src1_sel:DWORD
	v_lshlrev_b16_sdwa v0, v199, v0 dst_sel:DWORD dst_unused:UNUSED_PAD src0_sel:DWORD src1_sel:WORD_1
	v_add_u16_e32 v0, 0xe000, v0
	v_or_b32_sdwa v0, v42, v0 dst_sel:DWORD dst_unused:UNUSED_PAD src0_sel:DWORD src1_sel:BYTE_1
	v_add_u16_e32 v39, 0xe000, v39
	v_add_u16_sdwa v0, v0, s17 dst_sel:WORD_1 dst_unused:UNUSED_PAD src0_sel:DWORD src1_sel:DWORD
	v_or_b32_e32 v42, v39, v0
	buffer_load_dword v0, off, s[24:27], 0 offset:152 ; 4-byte Folded Reload
	v_lshrrev_b32_e32 v1, 4, v44
	v_and_b32_e32 v1, 0xf0f0f0f, v1
	v_and_or_b32 v43, v38, s11, v1
	v_lshlrev_b16_e32 v45, 8, v43
	v_and_b32_e32 v44, 0x3f00, v43
	s_waitcnt vmcnt(0)
	v_mad_i64_i32 v[0:1], s[0:1], v0, s5, v[36:37]
	v_add_co_u32_e32 v38, vcc, v0, v135
	v_addc_co_u32_e32 v39, vcc, 0, v1, vcc
	v_add_co_u32_e32 v0, vcc, v0, v136
	v_addc_co_u32_e32 v1, vcc, 0, v1, vcc
	global_load_dword v46, v[38:39], off
	global_load_dword v47, v[0:1], off offset:128
	v_lshlrev_b16_sdwa v38, v199, v43 dst_sel:DWORD dst_unused:UNUSED_PAD src0_sel:DWORD src1_sel:WORD_1
	v_and_b32_sdwa v1, v43, s16 dst_sel:DWORD dst_unused:UNUSED_PAD src0_sel:WORD_1 src1_sel:DWORD
	v_add_u16_e32 v38, 0xe000, v38
	v_or_b32_sdwa v1, v1, v38 dst_sel:DWORD dst_unused:UNUSED_PAD src0_sel:DWORD src1_sel:BYTE_1
	buffer_load_dword v38, off, s[24:27], 0 offset:132 ; 4-byte Folded Reload
	buffer_load_dword v39, off, s[24:27], 0 offset:136 ; 4-byte Folded Reload
	v_add_u16_e32 v0, 0xe000, v45
	v_or_b32_sdwa v0, v44, v0 dst_sel:DWORD dst_unused:UNUSED_PAD src0_sel:DWORD src1_sel:BYTE_1
	v_add_u16_e32 v0, 0xe000, v0
	v_add_u16_sdwa v1, v1, s17 dst_sel:WORD_1 dst_unused:UNUSED_PAD src0_sel:DWORD src1_sel:DWORD
	v_or_b32_e32 v0, v0, v1
	v_lshrrev_b32_e32 v1, 4, v40
	s_waitcnt vmcnt(1)
	ds_write2_b32 v38, v42, v0 offset1:16
	v_and_b32_e32 v0, 0xf0f0f0f, v40
	v_and_b32_e32 v40, 0xf0f0f0f, v1
	v_lshlrev_b32_e32 v1, 4, v41
	v_and_or_b32 v42, v1, s11, v0
	buffer_load_dword v0, off, s[24:27], 0 offset:164 ; 4-byte Folded Reload
	v_lshlrev_b16_e32 v44, 8, v42
	v_and_b32_e32 v43, 0x3f00, v42
	s_waitcnt vmcnt(0)
	v_mad_i64_i32 v[0:1], s[0:1], v0, s5, v[36:37]
	v_add_co_u32_e32 v38, vcc, v0, v135
	v_addc_co_u32_e32 v39, vcc, 0, v1, vcc
	v_add_co_u32_e32 v0, vcc, v0, v136
	v_addc_co_u32_e32 v1, vcc, 0, v1, vcc
	global_load_dword v45, v[38:39], off
	global_load_dword v48, v[0:1], off offset:128
	v_lshlrev_b16_sdwa v38, v199, v42 dst_sel:DWORD dst_unused:UNUSED_PAD src0_sel:DWORD src1_sel:WORD_1
	v_add_u16_e32 v0, 0xe000, v44
	v_and_b32_sdwa v1, v42, s16 dst_sel:DWORD dst_unused:UNUSED_PAD src0_sel:WORD_1 src1_sel:DWORD
	v_add_u16_e32 v38, 0xe000, v38
	v_or_b32_sdwa v0, v43, v0 dst_sel:DWORD dst_unused:UNUSED_PAD src0_sel:DWORD src1_sel:BYTE_1
	v_or_b32_sdwa v1, v1, v38 dst_sel:DWORD dst_unused:UNUSED_PAD src0_sel:DWORD src1_sel:BYTE_1
	v_add_u16_e32 v0, 0xe000, v0
	v_add_u16_sdwa v1, v1, s17 dst_sel:WORD_1 dst_unused:UNUSED_PAD src0_sel:DWORD src1_sel:DWORD
	v_or_b32_e32 v38, v0, v1
	v_and_or_b32 v0, v41, s11, v40
	v_lshlrev_b16_e32 v39, 8, v0
	v_and_b32_e32 v1, 0x3f00, v0
	v_add_u16_e32 v39, 0xe000, v39
	v_or_b32_sdwa v1, v1, v39 dst_sel:DWORD dst_unused:UNUSED_PAD src0_sel:DWORD src1_sel:BYTE_1
	v_add_u16_e32 v39, 0xe000, v1
	v_and_b32_sdwa v1, v0, s16 dst_sel:DWORD dst_unused:UNUSED_PAD src0_sel:WORD_1 src1_sel:DWORD
	v_lshlrev_b16_sdwa v0, v199, v0 dst_sel:DWORD dst_unused:UNUSED_PAD src0_sel:DWORD src1_sel:WORD_1
	v_add_u16_e32 v0, 0xe000, v0
	v_or_b32_sdwa v0, v1, v0 dst_sel:DWORD dst_unused:UNUSED_PAD src0_sel:DWORD src1_sel:BYTE_1
	v_add_u16_sdwa v40, v0, s17 dst_sel:WORD_1 dst_unused:UNUSED_PAD src0_sel:DWORD src1_sel:DWORD
	buffer_load_dword v0, off, s[24:27], 0 offset:176 ; 4-byte Folded Reload
	v_or_b32_e32 v39, v39, v40
	buffer_load_dword v40, off, s[24:27], 0 offset:144 ; 4-byte Folded Reload
	buffer_load_dword v41, off, s[24:27], 0 offset:148 ; 4-byte Folded Reload
	s_waitcnt vmcnt(2)
	v_mad_i64_i32 v[0:1], s[0:1], v0, s5, v[36:37]
	s_waitcnt vmcnt(1)
	ds_write2_b32 v40, v38, v39 offset1:16
	buffer_load_dword v40, off, s[24:27], 0 offset:188 ; 4-byte Folded Reload
	v_add_co_u32_e32 v38, vcc, v0, v135
	v_addc_co_u32_e32 v39, vcc, 0, v1, vcc
	v_add_co_u32_e32 v0, vcc, v0, v136
	v_addc_co_u32_e32 v1, vcc, 0, v1, vcc
	s_waitcnt vmcnt(0)
	v_mad_i64_i32 v[36:37], s[0:1], v40, s5, v[36:37]
	v_add_co_u32_e32 v40, vcc, v36, v135
	v_addc_co_u32_e32 v41, vcc, 0, v37, vcc
	v_add_co_u32_e32 v36, vcc, v36, v136
	v_addc_co_u32_e32 v37, vcc, 0, v37, vcc
	global_load_dword v42, v[38:39], off
	global_load_dword v43, v[0:1], off offset:128
	global_load_dword v44, v[40:41], off
	global_load_dword v49, v[36:37], off offset:128
	v_ashrrev_i32_e32 v36, v137, v47
	v_and_b32_e32 v0, 0xf0f0f0f, v46
	v_lshlrev_b32_e32 v37, 4, v36
	v_and_or_b32 v0, v37, s11, v0
	v_lshlrev_b16_e32 v38, 8, v0
	v_and_b32_e32 v37, 0x3f00, v0
	v_add_u16_e32 v38, 0xe000, v38
	v_or_b32_sdwa v37, v37, v38 dst_sel:DWORD dst_unused:UNUSED_PAD src0_sel:DWORD src1_sel:BYTE_1
	v_and_b32_sdwa v38, v0, s16 dst_sel:DWORD dst_unused:UNUSED_PAD src0_sel:WORD_1 src1_sel:DWORD
	v_lshlrev_b16_sdwa v0, v199, v0 dst_sel:DWORD dst_unused:UNUSED_PAD src0_sel:DWORD src1_sel:WORD_1
	v_lshrrev_b32_e32 v1, 4, v46
	v_add_u16_e32 v0, 0xe000, v0
	v_and_b32_e32 v1, 0xf0f0f0f, v1
	v_or_b32_sdwa v0, v38, v0 dst_sel:DWORD dst_unused:UNUSED_PAD src0_sel:DWORD src1_sel:BYTE_1
	v_add_u16_e32 v37, 0xe000, v37
	v_add_u16_sdwa v0, v0, s17 dst_sel:WORD_1 dst_unused:UNUSED_PAD src0_sel:DWORD src1_sel:DWORD
	v_and_or_b32 v1, v36, s11, v1
	v_or_b32_e32 v0, v37, v0
	v_lshlrev_b16_e32 v37, 8, v1
	v_and_b32_e32 v36, 0x3f00, v1
	v_add_u16_e32 v37, 0xe000, v37
	v_or_b32_sdwa v36, v36, v37 dst_sel:DWORD dst_unused:UNUSED_PAD src0_sel:DWORD src1_sel:BYTE_1
	v_and_b32_sdwa v37, v1, s16 dst_sel:DWORD dst_unused:UNUSED_PAD src0_sel:WORD_1 src1_sel:DWORD
	v_lshlrev_b16_sdwa v1, v199, v1 dst_sel:DWORD dst_unused:UNUSED_PAD src0_sel:DWORD src1_sel:WORD_1
	v_add_u16_e32 v1, 0xe000, v1
	v_or_b32_sdwa v1, v37, v1 dst_sel:DWORD dst_unused:UNUSED_PAD src0_sel:DWORD src1_sel:BYTE_1
	v_add_u16_e32 v36, 0xe000, v36
	v_add_u16_sdwa v1, v1, s17 dst_sel:WORD_1 dst_unused:UNUSED_PAD src0_sel:DWORD src1_sel:DWORD
	v_or_b32_e32 v1, v36, v1
	buffer_load_dword v36, off, s[24:27], 0 offset:156 ; 4-byte Folded Reload
	buffer_load_dword v37, off, s[24:27], 0 offset:160 ; 4-byte Folded Reload
	s_waitcnt vmcnt(1)
	ds_write2_b32 v36, v0, v1 offset1:16
	v_ashrrev_i32_e32 v36, v137, v48
	v_and_b32_e32 v0, 0xf0f0f0f, v45
	s_waitcnt vmcnt(0)
	v_lshlrev_b32_e32 v37, 4, v36
	v_and_or_b32 v0, v37, s11, v0
	v_lshlrev_b16_e32 v38, 8, v0
	v_and_b32_e32 v37, 0x3f00, v0
	v_add_u16_e32 v38, 0xe000, v38
	v_lshrrev_b32_e32 v1, 4, v45
	v_or_b32_sdwa v37, v37, v38 dst_sel:DWORD dst_unused:UNUSED_PAD src0_sel:DWORD src1_sel:BYTE_1
	v_and_b32_sdwa v38, v0, s16 dst_sel:DWORD dst_unused:UNUSED_PAD src0_sel:WORD_1 src1_sel:DWORD
	v_lshlrev_b16_sdwa v0, v199, v0 dst_sel:DWORD dst_unused:UNUSED_PAD src0_sel:DWORD src1_sel:WORD_1
	v_and_b32_e32 v1, 0xf0f0f0f, v1
	v_add_u16_e32 v0, 0xe000, v0
	v_or_b32_sdwa v0, v38, v0 dst_sel:DWORD dst_unused:UNUSED_PAD src0_sel:DWORD src1_sel:BYTE_1
	v_and_or_b32 v46, v36, s11, v1
	v_add_u16_e32 v37, 0xe000, v37
	v_add_u16_sdwa v0, v0, s17 dst_sel:WORD_1 dst_unused:UNUSED_PAD src0_sel:DWORD src1_sel:DWORD
	v_lshlrev_b16_e32 v1, 8, v46
	v_or_b32_e32 v45, v37, v0
	v_and_b32_e32 v0, 0x3f00, v46
	v_add_u16_e32 v1, 0xe000, v1
	v_or_b32_sdwa v0, v0, v1 dst_sel:DWORD dst_unused:UNUSED_PAD src0_sel:DWORD src1_sel:BYTE_1
	v_add_u16_e32 v47, 0xe000, v0
	buffer_load_dword v0, off, s[24:27], 0 offset:200 ; 4-byte Folded Reload
	buffer_load_dword v36, off, s[24:27], 0 offset:208 ; 4-byte Folded Reload
	;; [unrolled: 1-line block ×3, first 2 shown]
	s_waitcnt vmcnt(2)
	v_mad_i64_i32 v[0:1], s[0:1], v0, s5, v[34:35]
	s_waitcnt vmcnt(1)
	v_mad_i64_i32 v[36:37], s[0:1], v36, s5, v[34:35]
	;; [unrolled: 2-line block ×3, first 2 shown]
	v_add_co_u32_e32 v36, vcc, v36, v157
	v_addc_co_u32_e32 v37, vcc, 0, v37, vcc
	v_add_co_u32_e32 v34, vcc, v34, v157
	v_addc_co_u32_e32 v35, vcc, 0, v35, vcc
	global_load_ushort v48, v[0:1], off offset:208
	global_load_dword v50, v[36:37], off offset:192
	global_load_dword v51, v[34:35], off offset:192
	s_nop 0
	buffer_load_dword v0, off, s[24:27], 0 offset:216 ; 4-byte Folded Reload
	buffer_load_dword v1, off, s[24:27], 0 offset:220 ; 4-byte Folded Reload
	buffer_load_dword v40, off, s[24:27], 0 ; 4-byte Folded Reload
	v_add_u32_e32 v34, v52, v163
	v_mad_i64_i32 v[34:35], s[0:1], v34, 36, v[67:68]
	v_add_u32_e32 v36, v52, v189
	v_mad_i64_i32 v[36:37], s[0:1], v36, 36, v[67:68]
	;; [unrolled: 2-line block ×3, first 2 shown]
	s_waitcnt vmcnt(2)
	v_add_u32_e32 v208, s18, v0
	v_add_u32_e32 v0, v52, v161
	s_waitcnt vmcnt(1)
	v_mad_i64_i32 v[0:1], s[0:1], v0, 36, v[67:68]
	s_waitcnt vmcnt(0)
	v_add_u32_e32 v40, v52, v40
	v_mad_i64_i32 v[40:41], s[0:1], v40, 36, v[67:68]
	global_load_dword v53, v[0:1], off offset:4
	global_load_dword v54, v[34:35], off offset:4
	;; [unrolled: 1-line block ×4, first 2 shown]
	s_nop 0
	global_load_dword v40, v[40:41], off offset:4
	v_add_u32_e32 v0, v52, v168
	v_mad_u64_u32 v[36:37], s[0:1], v208, 36, s[2:3]
	v_mad_i64_i32 v[0:1], s[0:1], v0, 36, v[67:68]
	v_add_u32_e32 v34, v52, v169
	v_mad_i64_i32 v[34:35], s[0:1], v34, 36, v[67:68]
	v_add_u32_e32 v38, v52, v170
	v_mad_i64_i32 v[38:39], s[0:1], v38, 36, v[67:68]
	global_load_dword v36, v[36:37], off
	s_nop 0
	global_load_dword v0, v[0:1], off offset:4
	s_nop 0
	global_load_dword v1, v[34:35], off offset:4
	;; [unrolled: 2-line block ×3, first 2 shown]
	v_lshlrev_b16_sdwa v37, v199, v46 dst_sel:DWORD dst_unused:UNUSED_PAD src0_sel:DWORD src1_sel:WORD_1
	v_and_b32_sdwa v35, v46, s16 dst_sel:DWORD dst_unused:UNUSED_PAD src0_sel:WORD_1 src1_sel:DWORD
	v_add_u16_e32 v37, 0xe000, v37
	v_or_b32_sdwa v35, v35, v37 dst_sel:DWORD dst_unused:UNUSED_PAD src0_sel:DWORD src1_sel:BYTE_1
	buffer_load_dword v37, off, s[24:27], 0 offset:168 ; 4-byte Folded Reload
	buffer_load_dword v38, off, s[24:27], 0 offset:172 ; 4-byte Folded Reload
	v_add_u16_sdwa v35, v35, s17 dst_sel:WORD_1 dst_unused:UNUSED_PAD src0_sel:DWORD src1_sel:DWORD
	v_or_b32_e32 v35, v47, v35
	s_waitcnt vmcnt(0)
	v_ashrrev_i32_e32 v38, v137, v43
	v_lshlrev_b32_e32 v39, 4, v38
	s_mov_b64 s[0:1], -1
	ds_write2_b32 v37, v45, v35 offset1:16
	v_and_b32_e32 v35, 0xf0f0f0f, v42
	v_and_or_b32 v35, v39, s11, v35
	v_lshlrev_b16_e32 v41, 8, v35
	v_and_b32_e32 v39, 0x3f00, v35
	v_add_u16_e32 v41, 0xe000, v41
	v_or_b32_sdwa v39, v39, v41 dst_sel:DWORD dst_unused:UNUSED_PAD src0_sel:DWORD src1_sel:BYTE_1
	v_and_b32_sdwa v41, v35, s16 dst_sel:DWORD dst_unused:UNUSED_PAD src0_sel:WORD_1 src1_sel:DWORD
	v_lshlrev_b16_sdwa v35, v199, v35 dst_sel:DWORD dst_unused:UNUSED_PAD src0_sel:DWORD src1_sel:WORD_1
	v_lshrrev_b32_e32 v37, 4, v42
	v_add_u16_e32 v35, 0xe000, v35
	v_and_b32_e32 v37, 0xf0f0f0f, v37
	v_or_b32_sdwa v35, v41, v35 dst_sel:DWORD dst_unused:UNUSED_PAD src0_sel:DWORD src1_sel:BYTE_1
	v_add_u16_e32 v39, 0xe000, v39
	v_add_u16_sdwa v35, v35, s17 dst_sel:WORD_1 dst_unused:UNUSED_PAD src0_sel:DWORD src1_sel:DWORD
	v_and_or_b32 v37, v38, s11, v37
	v_or_b32_e32 v35, v39, v35
	v_lshlrev_b16_e32 v39, 8, v37
	v_and_b32_e32 v38, 0x3f00, v37
	v_add_u16_e32 v39, 0xe000, v39
	v_or_b32_sdwa v38, v38, v39 dst_sel:DWORD dst_unused:UNUSED_PAD src0_sel:DWORD src1_sel:BYTE_1
	v_and_b32_sdwa v39, v37, s16 dst_sel:DWORD dst_unused:UNUSED_PAD src0_sel:WORD_1 src1_sel:DWORD
	v_lshlrev_b16_sdwa v37, v199, v37 dst_sel:DWORD dst_unused:UNUSED_PAD src0_sel:DWORD src1_sel:WORD_1
	v_add_u16_e32 v37, 0xe000, v37
	v_or_b32_sdwa v37, v39, v37 dst_sel:DWORD dst_unused:UNUSED_PAD src0_sel:DWORD src1_sel:BYTE_1
	v_add_u16_e32 v38, 0xe000, v38
	v_add_u16_sdwa v37, v37, s17 dst_sel:WORD_1 dst_unused:UNUSED_PAD src0_sel:DWORD src1_sel:DWORD
	v_or_b32_e32 v37, v38, v37
	buffer_load_dword v38, off, s[24:27], 0 offset:180 ; 4-byte Folded Reload
	buffer_load_dword v39, off, s[24:27], 0 offset:184 ; 4-byte Folded Reload
	s_waitcnt vmcnt(1)
	ds_write2_b32 v38, v35, v37 offset1:16
	v_ashrrev_i32_e32 v38, v137, v49
	v_and_b32_e32 v35, 0xf0f0f0f, v44
	s_waitcnt vmcnt(0)
	v_lshlrev_b32_e32 v39, 4, v38
	v_and_or_b32 v35, v39, s11, v35
	v_lshlrev_b16_e32 v41, 8, v35
	v_and_b32_e32 v39, 0x3f00, v35
	v_add_u16_e32 v41, 0xe000, v41
	v_or_b32_sdwa v39, v39, v41 dst_sel:DWORD dst_unused:UNUSED_PAD src0_sel:DWORD src1_sel:BYTE_1
	v_and_b32_sdwa v41, v35, s16 dst_sel:DWORD dst_unused:UNUSED_PAD src0_sel:WORD_1 src1_sel:DWORD
	v_lshlrev_b16_sdwa v35, v199, v35 dst_sel:DWORD dst_unused:UNUSED_PAD src0_sel:DWORD src1_sel:WORD_1
	v_add_u16_e32 v35, 0xe000, v35
	v_or_b32_sdwa v35, v41, v35 dst_sel:DWORD dst_unused:UNUSED_PAD src0_sel:DWORD src1_sel:BYTE_1
	buffer_load_dword v41, off, s[24:27], 0 offset:192 ; 4-byte Folded Reload
	buffer_load_dword v42, off, s[24:27], 0 offset:196 ; 4-byte Folded Reload
	v_lshrrev_b32_e32 v37, 4, v44
	v_and_b32_e32 v37, 0xf0f0f0f, v37
	v_add_u16_e32 v39, 0xe000, v39
	v_add_u16_sdwa v35, v35, s17 dst_sel:WORD_1 dst_unused:UNUSED_PAD src0_sel:DWORD src1_sel:DWORD
	v_and_or_b32 v37, v38, s11, v37
	v_or_b32_e32 v35, v39, v35
	v_lshlrev_b16_e32 v39, 8, v37
	v_and_b32_e32 v38, 0x3f00, v37
	v_add_u16_e32 v39, 0xe000, v39
	v_or_b32_sdwa v38, v38, v39 dst_sel:DWORD dst_unused:UNUSED_PAD src0_sel:DWORD src1_sel:BYTE_1
	v_and_b32_sdwa v39, v37, s16 dst_sel:DWORD dst_unused:UNUSED_PAD src0_sel:WORD_1 src1_sel:DWORD
	v_lshlrev_b16_sdwa v37, v199, v37 dst_sel:DWORD dst_unused:UNUSED_PAD src0_sel:DWORD src1_sel:WORD_1
	v_add_u16_e32 v37, 0xe000, v37
	v_or_b32_sdwa v37, v39, v37 dst_sel:DWORD dst_unused:UNUSED_PAD src0_sel:DWORD src1_sel:BYTE_1
	v_add_u16_e32 v38, 0xe000, v38
	v_add_u16_sdwa v37, v37, s17 dst_sel:WORD_1 dst_unused:UNUSED_PAD src0_sel:DWORD src1_sel:DWORD
	v_or_b32_e32 v37, v38, v37
	v_cvt_f32_f16_e32 v39, v48
	s_waitcnt vmcnt(1)
	ds_write2_b32 v41, v35, v37 offset1:16
	buffer_load_dword v35, off, s[24:27], 0 offset:204 ; 4-byte Folded Reload
	s_waitcnt vmcnt(0)
	ds_write_b32 v35, v39
	buffer_load_dword v35, off, s[24:27], 0 offset:224 ; 4-byte Folded Reload
	s_waitcnt vmcnt(0)
	ds_write_b32 v35, v50
	;; [unrolled: 3-line block ×3, first 2 shown]
	ds_write_b32 v191, v53
	ds_write_b32 v192, v54
	;; [unrolled: 1-line block ×5, first 2 shown]
	v_cvt_f32_f16_e32 v35, v36
	ds_write_b32 v196, v0
	ds_write_b32 v197, v1
	;; [unrolled: 1-line block ×4, first 2 shown]
	s_waitcnt lgkmcnt(0)
	s_barrier
	ds_read_b32 v209, v171
	ds_read_b32 v210, v173 offset:128
	ds_read_b32 v211, v175 offset:256
	;; [unrolled: 1-line block ×3, first 2 shown]
	s_waitcnt lgkmcnt(3)
	v_mov_b32_e32 v213, v209
	v_mov_b32_e32 v214, v209
	v_mov_b32_e32 v215, v209
	s_waitcnt lgkmcnt(2)
	v_mov_b32_e32 v216, v210
	v_mov_b32_e32 v217, v210
	v_mov_b32_e32 v218, v210
	;; [unrolled: 4-line block ×4, first 2 shown]
.LBB176_6:                              ;   Parent Loop BB176_5 Depth=1
                                        ; =>  This Inner Loop Header: Depth=2
	s_lshl_b32 s19, s20, 1
	v_or_b32_e32 v0, s19, v154
	s_lshr_b32 s21, s20, 1
	s_lshl_b32 s20, s20, 3
	v_lshlrev_b32_e32 v1, 2, v0
	v_lshrrev_b32_e32 v34, 1, v0
	v_add_u32_e32 v0, s20, v185
	v_add_u32_e32 v35, s20, v186
	;; [unrolled: 1-line block ×4, first 2 shown]
	ds_read_b128 v[52:55], v1 offset:33280
	ds_read_b128 v[56:59], v1 offset:33296
	;; [unrolled: 1-line block ×4, first 2 shown]
	ds_read2_b32 v[119:120], v0 offset0:6 offset1:7
	ds_read2_b32 v[123:124], v0 offset0:4 offset1:5
	ds_read2_b32 v[117:118], v0 offset0:2 offset1:3
	ds_read2_b32 v[121:122], v0 offset1:1
	ds_read2_b32 v[125:126], v0 offset0:14 offset1:15
	ds_read2_b32 v[129:130], v0 offset0:12 offset1:13
	ds_read2_b32 v[127:128], v0 offset0:10 offset1:11
	ds_read2_b32 v[131:132], v0 offset0:8 offset1:9
	ds_read2_b32 v[103:104], v35 offset0:6 offset1:7
	ds_read2_b32 v[107:108], v35 offset0:4 offset1:5
	ds_read2_b32 v[101:102], v35 offset0:2 offset1:3
	ds_read2_b32 v[105:106], v35 offset1:1
	ds_read2_b32 v[109:110], v35 offset0:14 offset1:15
	ds_read2_b32 v[113:114], v35 offset0:12 offset1:13
	ds_read2_b32 v[111:112], v35 offset0:10 offset1:11
	ds_read2_b32 v[115:116], v35 offset0:8 offset1:9
	;; [unrolled: 8-line block ×3, first 2 shown]
	ds_read2_b32 v[71:72], v50 offset0:6 offset1:7
	ds_read2_b32 v[75:76], v50 offset0:4 offset1:5
	;; [unrolled: 1-line block ×3, first 2 shown]
	ds_read2_b32 v[73:74], v50 offset1:1
	ds_read2_b32 v[77:78], v50 offset0:14 offset1:15
	ds_read2_b32 v[83:84], v50 offset0:12 offset1:13
	s_waitcnt lgkmcnt(14)
	v_dot4_i32_i8 v1, v129, v79, 0
	v_dot4_i32_i8 v37, v113, v79, 0
	s_waitcnt lgkmcnt(8)
	v_dot4_i32_i8 v43, v97, v79, 0
	v_dot4_i32_i8 v1, v130, v80, v1
	;; [unrolled: 3-line block ×3, first 2 shown]
	v_dot4_i32_i8 v43, v98, v80, v43
	v_dot4_i32_i8 v48, v84, v80, v48
	;; [unrolled: 1-line block ×16, first 2 shown]
	ds_read2_b32 v[79:80], v50 offset0:10 offset1:11
	ds_read2_b32 v[81:82], v50 offset0:8 offset1:9
	v_dot4_i32_i8 v0, v127, v140, v0
	v_dot4_i32_i8 v35, v111, v140, v35
	;; [unrolled: 1-line block ×21, first 2 shown]
	s_waitcnt lgkmcnt(0)
	v_dot4_i32_i8 v50, v81, v138, 0
	v_dot4_i32_i8 v52, v73, v52, 0
	;; [unrolled: 1-line block ×7, first 2 shown]
	v_or_b32_e32 v53, s19, v178
	v_dot4_i32_i8 v0, v117, v54, v0
	v_dot4_i32_i8 v35, v101, v54, v35
	;; [unrolled: 1-line block ×5, first 2 shown]
	v_lshlrev_b32_e32 v54, 2, v53
	v_dot4_i32_i8 v42, v118, v55, v0
	v_dot4_i32_i8 v46, v102, v55, v35
	;; [unrolled: 1-line block ×6, first 2 shown]
	v_lshrrev_b32_e32 v61, 1, v53
	ds_read_b128 v[138:141], v54 offset:33280
	ds_read_b128 v[142:145], v54 offset:33296
	;; [unrolled: 1-line block ×4, first 2 shown]
	v_dot4_i32_i8 v51, v76, v57, v51
	v_dot4_i32_i8 v51, v71, v58, v51
	;; [unrolled: 1-line block ×3, first 2 shown]
	s_waitcnt lgkmcnt(2)
	v_dot4_i32_i8 v59, v91, v142, 0
	s_waitcnt lgkmcnt(0)
	v_dot4_i32_i8 v57, v129, v53, 0
	v_dot4_i32_i8 v57, v130, v54, v57
	;; [unrolled: 1-line block ×55, first 2 shown]
	v_or_b32_e32 v133, s19, v179
	v_dot4_i32_i8 v58, v95, v148, v58
	v_dot4_i32_i8 v59, v85, v140, v59
	;; [unrolled: 1-line block ×4, first 2 shown]
	v_lshlrev_b32_e32 v134, 2, v133
	v_dot4_i32_i8 v58, v96, v149, v58
	v_dot4_i32_i8 v59, v86, v141, v59
	;; [unrolled: 1-line block ×4, first 2 shown]
	ds_read_b128 v[138:141], v134 offset:33280
	ds_read_b128 v[142:145], v134 offset:33296
	;; [unrolled: 1-line block ×4, first 2 shown]
	v_lshrrev_b32_e32 v230, 1, v133
	s_add_i32 s21, s21, 0xa200
	v_lshlrev_b32_e32 v203, 2, v162
	v_lshlrev_b32_e32 v204, 2, v160
	s_waitcnt lgkmcnt(0)
	v_dot4_i32_i8 v133, v129, v225, 0
	v_dot4_i32_i8 v133, v130, v226, v133
	;; [unrolled: 1-line block ×64, first 2 shown]
	v_or_b32_e32 v133, s19, v180
	v_lshlrev_b32_e32 v134, 2, v133
	v_add3_u32 v40, s21, v203, v204
	v_lshrrev_b32_e32 v241, 1, v133
	ds_read_b128 v[138:141], v134 offset:33280
	ds_read_b128 v[142:145], v134 offset:33296
	;; [unrolled: 1-line block ×4, first 2 shown]
	ds_read_b64 v[133:134], v34 offset:43584
	ds_read_b32 v34, v40
	ds_read_b64 v[237:238], v61 offset:43584
	ds_read_b64 v[239:240], v230 offset:43584
	;; [unrolled: 1-line block ×3, first 2 shown]
	v_lshlrev_b32_e32 v205, 2, v172
	v_lshlrev_b32_e32 v206, 2, v174
	;; [unrolled: 1-line block ×3, first 2 shown]
	s_waitcnt lgkmcnt(3)
	v_bfe_i32 v251, v34, 0, 8
	v_bfe_i32 v252, v34, 8, 8
	v_ashrrev_i32_e32 v249, 24, v34
	v_bfe_i32 v250, v34, 16, 8
	v_dot4_i32_i8 v34, v129, v225, 0
	v_dot4_i32_i8 v34, v130, v226, v34
	;; [unrolled: 1-line block ×12, first 2 shown]
	v_mul_lo_u32 v40, v42, v251
	v_mul_lo_u32 v42, v61, v252
	;; [unrolled: 1-line block ×4, first 2 shown]
	v_dot4_i32_i8 v229, v121, v138, 0
	v_dot4_i32_i8 v229, v122, v139, v229
	;; [unrolled: 1-line block ×3, first 2 shown]
	v_add3_u32 v0, s21, v205, v200
	v_add3_u32 v35, s21, v206, v201
	;; [unrolled: 1-line block ×3, first 2 shown]
	v_dot4_i32_i8 v232, v118, v141, v229
	v_mad_u64_u32 v[229:230], s[20:21], v231, v252, v[61:62]
	v_mad_u64_u32 v[230:231], s[20:21], v232, v251, v[42:43]
	;; [unrolled: 1-line block ×4, first 2 shown]
	v_cvt_f32_i32_e32 v40, v230
	v_cvt_f32_i32_e32 v38, v231
	;; [unrolled: 1-line block ×3, first 2 shown]
	v_mul_lo_u32 v36, v36, v250
	s_waitcnt lgkmcnt(0)
	v_fma_f32 v61, v241, v40, 0
	v_mul_lo_u32 v40, v150, v249
	v_fma_f32 v158, v133, v38, 0
	v_mul_lo_u32 v38, v155, v249
	;; [unrolled: 2-line block ×3, first 2 shown]
	v_cvt_f32_i32_e32 v42, v229
	v_mad_u64_u32 v[229:230], s[20:21], v234, v250, v[40:41]
	v_mad_u64_u32 v[230:231], s[20:21], v1, v249, v[36:37]
	v_mad_u64_u32 v[231:232], s[20:21], v156, v250, v[38:39]
	v_mad_u64_u32 v[232:233], s[20:21], v235, v249, v[34:35]
	v_fma_f32 v42, v239, v42, 0
	v_cvt_f32_i32_e32 v38, v229
	v_cvt_f32_i32_e32 v1, v232
	ds_read_b32 v0, v0
	v_cvt_f32_i32_e32 v34, v231
	v_fmac_f32_e32 v159, v238, v38
	v_fmac_f32_e32 v42, v240, v1
	v_dot4_i32_i8 v1, v113, v225, 0
	v_dot4_i32_i8 v1, v114, v226, v1
	;; [unrolled: 1-line block ×7, first 2 shown]
	v_cvt_f32_i32_e32 v36, v230
	v_fma_f32 v21, v215, v42, v21
	v_dot4_i32_i8 v42, v112, v149, v1
	v_dot4_i32_i8 v1, v107, v142, 0
	;; [unrolled: 1-line block ×4, first 2 shown]
	v_fmac_f32_e32 v61, v242, v34
	v_dot4_i32_i8 v34, v104, v145, v1
	v_dot4_i32_i8 v1, v105, v138, 0
	s_waitcnt lgkmcnt(0)
	v_bfe_i32 v235, v0, 0, 8
	v_fmac_f32_e32 v158, v134, v36
	v_dot4_i32_i8 v1, v106, v139, v1
	v_bfe_i32 v236, v0, 8, 8
	v_mul_lo_u32 v36, v254, v235
	v_dot4_i32_i8 v1, v101, v140, v1
	v_mul_lo_u32 v34, v34, v236
	v_dot4_i32_i8 v40, v102, v141, v1
	v_ashrrev_i32_e32 v233, 24, v0
	v_bfe_i32 v234, v0, 16, 8
	v_mul_lo_u32 v0, v245, v236
	v_mul_lo_u32 v1, v46, v235
	v_mad_u64_u32 v[229:230], s[20:21], v253, v236, v[36:37]
	v_mad_u64_u32 v[230:231], s[20:21], v40, v235, v[34:35]
	;; [unrolled: 1-line block ×4, first 2 shown]
	v_cvt_f32_i32_e32 v34, v230
	v_cvt_f32_i32_e32 v36, v229
	;; [unrolled: 1-line block ×4, first 2 shown]
	v_fma_f32 v46, v241, v34, 0
	v_fma_f32 v44, v239, v36, 0
	v_mul_lo_u32 v34, v41, v234
	v_mul_lo_u32 v36, v243, v233
	v_fma_f32 v20, v214, v61, v20
	v_fma_f32 v61, v133, v1, 0
	;; [unrolled: 1-line block ×3, first 2 shown]
	v_mul_lo_u32 v0, v248, v234
	v_mul_lo_u32 v1, v38, v233
	v_mad_u64_u32 v[40:41], s[20:21], v244, v234, v[36:37]
	v_mad_u64_u32 v[36:37], s[20:21], v37, v233, v[34:35]
	;; [unrolled: 1-line block ×4, first 2 shown]
	v_cvt_f32_i32_e32 v34, v36
	v_cvt_f32_i32_e32 v36, v40
	;; [unrolled: 1-line block ×4, first 2 shown]
	v_fmac_f32_e32 v61, v134, v34
	v_fmac_f32_e32 v150, v238, v36
	;; [unrolled: 1-line block ×3, first 2 shown]
	v_dot4_i32_i8 v0, v97, v225, 0
	v_dot4_i32_i8 v0, v98, v226, v0
	;; [unrolled: 1-line block ×16, first 2 shown]
	ds_read_b32 v0, v35
	v_fmac_f32_e32 v46, v242, v1
	v_fma_f32 v33, v218, v44, v33
	v_fma_f32 v32, v217, v46, v32
	v_fmac_f32_e32 v30, v210, v150
	s_waitcnt lgkmcnt(0)
	v_bfe_i32 v231, v0, 0, 8
	v_mul_lo_u32 v35, v63, v231
	v_bfe_i32 v232, v0, 8, 8
	v_mul_lo_u32 v34, v34, v232
	v_ashrrev_i32_e32 v229, 24, v0
	v_mad_u64_u32 v[35:36], s[20:21], v151, v232, v[35:36]
	v_bfe_i32 v230, v0, 16, 8
	v_mul_lo_u32 v0, v60, v232
	v_mul_lo_u32 v1, v49, v231
	v_mad_u64_u32 v[36:37], s[20:21], v37, v231, v[34:35]
	v_cvt_f32_i32_e32 v35, v35
	v_mad_u64_u32 v[37:38], s[20:21], v47, v232, v[1:2]
	v_mad_u64_u32 v[0:1], s[20:21], v59, v231, v[0:1]
	v_cvt_f32_i32_e32 v34, v36
	v_fma_f32 v42, v239, v35, 0
	v_mul_lo_u32 v35, v57, v229
	v_cvt_f32_i32_e32 v0, v0
	v_cvt_f32_i32_e32 v1, v37
	v_fma_f32 v44, v241, v34, 0
	v_mul_lo_u32 v34, v45, v230
	v_mad_u64_u32 v[35:36], s[20:21], v58, v230, v[35:36]
	v_fma_f32 v46, v133, v1, 0
	v_fma_f32 v47, v237, v0, 0
	v_mul_lo_u32 v0, v62, v230
	v_mul_lo_u32 v1, v40, v229
	v_mad_u64_u32 v[36:37], s[20:21], v43, v229, v[34:35]
	v_cvt_f32_i32_e32 v35, v35
	v_mad_u64_u32 v[37:38], s[20:21], v41, v230, v[1:2]
	v_mad_u64_u32 v[0:1], s[20:21], v255, v229, v[0:1]
	v_cvt_f32_i32_e32 v34, v36
	v_cvt_f32_i32_e32 v1, v37
	;; [unrolled: 1-line block ×3, first 2 shown]
	v_fmac_f32_e32 v47, v238, v35
	v_fmac_f32_e32 v46, v134, v34
	;; [unrolled: 1-line block ×4, first 2 shown]
	v_dot4_i32_i8 v0, v83, v225, 0
	v_dot4_i32_i8 v0, v84, v226, v0
	;; [unrolled: 1-line block ×16, first 2 shown]
	ds_read_b32 v0, v39
	v_fma_f32 v29, v221, v42, v29
	v_fma_f32 v28, v220, v44, v28
	;; [unrolled: 1-line block ×3, first 2 shown]
	v_fmac_f32_e32 v26, v211, v47
	s_waitcnt lgkmcnt(0)
	v_bfe_i32 v227, v0, 0, 8
	v_mul_lo_u32 v35, v65, v227
	v_bfe_i32 v228, v0, 8, 8
	v_mul_lo_u32 v34, v34, v228
	v_ashrrev_i32_e32 v225, 24, v0
	v_mad_u64_u32 v[35:36], s[20:21], v153, v228, v[35:36]
	v_bfe_i32 v226, v0, 16, 8
	v_mul_lo_u32 v0, v56, v228
	v_mul_lo_u32 v1, v52, v227
	v_mad_u64_u32 v[36:37], s[20:21], v37, v227, v[34:35]
	v_cvt_f32_i32_e32 v35, v35
	v_mad_u64_u32 v[37:38], s[20:21], v51, v228, v[1:2]
	v_mad_u64_u32 v[0:1], s[20:21], v55, v227, v[0:1]
	v_cvt_f32_i32_e32 v34, v36
	v_fma_f32 v39, v239, v35, 0
	v_mul_lo_u32 v35, v53, v225
	v_cvt_f32_i32_e32 v0, v0
	v_cvt_f32_i32_e32 v1, v37
	v_fma_f32 v42, v241, v34, 0
	v_mul_lo_u32 v34, v50, v226
	v_mad_u64_u32 v[35:36], s[20:21], v54, v226, v[35:36]
	v_fma_f32 v43, v133, v1, 0
	v_fma_f32 v44, v237, v0, 0
	v_mul_lo_u32 v0, v64, v226
	v_mul_lo_u32 v1, v40, v225
	v_mad_u64_u32 v[36:37], s[20:21], v48, v225, v[34:35]
	v_cvt_f32_i32_e32 v35, v35
	v_mad_u64_u32 v[37:38], s[20:21], v41, v226, v[1:2]
	v_mad_u64_u32 v[0:1], s[20:21], v152, v225, v[0:1]
	v_cvt_f32_i32_e32 v1, v37
	v_cvt_f32_i32_e32 v34, v36
	v_cvt_f32_i32_e32 v0, v0
	v_fmac_f32_e32 v44, v238, v35
	v_fmac_f32_e32 v42, v242, v1
	;; [unrolled: 1-line block ×4, first 2 shown]
	v_or_b32_e32 v0, s19, v181
	v_lshlrev_b32_e32 v1, 2, v0
	v_fma_f32 v25, v224, v39, v25
	v_fma_f32 v24, v223, v42, v24
	;; [unrolled: 1-line block ×3, first 2 shown]
	v_fmac_f32_e32 v22, v212, v44
	ds_read_b128 v[34:37], v1 offset:33280
	ds_read_b128 v[38:41], v1 offset:33296
	;; [unrolled: 1-line block ×4, first 2 shown]
	v_lshrrev_b32_e32 v59, 1, v0
	v_fma_f32 v31, v216, v61, v31
	v_fma_f32 v19, v213, v158, v19
	v_fmac_f32_e32 v18, v209, v159
	s_waitcnt lgkmcnt(0)
	v_dot4_i32_i8 v0, v129, v46, 0
	v_dot4_i32_i8 v0, v130, v47, v0
	;; [unrolled: 1-line block ×64, first 2 shown]
	v_or_b32_e32 v0, s19, v182
	v_lshlrev_b32_e32 v1, 2, v0
	ds_read_b128 v[34:37], v1 offset:33280
	ds_read_b128 v[38:41], v1 offset:33296
	;; [unrolled: 1-line block ×4, first 2 shown]
	v_lshrrev_b32_e32 v150, 1, v0
	v_mul_lo_u32 v60, v60, v251
	s_and_b64 vcc, exec, s[0:1]
	s_mov_b64 s[0:1], 0
	s_waitcnt lgkmcnt(0)
	v_dot4_i32_i8 v0, v129, v46, 0
	v_dot4_i32_i8 v0, v130, v47, v0
	;; [unrolled: 1-line block ×64, first 2 shown]
	v_or_b32_e32 v0, s19, v183
	v_lshlrev_b32_e32 v1, 2, v0
	ds_read_b128 v[34:37], v1 offset:33280
	ds_read_b128 v[38:41], v1 offset:33296
	;; [unrolled: 1-line block ×4, first 2 shown]
	v_lshrrev_b32_e32 v64, 1, v0
	v_mul_lo_u32 v52, v52, v233
	s_waitcnt lgkmcnt(1)
	v_dot4_i32_i8 v1, v81, v42, 0
	s_waitcnt lgkmcnt(0)
	v_dot4_i32_i8 v0, v129, v46, 0
	v_dot4_i32_i8 v0, v130, v47, v0
	v_dot4_i32_i8 v0, v125, v48, v0
	v_dot4_i32_i8 v65, v126, v49, v0
	v_dot4_i32_i8 v0, v131, v42, 0
	v_dot4_i32_i8 v0, v132, v43, v0
	v_dot4_i32_i8 v0, v127, v44, v0
	v_dot4_i32_i8 v151, v128, v45, v0
	v_dot4_i32_i8 v0, v123, v38, 0
	v_dot4_i32_i8 v0, v124, v39, v0
	v_dot4_i32_i8 v0, v119, v40, v0
	v_dot4_i32_i8 v152, v120, v41, v0
	v_dot4_i32_i8 v0, v121, v34, 0
	v_dot4_i32_i8 v0, v122, v35, v0
	v_dot4_i32_i8 v0, v117, v36, v0
	v_dot4_i32_i8 v153, v118, v37, v0
	v_dot4_i32_i8 v0, v113, v46, 0
	v_dot4_i32_i8 v0, v114, v47, v0
	v_dot4_i32_i8 v0, v109, v48, v0
	v_dot4_i32_i8 v56, v110, v49, v0
	v_dot4_i32_i8 v0, v115, v42, 0
	v_dot4_i32_i8 v0, v116, v43, v0
	v_dot4_i32_i8 v0, v111, v44, v0
	v_dot4_i32_i8 v145, v112, v45, v0
	v_dot4_i32_i8 v0, v107, v38, 0
	v_dot4_i32_i8 v0, v108, v39, v0
	v_dot4_i32_i8 v0, v103, v40, v0
	v_dot4_i32_i8 v57, v104, v41, v0
	v_dot4_i32_i8 v0, v105, v34, 0
	v_dot4_i32_i8 v0, v106, v35, v0
	v_dot4_i32_i8 v0, v101, v36, v0
	v_dot4_i32_i8 v146, v102, v37, v0
	v_dot4_i32_i8 v0, v97, v46, 0
	v_dot4_i32_i8 v0, v98, v47, v0
	v_dot4_i32_i8 v0, v93, v48, v0
	v_dot4_i32_i8 v54, v94, v49, v0
	v_dot4_i32_i8 v0, v99, v42, 0
	v_dot4_i32_i8 v0, v100, v43, v0
	v_dot4_i32_i8 v0, v95, v44, v0
	v_dot4_i32_i8 v143, v96, v45, v0
	v_dot4_i32_i8 v0, v91, v38, 0
	v_dot4_i32_i8 v0, v92, v39, v0
	v_dot4_i32_i8 v0, v87, v40, v0
	v_dot4_i32_i8 v55, v88, v41, v0
	v_dot4_i32_i8 v0, v89, v34, 0
	v_dot4_i32_i8 v0, v90, v35, v0
	v_dot4_i32_i8 v34, v73, v34, 0
	v_dot4_i32_i8 v0, v85, v36, v0
	v_dot4_i32_i8 v34, v74, v35, v34
	v_dot4_i32_i8 v144, v86, v37, v0
	v_dot4_i32_i8 v0, v83, v46, 0
	v_dot4_i32_i8 v38, v75, v38, 0
	v_dot4_i32_i8 v34, v69, v36, v34
	v_dot4_i32_i8 v0, v84, v47, v0
	v_dot4_i32_i8 v1, v82, v43, v1
	v_dot4_i32_i8 v38, v76, v39, v38
	v_dot4_i32_i8 v140, v70, v37, v34
	v_or_b32_e32 v34, s19, v184
	v_dot4_i32_i8 v0, v77, v48, v0
	v_dot4_i32_i8 v1, v79, v44, v1
	;; [unrolled: 1-line block ×3, first 2 shown]
	v_lshlrev_b32_e32 v46, 2, v34
	v_dot4_i32_i8 v0, v78, v49, v0
	v_dot4_i32_i8 v1, v80, v45, v1
	;; [unrolled: 1-line block ×3, first 2 shown]
	v_lshrrev_b32_e32 v155, 1, v34
	ds_read_b128 v[34:37], v46 offset:33280
	ds_read_b128 v[38:41], v46 offset:33296
	;; [unrolled: 1-line block ×4, first 2 shown]
	v_mul_lo_u32 v1, v1, v226
	s_waitcnt lgkmcnt(2)
	v_dot4_i32_i8 v123, v123, v38, 0
	v_dot4_i32_i8 v123, v124, v39, v123
	s_waitcnt lgkmcnt(0)
	v_dot4_i32_i8 v129, v129, v46, 0
	v_dot4_i32_i8 v129, v130, v47, v129
	;; [unrolled: 1-line block ×5, first 2 shown]
	v_mul_lo_u32 v126, v153, v251
	v_dot4_i32_i8 v125, v132, v43, v125
	v_dot4_i32_i8 v125, v127, v44, v125
	;; [unrolled: 1-line block ×6, first 2 shown]
	v_mul_lo_u32 v125, v125, v252
	v_mad_u64_u32 v[126:127], s[20:21], v152, v252, v[126:127]
	v_dot4_i32_i8 v119, v122, v35, v119
	v_dot4_i32_i8 v117, v117, v36, v119
	;; [unrolled: 1-line block ×3, first 2 shown]
	ds_read_b64 v[117:118], v59 offset:43584
	ds_read_b64 v[121:122], v150 offset:43584
	;; [unrolled: 1-line block ×4, first 2 shown]
	v_mul_lo_u32 v59, v62, v252
	v_mad_u64_u32 v[127:128], s[20:21], v128, v251, v[125:126]
	v_mad_u64_u32 v[128:129], s[20:21], v148, v252, v[60:61]
	;; [unrolled: 1-line block ×3, first 2 shown]
	v_cvt_f32_i32_e32 v60, v128
	v_cvt_f32_i32_e32 v63, v126
	;; [unrolled: 1-line block ×3, first 2 shown]
	v_mul_lo_u32 v126, v149, v249
	s_waitcnt lgkmcnt(3)
	v_fma_f32 v64, v117, v60, 0
	v_mul_lo_u32 v60, v130, v249
	v_cvt_f32_i32_e32 v62, v127
	s_waitcnt lgkmcnt(2)
	v_fma_f32 v129, v121, v59, 0
	v_mul_lo_u32 v59, v151, v250
	v_mul_lo_u32 v125, v147, v250
	v_mad_u64_u32 v[126:127], s[20:21], v61, v250, v[126:127]
	v_mad_u64_u32 v[60:61], s[20:21], v131, v250, v[60:61]
	;; [unrolled: 1-line block ×4, first 2 shown]
	v_cvt_f32_i32_e32 v59, v60
	s_waitcnt lgkmcnt(1)
	v_fma_f32 v63, v119, v63, 0
	v_cvt_f32_i32_e32 v58, v58
	s_waitcnt lgkmcnt(0)
	v_fma_f32 v62, v123, v62, 0
	v_fmac_f32_e32 v62, v124, v59
	v_fma_f32 v16, v214, v62, v16
	v_fmac_f32_e32 v63, v120, v58
	v_dot4_i32_i8 v58, v113, v46, 0
	v_dot4_i32_i8 v58, v114, v47, v58
	v_dot4_i32_i8 v58, v109, v48, v58
	v_dot4_i32_i8 v62, v110, v49, v58
	v_dot4_i32_i8 v58, v115, v42, 0
	v_dot4_i32_i8 v58, v116, v43, v58
	v_cvt_f32_i32_e32 v60, v127
	v_dot4_i32_i8 v58, v111, v44, v58
	v_fma_f32 v17, v215, v63, v17
	v_dot4_i32_i8 v63, v112, v45, v58
	v_dot4_i32_i8 v58, v107, v38, 0
	;; [unrolled: 1-line block ×3, first 2 shown]
	v_cvt_f32_i32_e32 v61, v126
	v_dot4_i32_i8 v58, v103, v40, v58
	v_fmac_f32_e32 v64, v118, v60
	v_dot4_i32_i8 v60, v104, v41, v58
	v_dot4_i32_i8 v58, v105, v34, 0
	;; [unrolled: 1-line block ×4, first 2 shown]
	v_fmac_f32_e32 v129, v122, v61
	v_fma_f32 v15, v213, v64, v15
	v_dot4_i32_i8 v64, v102, v37, v58
	v_mul_lo_u32 v58, v142, v236
	v_mul_lo_u32 v59, v133, v235
	;; [unrolled: 1-line block ×4, first 2 shown]
	v_mad_u64_u32 v[0:1], s[20:21], v0, v225, v[1:2]
	v_fmac_f32_e32 v14, v209, v129
	v_mad_u64_u32 v[101:102], s[20:21], v57, v236, v[61:62]
	v_mad_u64_u32 v[60:61], s[20:21], v64, v235, v[60:61]
	;; [unrolled: 1-line block ×4, first 2 shown]
	v_cvt_f32_i32_e32 v53, v57
	v_cvt_f32_i32_e32 v59, v101
	;; [unrolled: 1-line block ×4, first 2 shown]
	v_fma_f32 v102, v121, v53, 0
	v_mul_lo_u32 v53, v145, v234
	v_fma_f32 v64, v119, v59, 0
	v_fma_f32 v65, v123, v58, 0
	v_mul_lo_u32 v58, v254, v234
	v_mad_u64_u32 v[59:60], s[20:21], v141, v234, v[52:53]
	v_mad_u64_u32 v[52:53], s[20:21], v56, v233, v[53:54]
	;; [unrolled: 1-line block ×3, first 2 shown]
	v_cvt_f32_i32_e32 v52, v52
	v_fma_f32 v101, v117, v57, 0
	v_mul_lo_u32 v57, v62, v233
	v_cvt_f32_i32_e32 v56, v60
	v_fmac_f32_e32 v64, v120, v52
	v_dot4_i32_i8 v52, v97, v46, 0
	v_dot4_i32_i8 v52, v98, v47, v52
	;; [unrolled: 1-line block ×7, first 2 shown]
	v_mad_u64_u32 v[57:58], s[20:21], v63, v234, v[57:58]
	v_dot4_i32_i8 v61, v96, v45, v52
	v_dot4_i32_i8 v52, v91, v38, 0
	;; [unrolled: 1-line block ×4, first 2 shown]
	v_fmac_f32_e32 v101, v118, v56
	v_dot4_i32_i8 v56, v88, v41, v52
	v_dot4_i32_i8 v52, v89, v34, 0
	;; [unrolled: 1-line block ×3, first 2 shown]
	v_cvt_f32_i32_e32 v53, v57
	v_cvt_f32_i32_e32 v57, v59
	v_dot4_i32_i8 v52, v90, v35, v52
	v_dot4_i32_i8 v34, v74, v35, v34
	;; [unrolled: 1-line block ×8, first 2 shown]
	v_mul_lo_u32 v37, v140, v227
	v_fmac_f32_e32 v102, v122, v57
	v_mul_lo_u32 v57, v144, v231
	v_dot4_i32_i8 v38, v71, v40, v38
	v_dot4_i32_i8 v38, v72, v41, v38
	v_mul_lo_u32 v35, v240, v227
	v_mul_lo_u32 v36, v38, v228
	v_mad_u64_u32 v[37:38], s[20:21], v51, v228, v[37:38]
	v_mul_lo_u32 v56, v56, v232
	v_mad_u64_u32 v[57:58], s[20:21], v55, v232, v[57:58]
	v_fmac_f32_e32 v65, v124, v53
	v_mul_lo_u32 v52, v139, v232
	v_mul_lo_u32 v53, v246, v231
	;; [unrolled: 1-line block ×3, first 2 shown]
	v_mad_u64_u32 v[38:39], s[20:21], v39, v227, v[36:37]
	v_mad_u64_u32 v[35:36], s[20:21], v239, v228, v[35:36]
	;; [unrolled: 1-line block ×6, first 2 shown]
	v_cvt_f32_i32_e32 v36, v38
	v_cvt_f32_i32_e32 v53, v55
	;; [unrolled: 1-line block ×5, first 2 shown]
	v_dot4_i32_i8 v46, v83, v46, 0
	v_cvt_f32_i32_e32 v34, v39
	v_cvt_f32_i32_e32 v35, v35
	v_cvt_f32_i32_e32 v37, v37
	v_fma_f32 v40, v123, v36, 0
	v_mul_lo_u32 v36, v243, v225
	v_dot4_i32_i8 v46, v84, v47, v46
	v_fma_f32 v58, v119, v55, 0
	v_mul_lo_u32 v55, v134, v229
	v_dot4_i32_i8 v46, v77, v48, v46
	v_fma_f32 v59, v123, v53, 0
	v_fma_f32 v62, v117, v52, 0
	v_mul_lo_u32 v52, v60, v229
	v_mul_lo_u32 v53, v242, v230
	v_dot4_i32_i8 v46, v78, v49, v46
	v_dot4_i32_i8 v42, v81, v42, 0
	v_fma_f32 v63, v121, v50, 0
	v_mul_lo_u32 v50, v143, v230
	v_dot4_i32_i8 v42, v82, v43, v42
	v_fma_f32 v39, v119, v37, 0
	v_fma_f32 v41, v117, v35, 0
	;; [unrolled: 1-line block ×3, first 2 shown]
	v_mul_lo_u32 v34, v46, v225
	v_mul_lo_u32 v35, v238, v226
	v_mad_u64_u32 v[36:37], s[20:21], v244, v226, v[36:37]
	v_mad_u64_u32 v[55:56], s[20:21], v138, v230, v[55:56]
	v_dot4_i32_i8 v42, v79, v44, v42
	v_mad_u64_u32 v[56:57], s[20:21], v241, v229, v[53:54]
	v_mad_u64_u32 v[52:53], s[20:21], v61, v230, v[52:53]
	v_dot4_i32_i8 v42, v80, v45, v42
	v_mad_u64_u32 v[53:54], s[20:21], v54, v229, v[50:51]
	v_mad_u64_u32 v[37:38], s[20:21], v237, v225, v[35:36]
	;; [unrolled: 1-line block ×3, first 2 shown]
	v_cvt_f32_i32_e32 v50, v53
	v_cvt_f32_i32_e32 v52, v52
	;; [unrolled: 1-line block ×8, first 2 shown]
	v_fmac_f32_e32 v63, v122, v54
	v_fmac_f32_e32 v62, v118, v53
	;; [unrolled: 1-line block ×8, first 2 shown]
	v_fma_f32 v13, v218, v64, v13
	v_fma_f32 v12, v217, v65, v12
	v_fma_f32 v11, v216, v101, v11
	v_fmac_f32_e32 v10, v210, v102
	v_fma_f32 v9, v221, v58, v9
	v_fma_f32 v8, v220, v59, v8
	v_fma_f32 v7, v219, v62, v7
	v_fmac_f32_e32 v6, v211, v63
	;; [unrolled: 4-line block ×3, first 2 shown]
	s_mov_b32 s20, 8
	s_cbranch_vccnz .LBB176_6
; %bb.7:                                ;   in Loop: Header=BB176_5 Depth=1
	s_barrier
	buffer_load_dword v40, off, s[24:27], 0 ; 4-byte Folded Reload
	v_add_u32_e32 v48, s18, v172
	v_add_u32_e32 v46, 4, v208
	;; [unrolled: 1-line block ×3, first 2 shown]
	v_mad_u64_u32 v[46:47], s[0:1], v46, 36, s[2:3]
	v_mad_i64_i32 v[0:1], s[0:1], v0, 36, v[67:68]
	v_add_u32_e32 v34, v48, v163
	v_mad_i64_i32 v[34:35], s[0:1], v34, 36, v[67:68]
	v_add_u32_e32 v36, v48, v189
	v_add_u32_e32 v38, v48, v190
	v_mad_i64_i32 v[36:37], s[0:1], v36, 36, v[67:68]
	v_mad_i64_i32 v[38:39], s[0:1], v38, 36, v[67:68]
	v_add_u32_e32 v42, v48, v168
	v_add_u32_e32 v44, v48, v169
	v_mad_i64_i32 v[42:43], s[0:1], v42, 36, v[67:68]
	v_mad_i64_i32 v[44:45], s[0:1], v44, 36, v[67:68]
	v_mov_b32_e32 v164, v161
	v_mov_b32_e32 v165, v163
	;; [unrolled: 1-line block ×5, first 2 shown]
	s_waitcnt vmcnt(0)
	v_add_u32_e32 v40, v48, v40
	v_add_u32_e32 v48, v48, v170
	v_mad_i64_i32 v[40:41], s[0:1], v40, 36, v[67:68]
	v_mad_i64_i32 v[48:49], s[0:1], v48, 36, v[67:68]
	global_load_dword v46, v[46:47], off
	s_nop 0
	global_load_dword v0, v[0:1], off offset:4
	s_nop 0
	global_load_dword v1, v[34:35], off offset:4
	s_nop 0
	global_load_dword v34, v[36:37], off offset:4
	global_load_dword v35, v[38:39], off offset:4
	s_nop 0
	global_load_dword v36, v[40:41], off offset:4
	global_load_dword v37, v[42:43], off offset:4
	;; [unrolled: 1-line block ×4, first 2 shown]
	s_mov_b32 s0, 16
	s_waitcnt vmcnt(7)
	ds_write_b32 v191, v0
	s_waitcnt vmcnt(6)
	ds_write_b32 v192, v1
	;; [unrolled: 2-line block ×8, first 2 shown]
	v_cvt_f32_f16_e32 v40, v46
	ds_write_b32 v66, v40
	s_waitcnt lgkmcnt(0)
	s_barrier
	ds_read_b32 v117, v171
	ds_read_b32 v118, v173 offset:128
	ds_read_b32 v119, v175 offset:256
	;; [unrolled: 1-line block ×3, first 2 shown]
	s_waitcnt lgkmcnt(3)
	v_mov_b32_e32 v121, v117
	v_mov_b32_e32 v122, v117
	v_mov_b32_e32 v123, v117
	s_waitcnt lgkmcnt(2)
	v_mov_b32_e32 v124, v118
	v_mov_b32_e32 v125, v118
	v_mov_b32_e32 v126, v118
	;; [unrolled: 4-line block ×4, first 2 shown]
.LBB176_8:                              ;   Parent Loop BB176_5 Depth=1
                                        ; =>  This Inner Loop Header: Depth=2
	s_lshl_b32 s1, s0, 1
	s_and_b32 s1, s1, 16
	v_or_b32_e32 v0, s1, v154
	v_lshlrev_b32_e32 v1, 2, v0
	s_lshr_b32 s18, s0, 1
	s_lshl_b32 s19, s0, 3
	ds_read_b128 v[56:59], v1 offset:33280
	ds_read_b128 v[138:141], v1 offset:33296
	;; [unrolled: 1-line block ×4, first 2 shown]
	s_add_i32 s18, s18, 0xa200
	v_add_u32_e32 v1, s19, v185
	v_lshrrev_b32_e32 v60, 1, v0
	v_add3_u32 v0, s18, v203, v204
	ds_read2_b32 v[103:104], v1 offset0:6 offset1:7
	ds_read2_b32 v[107:108], v1 offset0:4 offset1:5
	;; [unrolled: 1-line block ×3, first 2 shown]
	ds_read2_b32 v[105:106], v1 offset1:1
	ds_read_b32 v62, v0
	ds_read2_b32 v[109:110], v1 offset0:14 offset1:15
	ds_read2_b32 v[113:114], v1 offset0:12 offset1:13
	;; [unrolled: 1-line block ×4, first 2 shown]
	v_add_u32_e32 v1, s19, v186
	s_waitcnt lgkmcnt(4)
	v_bfe_i32 v55, v62, 0, 8
	v_bfe_i32 v54, v62, 8, 8
	s_waitcnt lgkmcnt(2)
	v_dot4_i32_i8 v0, v113, v146, 0
	v_dot4_i32_i8 v0, v114, v147, v0
	;; [unrolled: 1-line block ×4, first 2 shown]
	s_waitcnt lgkmcnt(0)
	v_dot4_i32_i8 v0, v115, v142, 0
	v_dot4_i32_i8 v0, v116, v143, v0
	;; [unrolled: 1-line block ×12, first 2 shown]
	v_add3_u32 v0, s18, v205, v200
	ds_read2_b32 v[87:88], v1 offset0:6 offset1:7
	ds_read2_b32 v[91:92], v1 offset0:4 offset1:5
	;; [unrolled: 1-line block ×3, first 2 shown]
	ds_read2_b32 v[89:90], v1 offset1:1
	ds_read_b32 v152, v0
	ds_read2_b32 v[93:94], v1 offset0:14 offset1:15
	ds_read2_b32 v[97:98], v1 offset0:12 offset1:13
	;; [unrolled: 1-line block ×4, first 2 shown]
	v_add_u32_e32 v1, s19, v187
	v_ashrrev_i32_e32 v255, 24, v62
	v_bfe_i32 v62, v62, 16, 8
	s_waitcnt lgkmcnt(2)
	v_dot4_i32_i8 v0, v97, v146, 0
	v_dot4_i32_i8 v0, v98, v147, v0
	;; [unrolled: 1-line block ×4, first 2 shown]
	s_waitcnt lgkmcnt(0)
	v_dot4_i32_i8 v0, v99, v142, 0
	v_dot4_i32_i8 v0, v100, v143, v0
	;; [unrolled: 1-line block ×12, first 2 shown]
	v_add3_u32 v0, s18, v206, v201
	ds_read2_b32 v[71:72], v1 offset0:6 offset1:7
	ds_read2_b32 v[75:76], v1 offset0:4 offset1:5
	;; [unrolled: 1-line block ×3, first 2 shown]
	ds_read2_b32 v[73:74], v1 offset1:1
	ds_read_b32 v159, v0
	ds_read2_b32 v[77:78], v1 offset0:14 offset1:15
	ds_read2_b32 v[81:82], v1 offset0:12 offset1:13
	;; [unrolled: 1-line block ×4, first 2 shown]
	v_add_u32_e32 v1, s19, v188
	v_bfe_i32 v53, v152, 0, 8
	v_bfe_i32 v52, v152, 8, 8
	s_waitcnt lgkmcnt(2)
	v_dot4_i32_i8 v0, v81, v146, 0
	v_dot4_i32_i8 v0, v82, v147, v0
	;; [unrolled: 1-line block ×4, first 2 shown]
	s_waitcnt lgkmcnt(0)
	v_dot4_i32_i8 v0, v83, v142, 0
	v_dot4_i32_i8 v0, v84, v143, v0
	;; [unrolled: 1-line block ×12, first 2 shown]
	v_add3_u32 v0, s18, v207, v202
	ds_read2_b32 v[36:37], v1 offset0:6 offset1:7
	ds_read2_b32 v[40:41], v1 offset0:4 offset1:5
	ds_read2_b32 v[34:35], v1 offset0:2 offset1:3
	ds_read2_b32 v[38:39], v1 offset1:1
	ds_read_b32 v222, v0
	ds_read2_b32 v[42:43], v1 offset0:14 offset1:15
	ds_read2_b32 v[46:47], v1 offset0:12 offset1:13
	;; [unrolled: 1-line block ×4, first 2 shown]
	s_waitcnt lgkmcnt(5)
	v_dot4_i32_i8 v1, v38, v56, 0
	v_dot4_i32_i8 v1, v39, v57, v1
	v_or_b32_e32 v56, s1, v178
	s_waitcnt lgkmcnt(2)
	v_dot4_i32_i8 v0, v46, v146, 0
	v_dot4_i32_i8 v0, v47, v147, v0
	;; [unrolled: 1-line block ×4, first 2 shown]
	s_waitcnt lgkmcnt(0)
	v_dot4_i32_i8 v0, v48, v142, 0
	v_dot4_i32_i8 v0, v49, v143, v0
	;; [unrolled: 1-line block ×8, first 2 shown]
	v_lshlrev_b32_e32 v61, 2, v56
	v_dot4_i32_i8 v225, v37, v141, v0
	v_dot4_i32_i8 v226, v35, v59, v1
	v_lshrrev_b32_e32 v133, 1, v56
	ds_read_b128 v[56:59], v61 offset:33280
	ds_read_b128 v[138:141], v61 offset:33296
	;; [unrolled: 1-line block ×4, first 2 shown]
	v_bfe_i32 v51, v159, 0, 8
	v_bfe_i32 v50, v159, 8, 8
	;; [unrolled: 1-line block ×4, first 2 shown]
	s_waitcnt lgkmcnt(0)
	v_dot4_i32_i8 v61, v113, v146, 0
	v_dot4_i32_i8 v61, v114, v147, v61
	;; [unrolled: 1-line block ×63, first 2 shown]
	v_or_b32_e32 v56, s1, v179
	v_dot4_i32_i8 v239, v37, v141, v61
	v_lshlrev_b32_e32 v61, 2, v56
	v_lshrrev_b32_e32 v208, 1, v56
	ds_read_b128 v[56:59], v61 offset:33280
	ds_read_b128 v[138:141], v61 offset:33296
	;; [unrolled: 1-line block ×4, first 2 shown]
	v_mul_lo_u32 v150, v150, v54
	s_waitcnt lgkmcnt(0)
	v_dot4_i32_i8 v61, v113, v146, 0
	v_dot4_i32_i8 v61, v114, v147, v61
	;; [unrolled: 1-line block ×63, first 2 shown]
	v_or_b32_e32 v56, s1, v180
	v_dot4_i32_i8 v253, v37, v141, v61
	v_lshlrev_b32_e32 v61, 2, v56
	v_lshrrev_b32_e32 v210, 1, v56
	ds_read_b128 v[56:59], v61 offset:33280
	ds_read_b128 v[138:141], v61 offset:33296
	ds_read_b128 v[142:145], v61 offset:33312
	ds_read_b128 v[146:149], v61 offset:33328
	ds_read_b64 v[60:61], v60 offset:43584
	v_mul_lo_u32 v214, v214, v55
	ds_read_b64 v[133:134], v133 offset:43584
	ds_read_b64 v[208:209], v208 offset:43584
	;; [unrolled: 1-line block ×3, first 2 shown]
	s_waitcnt lgkmcnt(4)
	v_dot4_i32_i8 v212, v113, v146, 0
	v_dot4_i32_i8 v212, v114, v147, v212
	;; [unrolled: 1-line block ×12, first 2 shown]
	v_mul_lo_u32 v212, v151, v55
	v_mul_lo_u32 v213, v213, v54
	v_dot4_i32_i8 v151, v105, v56, 0
	v_mad_u64_u32 v[214:215], s[18:19], v215, v54, v[214:215]
	v_dot4_i32_i8 v151, v106, v57, v151
	v_dot4_i32_i8 v151, v101, v58, v151
	;; [unrolled: 1-line block ×3, first 2 shown]
	v_mad_u64_u32 v[215:216], s[18:19], v151, v55, v[213:214]
	v_mad_u64_u32 v[212:213], s[18:19], v65, v54, v[212:213]
	;; [unrolled: 1-line block ×3, first 2 shown]
	v_cvt_f32_i32_e32 v150, v212
	v_cvt_f32_i32_e32 v212, v214
	v_mul_lo_u32 v214, v227, v255
	v_cvt_f32_i32_e32 v151, v215
	v_mul_lo_u32 v213, v64, v62
	s_waitcnt lgkmcnt(3)
	v_fma_f32 v161, v60, v150, 0
	v_mad_u64_u32 v[214:215], s[18:19], v228, v62, v[214:215]
	v_mul_lo_u32 v150, v242, v62
	v_cvt_f32_i32_e32 v65, v216
	s_waitcnt lgkmcnt(1)
	v_fma_f32 v190, v208, v212, 0
	s_waitcnt lgkmcnt(0)
	v_fma_f32 v151, v210, v151, 0
	v_mul_lo_u32 v212, v66, v255
	v_mad_u64_u32 v[215:216], s[18:19], v63, v255, v[213:214]
	v_mad_u64_u32 v[216:217], s[18:19], v241, v255, v[150:151]
	v_cvt_f32_i32_e32 v150, v214
	v_fma_f32 v65, v133, v65, 0
	v_mad_u64_u32 v[212:213], s[18:19], v189, v62, v[212:213]
	v_fmac_f32_e32 v65, v134, v150
	v_cvt_f32_i32_e32 v66, v215
	v_fmac_f32_e32 v18, v117, v65
	v_dot4_i32_i8 v65, v91, v138, 0
	v_mul_lo_u32 v214, v246, v53
	v_dot4_i32_i8 v65, v92, v139, v65
	v_cvt_f32_i32_e32 v64, v212
	v_dot4_i32_i8 v65, v87, v140, v65
	v_dot4_i32_i8 v65, v88, v141, v65
	v_fmac_f32_e32 v161, v61, v66
	v_dot4_i32_i8 v66, v89, v56, 0
	v_mul_lo_u32 v212, v158, v53
	v_mul_lo_u32 v213, v65, v52
	v_mad_u64_u32 v[214:215], s[18:19], v245, v52, v[214:215]
	v_dot4_i32_i8 v66, v90, v57, v66
	v_fmac_f32_e32 v151, v211, v64
	v_dot4_i32_i8 v66, v85, v58, v66
	v_fma_f32 v20, v122, v151, v20
	v_dot4_i32_i8 v66, v86, v59, v66
	v_ashrrev_i32_e32 v151, 24, v152
	v_mul_lo_u32 v150, v231, v52
	v_cvt_f32_i32_e32 v63, v216
	v_mad_u64_u32 v[215:216], s[18:19], v66, v53, v[213:214]
	v_mad_u64_u32 v[212:213], s[18:19], v156, v52, v[212:213]
	v_cvt_f32_i32_e32 v156, v214
	v_mul_lo_u32 v214, v229, v151
	v_bfe_i32 v152, v152, 16, 8
	v_mad_u64_u32 v[216:217], s[18:19], v232, v53, v[150:151]
	v_cvt_f32_i32_e32 v150, v215
	v_mul_lo_u32 v213, v155, v152
	v_mad_u64_u32 v[214:215], s[18:19], v230, v152, v[214:215]
	v_cvt_f32_i32_e32 v65, v216
	v_fmac_f32_e32 v190, v209, v63
	v_dot4_i32_i8 v63, v97, v146, 0
	v_fma_f32 v158, v210, v150, 0
	v_mul_lo_u32 v150, v244, v152
	v_mad_u64_u32 v[215:216], s[18:19], v153, v151, v[213:214]
	v_cvt_f32_i32_e32 v153, v214
	v_dot4_i32_i8 v63, v98, v147, v63
	v_dot4_i32_i8 v63, v93, v148, v63
	;; [unrolled: 1-line block ×3, first 2 shown]
	v_cvt_f32_i32_e32 v66, v212
	v_fma_f32 v65, v133, v65, 0
	v_dot4_i32_i8 v64, v99, v142, 0
	v_mul_lo_u32 v212, v63, v151
	v_mad_u64_u32 v[216:217], s[18:19], v243, v151, v[150:151]
	v_cvt_f32_i32_e32 v150, v215
	v_fmac_f32_e32 v65, v134, v153
	v_dot4_i32_i8 v64, v100, v143, v64
	v_fmac_f32_e32 v30, v118, v65
	v_dot4_i32_i8 v65, v75, v138, 0
	v_mul_lo_u32 v214, v250, v51
	v_dot4_i32_i8 v64, v95, v144, v64
	v_dot4_i32_i8 v65, v76, v139, v65
	;; [unrolled: 1-line block ×3, first 2 shown]
	v_fma_f32 v66, v60, v66, 0
	v_dot4_i32_i8 v65, v71, v140, v65
	v_mad_u64_u32 v[212:213], s[18:19], v64, v152, v[212:213]
	v_cvt_f32_i32_e32 v63, v216
	v_fmac_f32_e32 v66, v61, v150
	v_dot4_i32_i8 v65, v72, v141, v65
	v_fma_f32 v31, v124, v66, v31
	v_dot4_i32_i8 v66, v73, v56, 0
	v_mul_lo_u32 v213, v65, v50
	v_mad_u64_u32 v[214:215], s[18:19], v249, v50, v[214:215]
	v_dot4_i32_i8 v66, v74, v57, v66
	v_fma_f32 v156, v208, v156, 0
	v_dot4_i32_i8 v66, v69, v58, v66
	v_cvt_f32_i32_e32 v64, v212
	v_fmac_f32_e32 v156, v209, v63
	v_dot4_i32_i8 v66, v70, v59, v66
	v_ashrrev_i32_e32 v153, 24, v159
	v_mul_lo_u32 v150, v235, v50
	v_mul_lo_u32 v212, v221, v51
	v_fma_f32 v33, v126, v156, v33
	v_mad_u64_u32 v[215:216], s[18:19], v66, v51, v[213:214]
	v_cvt_f32_i32_e32 v156, v214
	v_mul_lo_u32 v214, v233, v153
	v_bfe_i32 v155, v159, 16, 8
	v_mad_u64_u32 v[212:213], s[18:19], v220, v50, v[212:213]
	v_mad_u64_u32 v[216:217], s[18:19], v236, v51, v[150:151]
	v_cvt_f32_i32_e32 v150, v215
	v_mul_lo_u32 v213, v219, v155
	v_mad_u64_u32 v[214:215], s[18:19], v234, v155, v[214:215]
	v_fmac_f32_e32 v158, v211, v64
	v_cvt_f32_i32_e32 v65, v216
	v_fma_f32 v32, v125, v158, v32
	v_fma_f32 v158, v210, v150, 0
	v_mul_lo_u32 v150, v248, v155
	v_mad_u64_u32 v[215:216], s[18:19], v218, v153, v[213:214]
	v_cvt_f32_i32_e32 v159, v214
	v_cvt_f32_i32_e32 v66, v212
	v_fma_f32 v65, v133, v65, 0
	v_mad_u64_u32 v[216:217], s[18:19], v247, v153, v[150:151]
	v_cvt_f32_i32_e32 v150, v215
	v_fmac_f32_e32 v65, v134, v159
	v_fmac_f32_e32 v26, v119, v65
	v_dot4_i32_i8 v65, v40, v138, 0
	v_dot4_i32_i8 v65, v41, v139, v65
	;; [unrolled: 1-line block ×3, first 2 shown]
	v_fma_f32 v66, v60, v66, 0
	v_dot4_i32_i8 v65, v36, v140, v65
	v_dot4_i32_i8 v56, v39, v57, v56
	v_fmac_f32_e32 v66, v61, v150
	v_dot4_i32_i8 v65, v37, v141, v65
	v_dot4_i32_i8 v56, v34, v58, v56
	;; [unrolled: 1-line block ×3, first 2 shown]
	v_fma_f32 v27, v127, v66, v27
	v_dot4_i32_i8 v66, v35, v59, v56
	v_mul_lo_u32 v58, v65, v0
	v_mul_lo_u32 v59, v254, v1
	v_dot4_i32_i8 v63, v82, v147, v63
	v_dot4_i32_i8 v63, v77, v148, v63
	;; [unrolled: 1-line block ×4, first 2 shown]
	v_mul_lo_u32 v212, v63, v153
	v_mul_lo_u32 v57, v226, v1
	v_mad_u64_u32 v[138:139], s[18:19], v253, v0, v[59:60]
	v_mad_u64_u32 v[58:59], s[18:19], v66, v1, v[58:59]
	v_dot4_i32_i8 v64, v84, v143, v64
	v_dot4_i32_i8 v64, v79, v144, v64
	v_dot4_i32_i8 v64, v80, v145, v64
	v_mul_lo_u32 v56, v239, v0
	v_mad_u64_u32 v[212:213], s[18:19], v64, v155, v[212:213]
	v_cvt_f32_i32_e32 v63, v216
	v_mad_u64_u32 v[139:140], s[18:19], v225, v0, v[57:58]
	v_cvt_f32_i32_e32 v59, v138
	v_fma_f32 v156, v208, v156, 0
	v_ashrrev_i32_e32 v150, 24, v222
	v_mad_u64_u32 v[56:57], s[18:19], v240, v1, v[56:57]
	v_cvt_f32_i32_e32 v64, v212
	v_fmac_f32_e32 v156, v209, v63
	v_dot4_i32_i8 v63, v46, v146, 0
	v_cvt_f32_i32_e32 v57, v139
	v_cvt_f32_i32_e32 v58, v58
	v_fma_f32 v65, v208, v59, 0
	v_mul_lo_u32 v59, v237, v150
	v_dot4_i32_i8 v63, v47, v147, v63
	v_dot4_i32_i8 v63, v42, v148, v63
	v_fma_f32 v29, v129, v156, v29
	v_dot4_i32_i8 v63, v43, v149, v63
	v_bfe_i32 v156, v222, 16, 8
	v_fmac_f32_e32 v158, v211, v64
	v_dot4_i32_i8 v64, v48, v142, 0
	v_cvt_f32_i32_e32 v56, v56
	v_fma_f32 v66, v210, v58, 0
	v_fma_f32 v141, v60, v57, 0
	v_mul_lo_u32 v57, v63, v150
	v_mul_lo_u32 v58, v224, v156
	v_mad_u64_u32 v[59:60], s[18:19], v238, v156, v[59:60]
	v_dot4_i32_i8 v64, v49, v143, v64
	v_dot4_i32_i8 v64, v44, v144, v64
	;; [unrolled: 1-line block ×3, first 2 shown]
	v_fma_f32 v133, v133, v56, 0
	v_mul_lo_u32 v56, v252, v156
	v_mad_u64_u32 v[138:139], s[18:19], v223, v150, v[58:59]
	v_mad_u64_u32 v[57:58], s[18:19], v64, v156, v[57:58]
	v_cvt_f32_i32_e32 v58, v138
	v_cvt_f32_i32_e32 v59, v59
	v_mad_u64_u32 v[139:140], s[18:19], v251, v150, v[56:57]
	v_cvt_f32_i32_e32 v57, v57
	v_fmac_f32_e32 v141, v61, v58
	v_cvt_f32_i32_e32 v56, v139
	v_fmac_f32_e32 v133, v134, v59
	v_fmac_f32_e32 v66, v211, v57
	v_fma_f32 v23, v130, v141, v23
	v_fmac_f32_e32 v65, v209, v56
	v_or_b32_e32 v56, s1, v181
	v_lshlrev_b32_e32 v60, 2, v56
	v_lshrrev_b32_e32 v61, 1, v56
	ds_read_b128 v[56:59], v60 offset:33280
	ds_read_b128 v[138:141], v60 offset:33296
	;; [unrolled: 1-line block ×4, first 2 shown]
	v_fma_f32 v25, v132, v65, v25
	v_fma_f32 v24, v131, v66, v24
	v_fmac_f32_e32 v22, v120, v133
	v_fma_f32 v28, v128, v158, v28
	s_waitcnt lgkmcnt(0)
	v_dot4_i32_i8 v60, v113, v146, 0
	v_dot4_i32_i8 v60, v114, v147, v60
	;; [unrolled: 1-line block ×35, first 2 shown]
	v_fma_f32 v19, v121, v161, v19
	v_dot4_i32_i8 v161, v78, v149, v60
	v_dot4_i32_i8 v60, v83, v142, 0
	;; [unrolled: 1-line block ×8, first 2 shown]
	v_fma_f32 v21, v123, v190, v21
	v_dot4_i32_i8 v190, v72, v141, v60
	v_dot4_i32_i8 v60, v73, v56, 0
	;; [unrolled: 1-line block ×20, first 2 shown]
	v_or_b32_e32 v56, s1, v182
	v_dot4_i32_i8 v211, v37, v141, v60
	v_lshlrev_b32_e32 v60, 2, v56
	v_lshrrev_b32_e32 v213, 1, v56
	ds_read_b128 v[56:59], v60 offset:33280
	ds_read_b128 v[138:141], v60 offset:33296
	;; [unrolled: 1-line block ×4, first 2 shown]
	s_waitcnt lgkmcnt(0)
	v_dot4_i32_i8 v60, v113, v146, 0
	v_dot4_i32_i8 v60, v114, v147, v60
	;; [unrolled: 1-line block ×63, first 2 shown]
	v_or_b32_e32 v56, s1, v183
	v_dot4_i32_i8 v228, v37, v141, v60
	v_lshlrev_b32_e32 v60, 2, v56
	v_lshrrev_b32_e32 v230, 1, v56
	ds_read_b128 v[56:59], v60 offset:33280
	ds_read_b128 v[138:141], v60 offset:33296
	;; [unrolled: 1-line block ×4, first 2 shown]
	s_waitcnt lgkmcnt(0)
	v_dot4_i32_i8 v60, v113, v146, 0
	v_dot4_i32_i8 v60, v114, v147, v60
	;; [unrolled: 1-line block ×63, first 2 shown]
	v_or_b32_e32 v56, s1, v184
	v_dot4_i32_i8 v245, v37, v141, v60
	v_lshlrev_b32_e32 v60, 2, v56
	v_lshrrev_b32_e32 v247, 1, v56
	ds_read_b128 v[56:59], v60 offset:33280
	ds_read_b128 v[138:141], v60 offset:33296
	;; [unrolled: 1-line block ×4, first 2 shown]
	s_add_i32 s1, s0, 8
	s_cmp_lt_u32 s0, 24
	s_waitcnt lgkmcnt(2)
	v_dot4_i32_i8 v40, v40, v138, 0
	v_dot4_i32_i8 v40, v41, v139, v40
	s_waitcnt lgkmcnt(0)
	v_dot4_i32_i8 v60, v113, v146, 0
	v_dot4_i32_i8 v60, v114, v147, v60
	;; [unrolled: 1-line block ×9, first 2 shown]
	v_mul_lo_u32 v110, v234, v55
	v_dot4_i32_i8 v60, v108, v139, v60
	v_dot4_i32_i8 v60, v103, v140, v60
	;; [unrolled: 1-line block ×4, first 2 shown]
	v_mul_lo_u32 v108, v66, v55
	v_mul_lo_u32 v109, v109, v54
	v_mad_u64_u32 v[110:111], s[18:19], v233, v54, v[110:111]
	v_dot4_i32_i8 v60, v106, v57, v60
	v_dot4_i32_i8 v60, v101, v58, v60
	v_dot4_i32_i8 v112, v102, v59, v60
	v_mul_lo_u32 v107, v216, v54
	v_mad_u64_u32 v[111:112], s[18:19], v112, v55, v[109:110]
	v_mad_u64_u32 v[108:109], s[18:19], v65, v54, v[108:109]
	ds_read_b64 v[60:61], v61 offset:43584
	ds_read_b64 v[101:102], v213 offset:43584
	;; [unrolled: 1-line block ×4, first 2 shown]
	v_cvt_f32_i32_e32 v66, v110
	v_mad_u64_u32 v[54:55], s[18:19], v217, v55, v[107:108]
	v_cvt_f32_i32_e32 v55, v108
	v_mul_lo_u32 v108, v214, v255
	v_cvt_f32_i32_e32 v54, v54
	v_mul_lo_u32 v107, v64, v62
	s_waitcnt lgkmcnt(3)
	v_fma_f32 v112, v60, v55, 0
	v_mad_u64_u32 v[108:109], s[18:19], v215, v62, v[108:109]
	s_waitcnt lgkmcnt(2)
	v_fma_f32 v115, v101, v54, 0
	v_mul_lo_u32 v54, v232, v62
	v_mul_lo_u32 v55, v113, v255
	v_mad_u64_u32 v[109:110], s[18:19], v63, v255, v[107:108]
	v_cvt_f32_i32_e32 v65, v111
	v_mad_u64_u32 v[110:111], s[18:19], v114, v62, v[55:56]
	v_mad_u64_u32 v[54:55], s[18:19], v231, v255, v[54:55]
	s_waitcnt lgkmcnt(1)
	v_fma_f32 v66, v103, v66, 0
	v_cvt_f32_i32_e32 v62, v109
	v_cvt_f32_i32_e32 v54, v54
	;; [unrolled: 1-line block ×4, first 2 shown]
	v_fmac_f32_e32 v112, v61, v62
	v_fmac_f32_e32 v66, v104, v54
	v_dot4_i32_i8 v54, v97, v146, 0
	v_dot4_i32_i8 v54, v98, v147, v54
	;; [unrolled: 1-line block ×7, first 2 shown]
	v_fmac_f32_e32 v115, v102, v63
	v_dot4_i32_i8 v63, v96, v145, v54
	v_dot4_i32_i8 v54, v91, v138, 0
	;; [unrolled: 1-line block ×6, first 2 shown]
	s_waitcnt lgkmcnt(0)
	v_fma_f32 v65, v105, v65, 0
	v_dot4_i32_i8 v54, v90, v57, v54
	v_fmac_f32_e32 v65, v106, v55
	v_dot4_i32_i8 v54, v85, v58, v54
	v_fma_f32 v16, v122, v65, v16
	v_dot4_i32_i8 v65, v86, v59, v54
	v_mul_lo_u32 v86, v238, v53
	v_mul_lo_u32 v85, v64, v52
	;; [unrolled: 1-line block ×4, first 2 shown]
	v_mad_u64_u32 v[86:87], s[18:19], v237, v52, v[86:87]
	v_fma_f32 v17, v123, v66, v17
	v_dot4_i32_i8 v36, v36, v140, v40
	v_mad_u64_u32 v[87:88], s[18:19], v65, v53, v[85:86]
	v_mad_u64_u32 v[88:89], s[18:19], v158, v52, v[55:56]
	v_mad_u64_u32 v[52:53], s[18:19], v221, v53, v[54:55]
	v_cvt_f32_i32_e32 v54, v87
	v_cvt_f32_i32_e32 v55, v86
	;; [unrolled: 1-line block ×4, first 2 shown]
	v_fma_f32 v65, v105, v54, 0
	v_fma_f32 v64, v103, v55, 0
	v_mul_lo_u32 v54, v134, v152
	v_mul_lo_u32 v55, v218, v151
	v_fma_f32 v66, v60, v53, 0
	v_fma_f32 v88, v101, v52, 0
	v_mul_lo_u32 v52, v236, v152
	v_mul_lo_u32 v53, v62, v151
	v_mad_u64_u32 v[85:86], s[18:19], v219, v152, v[55:56]
	v_mad_u64_u32 v[54:55], s[18:19], v133, v151, v[54:55]
	v_cvt_f32_i32_e32 v55, v85
	v_dot4_i32_i8 v36, v37, v141, v36
	v_mad_u64_u32 v[86:87], s[18:19], v63, v152, v[53:54]
	v_mad_u64_u32 v[52:53], s[18:19], v235, v151, v[52:53]
	v_cvt_f32_i32_e32 v54, v54
	v_dot4_i32_i8 v37, v38, v56, 0
	v_cvt_f32_i32_e32 v52, v52
	v_dot4_i32_i8 v37, v39, v57, v37
	v_dot4_i32_i8 v34, v34, v58, v37
	v_mul_lo_u32 v37, v246, v1
	v_fmac_f32_e32 v64, v104, v52
	v_dot4_i32_i8 v52, v81, v146, 0
	v_dot4_i32_i8 v52, v82, v147, v52
	;; [unrolled: 1-line block ×11, first 2 shown]
	v_fmac_f32_e32 v66, v61, v54
	v_dot4_i32_i8 v54, v72, v141, v52
	v_cvt_f32_i32_e32 v53, v86
	v_fmac_f32_e32 v88, v102, v55
	v_dot4_i32_i8 v52, v73, v56, 0
	v_mul_lo_u32 v54, v54, v50
	v_mul_lo_u32 v55, v242, v51
	v_dot4_i32_i8 v52, v74, v57, v52
	v_dot4_i32_i8 v52, v69, v58, v52
	;; [unrolled: 1-line block ×3, first 2 shown]
	v_mul_lo_u32 v35, v212, v1
	v_mul_lo_u32 v36, v36, v0
	v_mad_u64_u32 v[37:38], s[18:19], v245, v0, v[37:38]
	v_fma_f32 v13, v126, v64, v13
	v_dot4_i32_i8 v64, v70, v59, v52
	v_fmac_f32_e32 v65, v106, v53
	v_mul_lo_u32 v52, v224, v50
	v_mul_lo_u32 v53, v208, v51
	v_mad_u64_u32 v[69:70], s[18:19], v241, v50, v[55:56]
	v_mad_u64_u32 v[54:55], s[18:19], v64, v51, v[54:55]
	v_mul_lo_u32 v34, v228, v0
	v_mad_u64_u32 v[38:39], s[18:19], v39, v1, v[36:37]
	v_mad_u64_u32 v[35:36], s[18:19], v211, v0, v[35:36]
	;; [unrolled: 1-line block ×4, first 2 shown]
	v_cvt_f32_i32_e32 v53, v69
	v_mad_u64_u32 v[0:1], s[18:19], v229, v1, v[34:35]
	v_cvt_f32_i32_e32 v1, v35
	v_cvt_f32_i32_e32 v35, v37
	;; [unrolled: 1-line block ×4, first 2 shown]
	v_fma_f32 v64, v103, v53, 0
	v_mul_lo_u32 v53, v222, v153
	v_dot4_i32_i8 v46, v46, v146, 0
	v_cvt_f32_i32_e32 v34, v38
	v_fma_f32 v39, v103, v35, 0
	v_mul_lo_u32 v35, v226, v150
	v_fma_f32 v12, v125, v65, v12
	v_fma_f32 v11, v124, v66, v11
	v_cvt_f32_i32_e32 v50, v50
	v_fma_f32 v65, v105, v52, 0
	v_fma_f32 v66, v60, v51, 0
	v_mul_lo_u32 v51, v62, v153
	v_mul_lo_u32 v52, v189, v155
	v_mad_u64_u32 v[53:54], s[18:19], v223, v155, v[53:54]
	v_dot4_i32_i8 v46, v47, v147, v46
	v_cvt_f32_i32_e32 v0, v0
	v_dot4_i32_i8 v42, v42, v148, v46
	v_dot4_i32_i8 v42, v43, v149, v42
	;; [unrolled: 1-line block ×4, first 2 shown]
	v_fma_f32 v40, v105, v34, 0
	v_mul_lo_u32 v34, v210, v156
	v_mad_u64_u32 v[35:36], s[18:19], v227, v156, v[35:36]
	v_fma_f32 v71, v101, v50, 0
	v_mul_lo_u32 v50, v240, v155
	v_mad_u64_u32 v[54:55], s[18:19], v161, v153, v[52:53]
	v_mad_u64_u32 v[51:52], s[18:19], v63, v155, v[51:52]
	v_dot4_i32_i8 v43, v44, v144, v43
	v_fma_f32 v41, v60, v1, 0
	v_fma_f32 v44, v101, v0, 0
	v_mul_lo_u32 v0, v244, v156
	v_mul_lo_u32 v1, v42, v150
	v_dot4_i32_i8 v43, v45, v145, v43
	v_mad_u64_u32 v[36:37], s[18:19], v209, v150, v[34:35]
	v_mad_u64_u32 v[69:70], s[18:19], v239, v153, v[50:51]
	;; [unrolled: 1-line block ×4, first 2 shown]
	v_cvt_f32_i32_e32 v50, v69
	v_cvt_f32_i32_e32 v51, v51
	;; [unrolled: 1-line block ×8, first 2 shown]
	v_fmac_f32_e32 v71, v102, v53
	v_fmac_f32_e32 v66, v61, v52
	;; [unrolled: 1-line block ×8, first 2 shown]
	v_fma_f32 v15, v121, v112, v15
	v_fmac_f32_e32 v14, v117, v115
	v_fmac_f32_e32 v10, v118, v88
	v_fma_f32 v9, v129, v64, v9
	v_fma_f32 v8, v128, v65, v8
	;; [unrolled: 1-line block ×3, first 2 shown]
	v_fmac_f32_e32 v6, v119, v71
	v_fma_f32 v5, v132, v39, v5
	v_fma_f32 v4, v131, v40, v4
	;; [unrolled: 1-line block ×3, first 2 shown]
	v_fmac_f32_e32 v2, v120, v44
	s_mov_b32 s0, s1
	s_cbranch_scc1 .LBB176_8
; %bb.9:                                ;   in Loop: Header=BB176_5 Depth=1
	s_add_i32 s9, s9, 1
	s_cmp_eq_u32 s9, s4
	v_mov_b32_e32 v66, v163
	v_mov_b32_e32 v161, v164
	;; [unrolled: 1-line block ×5, first 2 shown]
	s_barrier
	s_cbranch_scc0 .LBB176_5
; %bb.10:
	buffer_load_dword v0, off, s[24:27], 0 offset:240 ; 4-byte Folded Reload
	buffer_load_dword v37, off, s[24:27], 0 offset:232 ; 4-byte Folded Reload
	;; [unrolled: 1-line block ×3, first 2 shown]
.LBB176_11:
	s_waitcnt vmcnt(2)
	v_cmp_gt_u32_e32 vcc, s10, v0
	s_and_saveexec_b64 s[0:1], vcc
	s_cbranch_execz .LBB176_62
; %bb.12:
	v_mul_lo_u32 v34, v0, s14
	s_waitcnt vmcnt(0)
	v_add_u32_e32 v0, s6, v35
	v_cmp_gt_u32_e64 s[0:1], s14, v0
	s_and_saveexec_b64 s[2:3], s[0:1]
	s_cbranch_execz .LBB176_14
; %bb.13:
	v_add_u32_e32 v35, v0, v34
	v_mov_b32_e32 v36, 0
	v_bfe_u32 v1, v19, 16, 1
	s_movk_i32 s4, 0x7fff
	v_lshlrev_b64 v[35:36], 1, v[35:36]
	v_add3_u32 v1, v19, v1, s4
	v_cmp_o_f32_e32 vcc, v19, v19
	v_mov_b32_e32 v19, 0x7fc0
	v_cndmask_b32_sdwa v1, v19, v1, vcc dst_sel:DWORD dst_unused:UNUSED_PAD src0_sel:DWORD src1_sel:WORD_1
	s_waitcnt lgkmcnt(0)
	v_mov_b32_e32 v19, s13
	v_add_co_u32_e32 v35, vcc, s12, v35
	v_addc_co_u32_e32 v36, vcc, v19, v36, vcc
	global_store_short v[35:36], v1, off
.LBB176_14:
	s_or_b64 exec, exec, s[2:3]
	v_add_u32_e32 v1, 32, v0
	v_cmp_gt_u32_e64 s[2:3], s14, v1
	s_and_saveexec_b64 s[4:5], s[2:3]
	s_cbranch_execz .LBB176_16
; %bb.15:
	v_add_u32_e32 v35, v1, v34
	v_mov_b32_e32 v36, 0
	v_bfe_u32 v19, v31, 16, 1
	s_movk_i32 s6, 0x7fff
	v_lshlrev_b64 v[35:36], 1, v[35:36]
	v_add3_u32 v19, v31, v19, s6
	v_cmp_o_f32_e32 vcc, v31, v31
	v_mov_b32_e32 v31, 0x7fc0
	v_cndmask_b32_sdwa v19, v31, v19, vcc dst_sel:DWORD dst_unused:UNUSED_PAD src0_sel:DWORD src1_sel:WORD_1
	s_waitcnt lgkmcnt(0)
	v_mov_b32_e32 v31, s13
	v_add_co_u32_e32 v35, vcc, s12, v35
	v_addc_co_u32_e32 v36, vcc, v31, v36, vcc
	global_store_short v[35:36], v19, off
.LBB176_16:
	s_or_b64 exec, exec, s[4:5]
	;; [unrolled: 21-line block ×4, first 2 shown]
	v_add3_u32 v23, v37, s15, 8
	v_cmp_gt_u32_e32 vcc, s10, v23
	s_and_b64 exec, exec, vcc
	s_cbranch_execz .LBB176_62
; %bb.21:
	v_mul_lo_u32 v23, v23, s14
	s_and_saveexec_b64 s[8:9], s[0:1]
	s_cbranch_execnz .LBB176_63
; %bb.22:
	s_or_b64 exec, exec, s[8:9]
	s_and_saveexec_b64 s[8:9], s[2:3]
	s_cbranch_execnz .LBB176_64
.LBB176_23:
	s_or_b64 exec, exec, s[8:9]
	s_and_saveexec_b64 s[8:9], s[4:5]
	s_cbranch_execnz .LBB176_65
.LBB176_24:
	s_or_b64 exec, exec, s[8:9]
	s_and_saveexec_b64 s[8:9], s[6:7]
	s_cbranch_execz .LBB176_26
.LBB176_25:
	v_bfe_u32 v18, v22, 16, 1
	s_movk_i32 s11, 0x7fff
	v_add3_u32 v18, v22, v18, s11
	v_cmp_o_f32_e32 vcc, v22, v22
	v_mov_b32_e32 v22, 0x7fc0
	v_cndmask_b32_sdwa v18, v22, v18, vcc dst_sel:DWORD dst_unused:UNUSED_PAD src0_sel:DWORD src1_sel:WORD_1
	v_add_u32_e32 v22, v23, v27
	v_mov_b32_e32 v23, 0
	v_lshlrev_b64 v[22:23], 1, v[22:23]
	s_waitcnt lgkmcnt(0)
	v_mov_b32_e32 v26, s13
	v_add_co_u32_e32 v22, vcc, s12, v22
	v_addc_co_u32_e32 v23, vcc, v26, v23, vcc
	global_store_short v[22:23], v18, off
.LBB176_26:
	s_or_b64 exec, exec, s[8:9]
	v_add3_u32 v18, v37, s15, 16
	v_cmp_gt_u32_e32 vcc, s10, v18
	s_and_b64 exec, exec, vcc
	s_cbranch_execz .LBB176_62
; %bb.27:
	v_mul_lo_u32 v18, v18, s14
	s_and_saveexec_b64 s[8:9], s[0:1]
	s_cbranch_execnz .LBB176_66
; %bb.28:
	s_or_b64 exec, exec, s[8:9]
	s_and_saveexec_b64 s[8:9], s[2:3]
	s_cbranch_execnz .LBB176_67
.LBB176_29:
	s_or_b64 exec, exec, s[8:9]
	s_and_saveexec_b64 s[8:9], s[4:5]
	s_cbranch_execnz .LBB176_68
.LBB176_30:
	s_or_b64 exec, exec, s[8:9]
	s_and_saveexec_b64 s[8:9], s[6:7]
	s_cbranch_execz .LBB176_32
.LBB176_31:
	v_bfe_u32 v21, v25, 16, 1
	s_movk_i32 s11, 0x7fff
	v_add3_u32 v21, v25, v21, s11
	v_cmp_o_f32_e32 vcc, v25, v25
	v_mov_b32_e32 v22, 0x7fc0
	v_cndmask_b32_sdwa v23, v22, v21, vcc dst_sel:DWORD dst_unused:UNUSED_PAD src0_sel:DWORD src1_sel:WORD_1
	v_add_u32_e32 v21, v18, v27
	v_mov_b32_e32 v22, 0
	v_lshlrev_b64 v[21:22], 1, v[21:22]
	s_waitcnt lgkmcnt(0)
	v_mov_b32_e32 v18, s13
	v_add_co_u32_e32 v21, vcc, s12, v21
	v_addc_co_u32_e32 v22, vcc, v18, v22, vcc
	global_store_short v[21:22], v23, off
.LBB176_32:
	s_or_b64 exec, exec, s[8:9]
	v_add3_u32 v18, v37, s15, 24
	v_cmp_gt_u32_e32 vcc, s10, v18
	s_and_b64 exec, exec, vcc
	s_cbranch_execz .LBB176_62
; %bb.33:
	v_mul_lo_u32 v18, v18, s14
	s_and_saveexec_b64 s[8:9], s[0:1]
	s_cbranch_execnz .LBB176_69
; %bb.34:
	s_or_b64 exec, exec, s[8:9]
	s_and_saveexec_b64 s[8:9], s[2:3]
	s_cbranch_execnz .LBB176_70
.LBB176_35:
	s_or_b64 exec, exec, s[8:9]
	s_and_saveexec_b64 s[8:9], s[4:5]
	s_cbranch_execnz .LBB176_71
.LBB176_36:
	s_or_b64 exec, exec, s[8:9]
	s_and_saveexec_b64 s[8:9], s[6:7]
	s_cbranch_execz .LBB176_38
.LBB176_37:
	v_bfe_u32 v20, v24, 16, 1
	s_movk_i32 s11, 0x7fff
	v_add3_u32 v20, v24, v20, s11
	v_cmp_o_f32_e32 vcc, v24, v24
	v_mov_b32_e32 v21, 0x7fc0
	v_cndmask_b32_sdwa v22, v21, v20, vcc dst_sel:DWORD dst_unused:UNUSED_PAD src0_sel:DWORD src1_sel:WORD_1
	v_add_u32_e32 v20, v18, v27
	v_mov_b32_e32 v21, 0
	v_lshlrev_b64 v[20:21], 1, v[20:21]
	s_waitcnt lgkmcnt(0)
	v_mov_b32_e32 v18, s13
	v_add_co_u32_e32 v20, vcc, s12, v20
	v_addc_co_u32_e32 v21, vcc, v18, v21, vcc
	global_store_short v[20:21], v22, off
.LBB176_38:
	s_or_b64 exec, exec, s[8:9]
	v_add3_u32 v18, v37, s15, 32
	v_cmp_gt_u32_e32 vcc, s10, v18
	s_and_b64 exec, exec, vcc
	s_cbranch_execz .LBB176_62
; %bb.39:
	v_mul_lo_u32 v18, v18, s14
	s_and_saveexec_b64 s[8:9], s[0:1]
	s_cbranch_execnz .LBB176_72
; %bb.40:
	s_or_b64 exec, exec, s[8:9]
	s_and_saveexec_b64 s[8:9], s[2:3]
	s_cbranch_execnz .LBB176_73
.LBB176_41:
	s_or_b64 exec, exec, s[8:9]
	s_and_saveexec_b64 s[8:9], s[4:5]
	s_cbranch_execnz .LBB176_74
.LBB176_42:
	s_or_b64 exec, exec, s[8:9]
	s_and_saveexec_b64 s[8:9], s[6:7]
	s_cbranch_execz .LBB176_44
.LBB176_43:
	v_add_u32_e32 v20, v18, v27
	v_mov_b32_e32 v21, 0
	v_bfe_u32 v7, v3, 16, 1
	s_movk_i32 s11, 0x7fff
	v_lshlrev_b64 v[20:21], 1, v[20:21]
	v_add3_u32 v7, v3, v7, s11
	v_cmp_o_f32_e32 vcc, v3, v3
	v_mov_b32_e32 v3, 0x7fc0
	v_cndmask_b32_sdwa v3, v3, v7, vcc dst_sel:DWORD dst_unused:UNUSED_PAD src0_sel:DWORD src1_sel:WORD_1
	s_waitcnt lgkmcnt(0)
	v_mov_b32_e32 v7, s13
	v_add_co_u32_e32 v20, vcc, s12, v20
	v_addc_co_u32_e32 v21, vcc, v7, v21, vcc
	global_store_short v[20:21], v3, off
.LBB176_44:
	s_or_b64 exec, exec, s[8:9]
	v_add3_u32 v3, v37, s15, 40
	v_cmp_gt_u32_e32 vcc, s10, v3
	s_and_b64 exec, exec, vcc
	s_cbranch_execz .LBB176_62
; %bb.45:
	v_mul_lo_u32 v3, v3, s14
	s_and_saveexec_b64 s[8:9], s[0:1]
	s_cbranch_execnz .LBB176_75
; %bb.46:
	s_or_b64 exec, exec, s[8:9]
	s_and_saveexec_b64 s[8:9], s[2:3]
	s_cbranch_execnz .LBB176_76
.LBB176_47:
	s_or_b64 exec, exec, s[8:9]
	s_and_saveexec_b64 s[8:9], s[4:5]
	s_cbranch_execnz .LBB176_77
.LBB176_48:
	s_or_b64 exec, exec, s[8:9]
	s_and_saveexec_b64 s[8:9], s[6:7]
	s_cbranch_execz .LBB176_50
.LBB176_49:
	v_bfe_u32 v6, v2, 16, 1
	s_movk_i32 s11, 0x7fff
	v_add3_u32 v6, v2, v6, s11
	v_cmp_o_f32_e32 vcc, v2, v2
	v_mov_b32_e32 v2, 0x7fc0
	v_cndmask_b32_sdwa v6, v2, v6, vcc dst_sel:DWORD dst_unused:UNUSED_PAD src0_sel:DWORD src1_sel:WORD_1
	v_add_u32_e32 v2, v3, v27
	v_mov_b32_e32 v3, 0
	v_lshlrev_b64 v[2:3], 1, v[2:3]
	s_waitcnt lgkmcnt(0)
	v_mov_b32_e32 v7, s13
	v_add_co_u32_e32 v2, vcc, s12, v2
	v_addc_co_u32_e32 v3, vcc, v7, v3, vcc
	global_store_short v[2:3], v6, off
.LBB176_50:
	s_or_b64 exec, exec, s[8:9]
	v_add3_u32 v2, v37, s15, 48
	v_cmp_gt_u32_e32 vcc, s10, v2
	s_and_b64 exec, exec, vcc
	s_cbranch_execz .LBB176_62
; %bb.51:
	v_mul_lo_u32 v2, v2, s14
	s_and_saveexec_b64 s[8:9], s[0:1]
	s_cbranch_execnz .LBB176_78
; %bb.52:
	s_or_b64 exec, exec, s[8:9]
	s_and_saveexec_b64 s[8:9], s[2:3]
	s_cbranch_execnz .LBB176_79
.LBB176_53:
	s_or_b64 exec, exec, s[8:9]
	s_and_saveexec_b64 s[8:9], s[4:5]
	s_cbranch_execnz .LBB176_80
.LBB176_54:
	s_or_b64 exec, exec, s[8:9]
	s_and_saveexec_b64 s[8:9], s[6:7]
	s_cbranch_execz .LBB176_56
.LBB176_55:
	v_bfe_u32 v3, v5, 16, 1
	s_movk_i32 s11, 0x7fff
	v_add3_u32 v3, v5, v3, s11
	v_cmp_o_f32_e32 vcc, v5, v5
	v_mov_b32_e32 v5, 0x7fc0
	v_cndmask_b32_sdwa v5, v5, v3, vcc dst_sel:DWORD dst_unused:UNUSED_PAD src0_sel:DWORD src1_sel:WORD_1
	v_add_u32_e32 v2, v2, v27
	v_mov_b32_e32 v3, 0
	v_lshlrev_b64 v[2:3], 1, v[2:3]
	s_waitcnt lgkmcnt(0)
	v_mov_b32_e32 v6, s13
	v_add_co_u32_e32 v2, vcc, s12, v2
	v_addc_co_u32_e32 v3, vcc, v6, v3, vcc
	global_store_short v[2:3], v5, off
.LBB176_56:
	s_or_b64 exec, exec, s[8:9]
	v_add3_u32 v2, v37, s15, 56
	v_cmp_gt_u32_e32 vcc, s10, v2
	s_and_b64 exec, exec, vcc
	s_cbranch_execz .LBB176_62
; %bb.57:
	v_mul_lo_u32 v2, v2, s14
	s_and_saveexec_b64 s[8:9], s[0:1]
	s_cbranch_execnz .LBB176_81
; %bb.58:
	s_or_b64 exec, exec, s[8:9]
	s_and_saveexec_b64 s[0:1], s[2:3]
	s_cbranch_execnz .LBB176_82
.LBB176_59:
	s_or_b64 exec, exec, s[0:1]
	s_and_saveexec_b64 s[0:1], s[4:5]
	s_cbranch_execnz .LBB176_83
.LBB176_60:
	s_or_b64 exec, exec, s[0:1]
	s_and_b64 exec, exec, s[6:7]
	s_cbranch_execz .LBB176_62
.LBB176_61:
	v_bfe_u32 v0, v4, 16, 1
	s_movk_i32 s0, 0x7fff
	v_add3_u32 v0, v4, v0, s0
	v_cmp_o_f32_e32 vcc, v4, v4
	v_mov_b32_e32 v1, 0x7fc0
	v_cndmask_b32_sdwa v3, v1, v0, vcc dst_sel:DWORD dst_unused:UNUSED_PAD src0_sel:DWORD src1_sel:WORD_1
	v_add_u32_e32 v0, v2, v27
	v_mov_b32_e32 v1, 0
	v_lshlrev_b64 v[0:1], 1, v[0:1]
	s_waitcnt lgkmcnt(0)
	v_mov_b32_e32 v2, s13
	v_add_co_u32_e32 v0, vcc, s12, v0
	v_addc_co_u32_e32 v1, vcc, v2, v1, vcc
	global_store_short v[0:1], v3, off
.LBB176_62:
	s_endpgm
.LBB176_63:
	v_add_u32_e32 v34, v23, v0
	v_mov_b32_e32 v35, 0
	v_bfe_u32 v31, v18, 16, 1
	s_movk_i32 s11, 0x7fff
	v_lshlrev_b64 v[34:35], 1, v[34:35]
	v_add3_u32 v31, v18, v31, s11
	v_cmp_o_f32_e32 vcc, v18, v18
	v_mov_b32_e32 v18, 0x7fc0
	v_cndmask_b32_sdwa v18, v18, v31, vcc dst_sel:DWORD dst_unused:UNUSED_PAD src0_sel:DWORD src1_sel:WORD_1
	s_waitcnt lgkmcnt(0)
	v_mov_b32_e32 v31, s13
	v_add_co_u32_e32 v34, vcc, s12, v34
	v_addc_co_u32_e32 v35, vcc, v31, v35, vcc
	global_store_short v[34:35], v18, off
	s_or_b64 exec, exec, s[8:9]
	s_and_saveexec_b64 s[8:9], s[2:3]
	s_cbranch_execz .LBB176_23
.LBB176_64:
	v_bfe_u32 v18, v30, 16, 1
	s_movk_i32 s11, 0x7fff
	v_add3_u32 v18, v30, v18, s11
	v_cmp_o_f32_e32 vcc, v30, v30
	v_mov_b32_e32 v30, 0x7fc0
	v_cndmask_b32_sdwa v18, v30, v18, vcc dst_sel:DWORD dst_unused:UNUSED_PAD src0_sel:DWORD src1_sel:WORD_1
	v_add_u32_e32 v30, v23, v1
	v_mov_b32_e32 v31, 0
	v_lshlrev_b64 v[30:31], 1, v[30:31]
	s_waitcnt lgkmcnt(0)
	v_mov_b32_e32 v34, s13
	v_add_co_u32_e32 v30, vcc, s12, v30
	v_addc_co_u32_e32 v31, vcc, v34, v31, vcc
	global_store_short v[30:31], v18, off
	s_or_b64 exec, exec, s[8:9]
	s_and_saveexec_b64 s[8:9], s[4:5]
	s_cbranch_execz .LBB176_24
.LBB176_65:
	v_add_u32_e32 v30, v23, v19
	v_mov_b32_e32 v31, 0
	v_bfe_u32 v18, v26, 16, 1
	s_movk_i32 s11, 0x7fff
	v_lshlrev_b64 v[30:31], 1, v[30:31]
	v_add3_u32 v18, v26, v18, s11
	v_cmp_o_f32_e32 vcc, v26, v26
	v_mov_b32_e32 v26, 0x7fc0
	v_cndmask_b32_sdwa v18, v26, v18, vcc dst_sel:DWORD dst_unused:UNUSED_PAD src0_sel:DWORD src1_sel:WORD_1
	s_waitcnt lgkmcnt(0)
	v_mov_b32_e32 v26, s13
	v_add_co_u32_e32 v30, vcc, s12, v30
	v_addc_co_u32_e32 v31, vcc, v26, v31, vcc
	global_store_short v[30:31], v18, off
	s_or_b64 exec, exec, s[8:9]
	s_and_saveexec_b64 s[8:9], s[6:7]
	s_cbranch_execnz .LBB176_25
	s_branch .LBB176_26
.LBB176_66:
	v_bfe_u32 v22, v21, 16, 1
	s_movk_i32 s11, 0x7fff
	v_add3_u32 v22, v21, v22, s11
	v_cmp_o_f32_e32 vcc, v21, v21
	v_mov_b32_e32 v21, 0x7fc0
	v_cndmask_b32_sdwa v23, v21, v22, vcc dst_sel:DWORD dst_unused:UNUSED_PAD src0_sel:DWORD src1_sel:WORD_1
	v_add_u32_e32 v21, v18, v0
	v_mov_b32_e32 v22, 0
	v_lshlrev_b64 v[21:22], 1, v[21:22]
	s_waitcnt lgkmcnt(0)
	v_mov_b32_e32 v26, s13
	v_add_co_u32_e32 v21, vcc, s12, v21
	v_addc_co_u32_e32 v22, vcc, v26, v22, vcc
	global_store_short v[21:22], v23, off
	s_or_b64 exec, exec, s[8:9]
	s_and_saveexec_b64 s[8:9], s[2:3]
	s_cbranch_execz .LBB176_29
.LBB176_67:
	v_bfe_u32 v21, v33, 16, 1
	s_movk_i32 s11, 0x7fff
	v_add3_u32 v21, v33, v21, s11
	v_cmp_o_f32_e32 vcc, v33, v33
	v_mov_b32_e32 v22, 0x7fc0
	v_cndmask_b32_sdwa v23, v22, v21, vcc dst_sel:DWORD dst_unused:UNUSED_PAD src0_sel:DWORD src1_sel:WORD_1
	v_add_u32_e32 v21, v18, v1
	v_mov_b32_e32 v22, 0
	v_lshlrev_b64 v[21:22], 1, v[21:22]
	s_waitcnt lgkmcnt(0)
	v_mov_b32_e32 v26, s13
	v_add_co_u32_e32 v21, vcc, s12, v21
	v_addc_co_u32_e32 v22, vcc, v26, v22, vcc
	global_store_short v[21:22], v23, off
	s_or_b64 exec, exec, s[8:9]
	s_and_saveexec_b64 s[8:9], s[4:5]
	s_cbranch_execz .LBB176_30
.LBB176_68:
	v_bfe_u32 v21, v29, 16, 1
	s_movk_i32 s11, 0x7fff
	v_add3_u32 v21, v29, v21, s11
	v_cmp_o_f32_e32 vcc, v29, v29
	v_mov_b32_e32 v22, 0x7fc0
	v_cndmask_b32_sdwa v23, v22, v21, vcc dst_sel:DWORD dst_unused:UNUSED_PAD src0_sel:DWORD src1_sel:WORD_1
	v_add_u32_e32 v21, v18, v19
	v_mov_b32_e32 v22, 0
	v_lshlrev_b64 v[21:22], 1, v[21:22]
	s_waitcnt lgkmcnt(0)
	v_mov_b32_e32 v26, s13
	v_add_co_u32_e32 v21, vcc, s12, v21
	v_addc_co_u32_e32 v22, vcc, v26, v22, vcc
	global_store_short v[21:22], v23, off
	s_or_b64 exec, exec, s[8:9]
	s_and_saveexec_b64 s[8:9], s[6:7]
	s_cbranch_execnz .LBB176_31
	s_branch .LBB176_32
.LBB176_69:
	v_bfe_u32 v21, v20, 16, 1
	s_movk_i32 s11, 0x7fff
	v_add3_u32 v21, v20, v21, s11
	v_cmp_o_f32_e32 vcc, v20, v20
	v_mov_b32_e32 v20, 0x7fc0
	v_cndmask_b32_sdwa v22, v20, v21, vcc dst_sel:DWORD dst_unused:UNUSED_PAD src0_sel:DWORD src1_sel:WORD_1
	v_add_u32_e32 v20, v18, v0
	v_mov_b32_e32 v21, 0
	v_lshlrev_b64 v[20:21], 1, v[20:21]
	s_waitcnt lgkmcnt(0)
	v_mov_b32_e32 v23, s13
	v_add_co_u32_e32 v20, vcc, s12, v20
	v_addc_co_u32_e32 v21, vcc, v23, v21, vcc
	global_store_short v[20:21], v22, off
	s_or_b64 exec, exec, s[8:9]
	s_and_saveexec_b64 s[8:9], s[2:3]
	s_cbranch_execz .LBB176_35
.LBB176_70:
	v_bfe_u32 v20, v32, 16, 1
	s_movk_i32 s11, 0x7fff
	v_add3_u32 v20, v32, v20, s11
	v_cmp_o_f32_e32 vcc, v32, v32
	v_mov_b32_e32 v21, 0x7fc0
	v_cndmask_b32_sdwa v22, v21, v20, vcc dst_sel:DWORD dst_unused:UNUSED_PAD src0_sel:DWORD src1_sel:WORD_1
	v_add_u32_e32 v20, v18, v1
	v_mov_b32_e32 v21, 0
	v_lshlrev_b64 v[20:21], 1, v[20:21]
	s_waitcnt lgkmcnt(0)
	v_mov_b32_e32 v23, s13
	v_add_co_u32_e32 v20, vcc, s12, v20
	v_addc_co_u32_e32 v21, vcc, v23, v21, vcc
	global_store_short v[20:21], v22, off
	s_or_b64 exec, exec, s[8:9]
	s_and_saveexec_b64 s[8:9], s[4:5]
	s_cbranch_execz .LBB176_36
.LBB176_71:
	v_bfe_u32 v20, v28, 16, 1
	s_movk_i32 s11, 0x7fff
	v_add3_u32 v20, v28, v20, s11
	v_cmp_o_f32_e32 vcc, v28, v28
	v_mov_b32_e32 v21, 0x7fc0
	v_cndmask_b32_sdwa v22, v21, v20, vcc dst_sel:DWORD dst_unused:UNUSED_PAD src0_sel:DWORD src1_sel:WORD_1
	v_add_u32_e32 v20, v18, v19
	v_mov_b32_e32 v21, 0
	v_lshlrev_b64 v[20:21], 1, v[20:21]
	s_waitcnt lgkmcnt(0)
	v_mov_b32_e32 v23, s13
	v_add_co_u32_e32 v20, vcc, s12, v20
	v_addc_co_u32_e32 v21, vcc, v23, v21, vcc
	global_store_short v[20:21], v22, off
	s_or_b64 exec, exec, s[8:9]
	s_and_saveexec_b64 s[8:9], s[6:7]
	s_cbranch_execnz .LBB176_37
	s_branch .LBB176_38
.LBB176_72:
	v_bfe_u32 v20, v15, 16, 1
	s_movk_i32 s11, 0x7fff
	v_add3_u32 v20, v15, v20, s11
	v_cmp_o_f32_e32 vcc, v15, v15
	v_mov_b32_e32 v15, 0x7fc0
	v_cndmask_b32_sdwa v15, v15, v20, vcc dst_sel:DWORD dst_unused:UNUSED_PAD src0_sel:DWORD src1_sel:WORD_1
	v_add_u32_e32 v20, v18, v0
	v_mov_b32_e32 v21, 0
	v_lshlrev_b64 v[20:21], 1, v[20:21]
	s_waitcnt lgkmcnt(0)
	v_mov_b32_e32 v22, s13
	v_add_co_u32_e32 v20, vcc, s12, v20
	v_addc_co_u32_e32 v21, vcc, v22, v21, vcc
	global_store_short v[20:21], v15, off
	s_or_b64 exec, exec, s[8:9]
	s_and_saveexec_b64 s[8:9], s[2:3]
	s_cbranch_execz .LBB176_41
.LBB176_73:
	v_add_u32_e32 v20, v18, v1
	v_mov_b32_e32 v21, 0
	v_bfe_u32 v15, v11, 16, 1
	s_movk_i32 s11, 0x7fff
	v_lshlrev_b64 v[20:21], 1, v[20:21]
	v_add3_u32 v15, v11, v15, s11
	v_cmp_o_f32_e32 vcc, v11, v11
	v_mov_b32_e32 v11, 0x7fc0
	v_cndmask_b32_sdwa v11, v11, v15, vcc dst_sel:DWORD dst_unused:UNUSED_PAD src0_sel:DWORD src1_sel:WORD_1
	s_waitcnt lgkmcnt(0)
	v_mov_b32_e32 v15, s13
	v_add_co_u32_e32 v20, vcc, s12, v20
	v_addc_co_u32_e32 v21, vcc, v15, v21, vcc
	global_store_short v[20:21], v11, off
	s_or_b64 exec, exec, s[8:9]
	s_and_saveexec_b64 s[8:9], s[4:5]
	s_cbranch_execz .LBB176_42
.LBB176_74:
	v_add_u32_e32 v20, v18, v19
	v_mov_b32_e32 v21, 0
	v_bfe_u32 v11, v7, 16, 1
	s_movk_i32 s11, 0x7fff
	v_lshlrev_b64 v[20:21], 1, v[20:21]
	v_add3_u32 v11, v7, v11, s11
	v_cmp_o_f32_e32 vcc, v7, v7
	v_mov_b32_e32 v7, 0x7fc0
	v_cndmask_b32_sdwa v7, v7, v11, vcc dst_sel:DWORD dst_unused:UNUSED_PAD src0_sel:DWORD src1_sel:WORD_1
	s_waitcnt lgkmcnt(0)
	v_mov_b32_e32 v11, s13
	v_add_co_u32_e32 v20, vcc, s12, v20
	v_addc_co_u32_e32 v21, vcc, v11, v21, vcc
	global_store_short v[20:21], v7, off
	s_or_b64 exec, exec, s[8:9]
	s_and_saveexec_b64 s[8:9], s[6:7]
	s_cbranch_execnz .LBB176_43
	s_branch .LBB176_44
.LBB176_75:
	v_bfe_u32 v7, v14, 16, 1
	s_movk_i32 s11, 0x7fff
	v_add3_u32 v7, v14, v7, s11
	v_cmp_o_f32_e32 vcc, v14, v14
	v_add_u32_e32 v14, v3, v0
	v_mov_b32_e32 v15, 0
	v_lshlrev_b64 v[14:15], 1, v[14:15]
	v_mov_b32_e32 v11, 0x7fc0
	v_cndmask_b32_sdwa v7, v11, v7, vcc dst_sel:DWORD dst_unused:UNUSED_PAD src0_sel:DWORD src1_sel:WORD_1
	s_waitcnt lgkmcnt(0)
	v_mov_b32_e32 v11, s13
	v_add_co_u32_e32 v14, vcc, s12, v14
	v_addc_co_u32_e32 v15, vcc, v11, v15, vcc
	global_store_short v[14:15], v7, off
	s_or_b64 exec, exec, s[8:9]
	s_and_saveexec_b64 s[8:9], s[2:3]
	s_cbranch_execz .LBB176_47
.LBB176_76:
	v_bfe_u32 v7, v10, 16, 1
	s_movk_i32 s11, 0x7fff
	v_add3_u32 v7, v10, v7, s11
	v_cmp_o_f32_e32 vcc, v10, v10
	v_mov_b32_e32 v10, 0x7fc0
	v_cndmask_b32_sdwa v7, v10, v7, vcc dst_sel:DWORD dst_unused:UNUSED_PAD src0_sel:DWORD src1_sel:WORD_1
	v_add_u32_e32 v10, v3, v1
	v_mov_b32_e32 v11, 0
	v_lshlrev_b64 v[10:11], 1, v[10:11]
	s_waitcnt lgkmcnt(0)
	v_mov_b32_e32 v14, s13
	v_add_co_u32_e32 v10, vcc, s12, v10
	v_addc_co_u32_e32 v11, vcc, v14, v11, vcc
	global_store_short v[10:11], v7, off
	s_or_b64 exec, exec, s[8:9]
	s_and_saveexec_b64 s[8:9], s[4:5]
	s_cbranch_execz .LBB176_48
.LBB176_77:
	v_bfe_u32 v7, v6, 16, 1
	s_movk_i32 s11, 0x7fff
	v_add3_u32 v7, v6, v7, s11
	v_cmp_o_f32_e32 vcc, v6, v6
	v_mov_b32_e32 v6, 0x7fc0
	v_cndmask_b32_sdwa v10, v6, v7, vcc dst_sel:DWORD dst_unused:UNUSED_PAD src0_sel:DWORD src1_sel:WORD_1
	v_add_u32_e32 v6, v3, v19
	v_mov_b32_e32 v7, 0
	v_lshlrev_b64 v[6:7], 1, v[6:7]
	s_waitcnt lgkmcnt(0)
	v_mov_b32_e32 v11, s13
	v_add_co_u32_e32 v6, vcc, s12, v6
	v_addc_co_u32_e32 v7, vcc, v11, v7, vcc
	global_store_short v[6:7], v10, off
	s_or_b64 exec, exec, s[8:9]
	s_and_saveexec_b64 s[8:9], s[6:7]
	s_cbranch_execnz .LBB176_49
	s_branch .LBB176_50
.LBB176_78:
	v_bfe_u32 v3, v17, 16, 1
	s_movk_i32 s11, 0x7fff
	v_add3_u32 v3, v17, v3, s11
	v_cmp_o_f32_e32 vcc, v17, v17
	v_mov_b32_e32 v6, 0x7fc0
	v_cndmask_b32_sdwa v3, v6, v3, vcc dst_sel:DWORD dst_unused:UNUSED_PAD src0_sel:DWORD src1_sel:WORD_1
	v_add_u32_e32 v6, v2, v0
	v_mov_b32_e32 v7, 0
	v_lshlrev_b64 v[6:7], 1, v[6:7]
	s_waitcnt lgkmcnt(0)
	v_mov_b32_e32 v10, s13
	v_add_co_u32_e32 v6, vcc, s12, v6
	v_addc_co_u32_e32 v7, vcc, v10, v7, vcc
	global_store_short v[6:7], v3, off
	s_or_b64 exec, exec, s[8:9]
	s_and_saveexec_b64 s[8:9], s[2:3]
	s_cbranch_execz .LBB176_53
.LBB176_79:
	v_bfe_u32 v3, v13, 16, 1
	s_movk_i32 s11, 0x7fff
	v_add3_u32 v3, v13, v3, s11
	v_cmp_o_f32_e32 vcc, v13, v13
	v_mov_b32_e32 v6, 0x7fc0
	v_cndmask_b32_sdwa v3, v6, v3, vcc dst_sel:DWORD dst_unused:UNUSED_PAD src0_sel:DWORD src1_sel:WORD_1
	v_add_u32_e32 v6, v2, v1
	v_mov_b32_e32 v7, 0
	v_lshlrev_b64 v[6:7], 1, v[6:7]
	s_waitcnt lgkmcnt(0)
	v_mov_b32_e32 v10, s13
	v_add_co_u32_e32 v6, vcc, s12, v6
	v_addc_co_u32_e32 v7, vcc, v10, v7, vcc
	global_store_short v[6:7], v3, off
	s_or_b64 exec, exec, s[8:9]
	s_and_saveexec_b64 s[8:9], s[4:5]
	s_cbranch_execz .LBB176_54
.LBB176_80:
	v_bfe_u32 v3, v9, 16, 1
	s_movk_i32 s11, 0x7fff
	v_add3_u32 v3, v9, v3, s11
	v_cmp_o_f32_e32 vcc, v9, v9
	v_mov_b32_e32 v6, 0x7fc0
	v_cndmask_b32_sdwa v3, v6, v3, vcc dst_sel:DWORD dst_unused:UNUSED_PAD src0_sel:DWORD src1_sel:WORD_1
	v_add_u32_e32 v6, v2, v19
	v_mov_b32_e32 v7, 0
	v_lshlrev_b64 v[6:7], 1, v[6:7]
	s_waitcnt lgkmcnt(0)
	v_mov_b32_e32 v9, s13
	v_add_co_u32_e32 v6, vcc, s12, v6
	v_addc_co_u32_e32 v7, vcc, v9, v7, vcc
	global_store_short v[6:7], v3, off
	s_or_b64 exec, exec, s[8:9]
	s_and_saveexec_b64 s[8:9], s[6:7]
	s_cbranch_execnz .LBB176_55
	s_branch .LBB176_56
.LBB176_81:
	v_bfe_u32 v3, v16, 16, 1
	s_movk_i32 s0, 0x7fff
	v_add3_u32 v3, v16, v3, s0
	v_cmp_o_f32_e32 vcc, v16, v16
	v_mov_b32_e32 v5, 0x7fc0
	v_cndmask_b32_sdwa v3, v5, v3, vcc dst_sel:DWORD dst_unused:UNUSED_PAD src0_sel:DWORD src1_sel:WORD_1
	v_add_u32_e32 v5, v2, v0
	v_mov_b32_e32 v6, 0
	v_lshlrev_b64 v[5:6], 1, v[5:6]
	s_waitcnt lgkmcnt(0)
	v_mov_b32_e32 v0, s13
	v_add_co_u32_e32 v5, vcc, s12, v5
	v_addc_co_u32_e32 v6, vcc, v0, v6, vcc
	global_store_short v[5:6], v3, off
	s_or_b64 exec, exec, s[8:9]
	s_and_saveexec_b64 s[0:1], s[2:3]
	s_cbranch_execz .LBB176_59
.LBB176_82:
	v_bfe_u32 v0, v12, 16, 1
	s_movk_i32 s2, 0x7fff
	v_add3_u32 v0, v12, v0, s2
	v_cmp_o_f32_e32 vcc, v12, v12
	v_mov_b32_e32 v3, 0x7fc0
	v_cndmask_b32_sdwa v3, v3, v0, vcc dst_sel:DWORD dst_unused:UNUSED_PAD src0_sel:DWORD src1_sel:WORD_1
	v_add_u32_e32 v0, v2, v1
	v_mov_b32_e32 v1, 0
	v_lshlrev_b64 v[0:1], 1, v[0:1]
	s_waitcnt lgkmcnt(0)
	v_mov_b32_e32 v5, s13
	v_add_co_u32_e32 v0, vcc, s12, v0
	v_addc_co_u32_e32 v1, vcc, v5, v1, vcc
	global_store_short v[0:1], v3, off
	s_or_b64 exec, exec, s[0:1]
	s_and_saveexec_b64 s[0:1], s[4:5]
	s_cbranch_execz .LBB176_60
.LBB176_83:
	v_bfe_u32 v0, v8, 16, 1
	s_movk_i32 s2, 0x7fff
	v_add3_u32 v0, v8, v0, s2
	v_cmp_o_f32_e32 vcc, v8, v8
	v_mov_b32_e32 v1, 0x7fc0
	v_cndmask_b32_sdwa v3, v1, v0, vcc dst_sel:DWORD dst_unused:UNUSED_PAD src0_sel:DWORD src1_sel:WORD_1
	v_add_u32_e32 v0, v2, v19
	v_mov_b32_e32 v1, 0
	v_lshlrev_b64 v[0:1], 1, v[0:1]
	s_waitcnt lgkmcnt(0)
	v_mov_b32_e32 v5, s13
	v_add_co_u32_e32 v0, vcc, s12, v0
	v_addc_co_u32_e32 v1, vcc, v5, v1, vcc
	global_store_short v[0:1], v3, off
	s_or_b64 exec, exec, s[0:1]
	s_and_b64 exec, exec, s[6:7]
	s_cbranch_execnz .LBB176_61
	s_branch .LBB176_62
	.section	.rodata,"a",@progbits
	.p2align	6, 0x0
	.amdhsa_kernel _ZL12mul_mat_q6_KIN3c108BFloat16ELb1EEvPKvS3_PT_iiiii
		.amdhsa_group_segment_fixed_size 45136
		.amdhsa_private_segment_fixed_size 248
		.amdhsa_kernarg_size 44
		.amdhsa_user_sgpr_count 6
		.amdhsa_user_sgpr_private_segment_buffer 1
		.amdhsa_user_sgpr_dispatch_ptr 0
		.amdhsa_user_sgpr_queue_ptr 0
		.amdhsa_user_sgpr_kernarg_segment_ptr 1
		.amdhsa_user_sgpr_dispatch_id 0
		.amdhsa_user_sgpr_flat_scratch_init 0
		.amdhsa_user_sgpr_private_segment_size 0
		.amdhsa_uses_dynamic_stack 0
		.amdhsa_system_sgpr_private_segment_wavefront_offset 1
		.amdhsa_system_sgpr_workgroup_id_x 1
		.amdhsa_system_sgpr_workgroup_id_y 1
		.amdhsa_system_sgpr_workgroup_id_z 0
		.amdhsa_system_sgpr_workgroup_info 0
		.amdhsa_system_vgpr_workitem_id 1
		.amdhsa_next_free_vgpr 256
		.amdhsa_next_free_sgpr 98
		.amdhsa_reserve_vcc 1
		.amdhsa_reserve_flat_scratch 0
		.amdhsa_float_round_mode_32 0
		.amdhsa_float_round_mode_16_64 0
		.amdhsa_float_denorm_mode_32 3
		.amdhsa_float_denorm_mode_16_64 3
		.amdhsa_dx10_clamp 1
		.amdhsa_ieee_mode 1
		.amdhsa_fp16_overflow 0
		.amdhsa_exception_fp_ieee_invalid_op 0
		.amdhsa_exception_fp_denorm_src 0
		.amdhsa_exception_fp_ieee_div_zero 0
		.amdhsa_exception_fp_ieee_overflow 0
		.amdhsa_exception_fp_ieee_underflow 0
		.amdhsa_exception_fp_ieee_inexact 0
		.amdhsa_exception_int_div_zero 0
	.end_amdhsa_kernel
	.section	.text._ZL12mul_mat_q6_KIN3c108BFloat16ELb1EEvPKvS3_PT_iiiii,"axG",@progbits,_ZL12mul_mat_q6_KIN3c108BFloat16ELb1EEvPKvS3_PT_iiiii,comdat
.Lfunc_end176:
	.size	_ZL12mul_mat_q6_KIN3c108BFloat16ELb1EEvPKvS3_PT_iiiii, .Lfunc_end176-_ZL12mul_mat_q6_KIN3c108BFloat16ELb1EEvPKvS3_PT_iiiii
                                        ; -- End function
	.set _ZL12mul_mat_q6_KIN3c108BFloat16ELb1EEvPKvS3_PT_iiiii.num_vgpr, 256
	.set _ZL12mul_mat_q6_KIN3c108BFloat16ELb1EEvPKvS3_PT_iiiii.num_agpr, 0
	.set _ZL12mul_mat_q6_KIN3c108BFloat16ELb1EEvPKvS3_PT_iiiii.numbered_sgpr, 28
	.set _ZL12mul_mat_q6_KIN3c108BFloat16ELb1EEvPKvS3_PT_iiiii.num_named_barrier, 0
	.set _ZL12mul_mat_q6_KIN3c108BFloat16ELb1EEvPKvS3_PT_iiiii.private_seg_size, 248
	.set _ZL12mul_mat_q6_KIN3c108BFloat16ELb1EEvPKvS3_PT_iiiii.uses_vcc, 1
	.set _ZL12mul_mat_q6_KIN3c108BFloat16ELb1EEvPKvS3_PT_iiiii.uses_flat_scratch, 0
	.set _ZL12mul_mat_q6_KIN3c108BFloat16ELb1EEvPKvS3_PT_iiiii.has_dyn_sized_stack, 0
	.set _ZL12mul_mat_q6_KIN3c108BFloat16ELb1EEvPKvS3_PT_iiiii.has_recursion, 0
	.set _ZL12mul_mat_q6_KIN3c108BFloat16ELb1EEvPKvS3_PT_iiiii.has_indirect_call, 0
	.section	.AMDGPU.csdata,"",@progbits
; Kernel info:
; codeLenInByte = 25504
; TotalNumSgprs: 32
; NumVgprs: 256
; ScratchSize: 248
; MemoryBound: 0
; FloatMode: 240
; IeeeMode: 1
; LDSByteSize: 45136 bytes/workgroup (compile time only)
; SGPRBlocks: 12
; VGPRBlocks: 63
; NumSGPRsForWavesPerEU: 102
; NumVGPRsForWavesPerEU: 256
; Occupancy: 1
; WaveLimiterHint : 0
; COMPUTE_PGM_RSRC2:SCRATCH_EN: 1
; COMPUTE_PGM_RSRC2:USER_SGPR: 6
; COMPUTE_PGM_RSRC2:TRAP_HANDLER: 0
; COMPUTE_PGM_RSRC2:TGID_X_EN: 1
; COMPUTE_PGM_RSRC2:TGID_Y_EN: 1
; COMPUTE_PGM_RSRC2:TGID_Z_EN: 0
; COMPUTE_PGM_RSRC2:TIDIG_COMP_CNT: 1
	.section	.text._ZL8moe_q4_0IfLb0EEvPKvS1_PT_PKiS5_S5_iiiiiii,"axG",@progbits,_ZL8moe_q4_0IfLb0EEvPKvS1_PT_PKiS5_S5_iiiiiii,comdat
	.globl	_ZL8moe_q4_0IfLb0EEvPKvS1_PT_PKiS5_S5_iiiiiii ; -- Begin function _ZL8moe_q4_0IfLb0EEvPKvS1_PT_PKiS5_S5_iiiiiii
	.p2align	8
	.type	_ZL8moe_q4_0IfLb0EEvPKvS1_PT_PKiS5_S5_iiiiiii,@function
_ZL8moe_q4_0IfLb0EEvPKvS1_PT_PKiS5_S5_iiiiiii: ; @_ZL8moe_q4_0IfLb0EEvPKvS1_PT_PKiS5_S5_iiiiiii
; %bb.0:
	s_load_dwordx4 s[0:3], s[4:5], 0x18
	s_mov_b32 s8, s7
	s_mov_b32 s9, 0
	s_lshl_b64 s[10:11], s[8:9], 2
	s_waitcnt lgkmcnt(0)
	s_add_u32 s2, s2, s10
	s_addc_u32 s3, s3, s11
	s_load_dword s2, s[2:3], 0x0
	s_waitcnt lgkmcnt(0)
	s_cmpk_gt_u32 s2, 0xff
	s_cbranch_scc1 .LBB177_30
; %bb.1:
	s_load_dwordx2 s[10:11], s[4:5], 0x28
	s_lshl_b32 s3, s8, 3
	s_waitcnt lgkmcnt(0)
	s_load_dword s7, s[10:11], 0x0
	s_waitcnt lgkmcnt(0)
	s_cmp_gt_u32 s3, s7
	s_cbranch_scc1 .LBB177_30
; %bb.2:
	v_add_u32_e32 v2, s3, v1
	v_mov_b32_e32 v3, 0
	v_lshlrev_b64 v[4:5], 2, v[2:3]
	v_mov_b32_e32 v2, s1
	v_add_co_u32_e32 v4, vcc, s0, v4
	v_addc_co_u32_e32 v5, vcc, v2, v5, vcc
	global_load_dword v4, v[4:5], off
	s_load_dwordx2 s[14:15], s[4:5], 0x30
	s_load_dwordx2 s[12:13], s[4:5], 0x10
	s_load_dwordx4 s[8:11], s[4:5], 0x3c
	s_lshl_b32 s18, s6, 7
	v_mov_b32_e32 v46, v3
	s_waitcnt lgkmcnt(0)
	s_cmp_lt_i32 s15, 32
	v_mov_b32_e32 v49, v3
	v_mov_b32_e32 v5, v3
	s_cbranch_scc1 .LBB177_21
; %bb.3:
	s_load_dwordx4 s[4:7], s[4:5], 0x0
	s_ashr_i32 s0, s15, 31
	s_ashr_i32 s1, s9, 31
	s_lshr_b32 s0, s0, 27
	s_lshr_b32 s1, s1, 27
	s_add_i32 s0, s15, s0
	s_add_i32 s1, s9, s1
	s_mul_i32 s2, s2, s14
	s_ashr_i32 s19, s0, 5
	s_ashr_i32 s9, s1, 5
	s_ashr_i32 s1, s2, 31
	s_waitcnt lgkmcnt(0)
	s_add_u32 s2, s4, s2
	s_mul_i32 s3, s19, s18
	v_mul_lo_u32 v8, s19, v1
	s_addc_u32 s1, s5, s1
	s_mul_hi_i32 s4, s3, 18
	s_mul_i32 s3, s3, 18
	s_add_u32 s14, s2, s3
	s_addc_u32 s20, s1, s4
	s_lshl_b32 s1, s19, 3
	v_add_u32_e32 v10, s1, v8
	v_add_u32_e32 v12, s1, v10
	;; [unrolled: 1-line block ×12, first 2 shown]
	v_lshrrev_b32_e32 v41, 3, v0
	v_add_u32_e32 v34, s1, v32
	v_lshl_add_u32 v3, v1, 2, v41
	v_add_u32_e32 v36, s1, v34
	v_and_b32_e32 v40, 7, v0
	v_add_u32_e32 v44, 32, v3
	v_add_u32_e32 v38, s1, v36
	v_lshlrev_b32_e32 v46, 2, v40
	s_movk_i32 s1, 0x4200
	v_and_b32_e32 v45, 0xffc, v44
	v_add3_u32 v66, v45, v46, s1
	v_add_u32_e32 v45, 64, v3
	v_mul_lo_u32 v42, s19, v3
	v_and_b32_e32 v43, 0x7fc, v3
	v_lshlrev_b32_e32 v65, 5, v3
	v_and_b32_e32 v47, 0xffc, v45
	v_add_u32_e32 v3, 0x60, v3
	v_add3_u32 v68, v47, v46, s1
	v_and_b32_e32 v47, 0xffc, v3
	s_abs_i32 s2, s11
	v_add3_u32 v49, v43, v46, s1
	v_add3_u32 v46, v47, v46, s1
	v_cvt_f32_u32_e32 v47, s2
	s_andn2_b32 s0, s0, 31
	v_add_u32_e32 v43, s0, v42
	v_lshlrev_b32_e32 v67, 5, v44
	v_rcp_iflag_f32_e32 v50, v47
	v_add_u32_e32 v44, s0, v43
	v_lshlrev_b32_e32 v69, 5, v45
	v_add_u32_e32 v45, s0, v44
	v_mul_f32_e32 v50, 0x4f7ffffe, v50
	v_cvt_u32_f32_e32 v52, v50
	s_sub_i32 s0, 0, s2
	v_lshlrev_b32_e32 v2, 2, v0
	s_movk_i32 s16, 0x84
	v_mul_lo_u32 v53, s0, v52
	v_mov_b32_e32 v47, 0x5280
	v_mov_b32_e32 v50, 0x5680
	v_mad_u32_u24 v9, v1, s16, v2
	v_lshl_add_u32 v47, v1, 7, v47
	v_lshl_add_u32 v50, v1, 4, v50
	v_mul_hi_u32 v1, v52, v53
	v_and_b32_e32 v7, 12, v2
	v_and_b32_e32 v55, 28, v2
	v_add_u32_e32 v51, v50, v2
	s_waitcnt vmcnt(0)
	v_sub_u32_e32 v2, 0, v4
	v_max_i32_e32 v2, v4, v2
	v_add_u32_e32 v1, v52, v1
	v_mul_hi_u32 v1, v2, v1
	v_xor_b32_e32 v59, s11, v4
	v_ashrrev_i32_e32 v59, 31, v59
	v_add_u32_e32 v58, 32, v0
	v_mul_lo_u32 v54, v1, s2
	v_add_u32_e32 v57, 64, v0
	v_add_u32_e32 v56, 0x60, v0
	v_lshrrev_b32_e32 v53, 3, v58
	v_sub_u32_e32 v2, v2, v54
	v_add_u32_e32 v54, 1, v1
	v_cmp_le_u32_e64 s[0:1], s2, v2
	v_cndmask_b32_e64 v1, v1, v54, s[0:1]
	v_subrev_u32_e32 v54, s2, v2
	v_cndmask_b32_e64 v2, v2, v54, s[0:1]
	v_add_u32_e32 v54, 1, v1
	v_cmp_le_u32_e64 s[0:1], s2, v2
	v_cndmask_b32_e64 v1, v1, v54, s[0:1]
	v_xor_b32_e32 v1, v1, v59
	v_sub_u32_e32 v1, v1, v59
	v_mul_lo_u32 v54, v1, s9
	v_lshlrev_b32_e32 v59, 5, v0
	v_and_b32_e32 v56, 0x1fc, v56
	v_and_b32_e32 v57, 0x1fc, v57
	;; [unrolled: 1-line block ×4, first 2 shown]
	v_lshlrev_b32_e32 v3, 5, v3
	v_and_b32_e32 v48, 31, v0
	v_cmp_gt_u32_e32 vcc, 4, v0
	v_cmp_gt_i32_e64 s[0:1], s8, v1
	v_mov_b32_e32 v2, s7
	v_add_co_u32_e64 v1, s[2:3], s6, v55
	v_add_u32_e32 v61, v59, v56
	v_add_u32_e32 v62, v59, v57
	;; [unrolled: 1-line block ×4, first 2 shown]
	v_lshrrev_b32_e32 v6, 2, v0
	v_mov_b32_e32 v5, 0
	v_add_u32_e32 v11, 0x420, v9
	v_add_u32_e32 v13, 0x840, v9
	;; [unrolled: 1-line block ×15, first 2 shown]
	v_lshl_or_b32 v48, v48, 2, v47
	v_mul_u32_u24_e32 v52, 0x84, v0
	s_mov_b32 s21, 0
	v_addc_co_u32_e64 v2, s[2:3], 0, v2, s[2:3]
	s_and_b64 s[4:5], vcc, s[0:1]
	v_ashrrev_i32_e32 v55, 31, v54
	v_add_u32_e32 v56, 0x4e00, v61
	v_add_u32_e32 v57, 0x4a00, v62
	;; [unrolled: 1-line block ×4, first 2 shown]
	v_mad_u32_u24 v60, v0, s16, 64
	v_add_u32_e32 v61, 0x4e10, v61
	v_add_u32_e32 v62, 0x4a10, v62
	;; [unrolled: 1-line block ×8, first 2 shown]
	v_mov_b32_e32 v49, 0
	v_mov_b32_e32 v46, 0
	;; [unrolled: 1-line block ×3, first 2 shown]
	s_branch .LBB177_5
.LBB177_4:                              ;   in Loop: Header=BB177_5 Depth=1
	s_add_i32 s21, s21, 8
	s_cmp_ge_i32 s21, s19
	s_cbranch_scc1 .LBB177_21
.LBB177_5:                              ; =>This Loop Header: Depth=1
                                        ;     Child Loop BB177_11 Depth 2
                                        ;     Child Loop BB177_19 Depth 2
	s_mul_i32 s3, s21, 18
	s_mul_hi_u32 s2, s21, 18
	s_add_u32 s16, s14, s3
	s_addc_u32 s17, s20, s2
	v_mad_u64_u32 v[69:70], s[2:3], v6, 18, s[16:17]
	v_mad_u64_u32 v[71:72], s[2:3], v8, 18, v[69:70]
	;; [unrolled: 1-line block ×3, first 2 shown]
	v_add_co_u32_e64 v71, s[2:3], v71, v7
	v_addc_co_u32_e64 v72, s[2:3], 0, v72, s[2:3]
	v_add_co_u32_e64 v73, s[2:3], v73, v7
	v_addc_co_u32_e64 v74, s[2:3], 0, v74, s[2:3]
	v_mad_u64_u32 v[75:76], s[2:3], v12, 18, v[69:70]
	v_mad_u64_u32 v[77:78], s[2:3], v14, 18, v[69:70]
	v_add_co_u32_e64 v75, s[2:3], v75, v7
	v_addc_co_u32_e64 v76, s[2:3], 0, v76, s[2:3]
	v_add_co_u32_e64 v77, s[2:3], v77, v7
	v_addc_co_u32_e64 v78, s[2:3], 0, v78, s[2:3]
	v_mad_u64_u32 v[79:80], s[2:3], v16, 18, v[69:70]
	v_mad_u64_u32 v[81:82], s[2:3], v18, 18, v[69:70]
	;; [unrolled: 6-line block ×3, first 2 shown]
	v_add_co_u32_e64 v83, s[2:3], v83, v7
	v_addc_co_u32_e64 v84, s[2:3], 0, v84, s[2:3]
	v_add_co_u32_e64 v85, s[2:3], v85, v7
	v_addc_co_u32_e64 v86, s[2:3], 0, v86, s[2:3]
	global_load_dword v87, v[71:72], off offset:2
	global_load_dword v88, v[73:74], off offset:2
	;; [unrolled: 1-line block ×8, first 2 shown]
	v_mad_u64_u32 v[71:72], s[2:3], v24, 18, v[69:70]
	v_mad_u64_u32 v[73:74], s[2:3], v26, 18, v[69:70]
	v_add_co_u32_e64 v71, s[2:3], v71, v7
	v_addc_co_u32_e64 v72, s[2:3], 0, v72, s[2:3]
	v_add_co_u32_e64 v73, s[2:3], v73, v7
	v_addc_co_u32_e64 v74, s[2:3], 0, v74, s[2:3]
	v_mad_u64_u32 v[75:76], s[2:3], v28, 18, v[69:70]
	v_mad_u64_u32 v[77:78], s[2:3], v30, 18, v[69:70]
	v_add_co_u32_e64 v75, s[2:3], v75, v7
	v_addc_co_u32_e64 v76, s[2:3], 0, v76, s[2:3]
	v_add_co_u32_e64 v77, s[2:3], v77, v7
	v_addc_co_u32_e64 v78, s[2:3], 0, v78, s[2:3]
	;; [unrolled: 6-line block ×4, first 2 shown]
	v_mad_u64_u32 v[85:86], s[2:3], v40, 18, s[16:17]
	global_load_dword v95, v[71:72], off offset:2
	global_load_dword v96, v[73:74], off offset:2
	s_nop 0
	global_load_dword v75, v[75:76], off offset:2
	s_nop 0
	;; [unrolled: 2-line block ×3, first 2 shown]
	global_load_dword v77, v[79:80], off offset:2
	global_load_dword v78, v[81:82], off offset:2
	s_nop 0
	global_load_dword v79, v[83:84], off offset:2
	global_load_dword v80, v[69:70], off offset:2
	s_lshl_b32 s16, s21, 5
	v_mad_u64_u32 v[69:70], s[2:3], v42, 18, v[85:86]
	v_mad_u64_u32 v[71:72], s[2:3], v43, 18, v[85:86]
	;; [unrolled: 1-line block ×3, first 2 shown]
	global_load_ushort v81, v[69:70], off
	s_nop 0
	global_load_ushort v71, v[71:72], off
	v_mad_u64_u32 v[69:70], s[2:3], v45, 18, v[85:86]
	global_load_ushort v72, v[73:74], off
	s_nop 0
	global_load_ushort v69, v[69:70], off
	s_cmp_lt_i32 s16, s15
	s_waitcnt vmcnt(19)
	ds_write_b32 v9, v87
	s_waitcnt vmcnt(18)
	ds_write_b32 v11, v88
	;; [unrolled: 2-line block ×16, first 2 shown]
	s_waitcnt vmcnt(3)
	v_cvt_f32_f16_e32 v70, v81
	s_waitcnt vmcnt(2)
	v_cvt_f32_f16_e32 v71, v71
	ds_write_b32 v65, v70
	ds_write_b32 v66, v71
	s_waitcnt vmcnt(1)
	v_cvt_f32_f16_e32 v72, v72
	s_waitcnt vmcnt(0)
	v_cvt_f32_f16_e32 v69, v69
	ds_write_b32 v67, v72
	ds_write_b32 v68, v69
	s_cbranch_scc0 .LBB177_4
; %bb.6:                                ;   in Loop: Header=BB177_5 Depth=1
	v_add_u32_e32 v69, s21, v41
	v_cmp_gt_i32_e64 s[2:3], s9, v69
	s_and_b64 s[22:23], s[0:1], s[2:3]
	s_and_saveexec_b64 s[2:3], s[22:23]
	s_cbranch_execz .LBB177_8
; %bb.7:                                ;   in Loop: Header=BB177_5 Depth=1
	v_add_u32_e32 v69, v54, v69
	v_mad_i64_i32 v[69:70], s[22:23], v69, 36, v[1:2]
	global_load_dword v69, v[69:70], off offset:4
	s_waitcnt vmcnt(0)
	ds_write_b32 v48, v69
.LBB177_8:                              ;   in Loop: Header=BB177_5 Depth=1
	s_or_b64 exec, exec, s[2:3]
	v_add_u32_e32 v69, s21, v0
	v_cmp_gt_i32_e64 s[2:3], s9, v69
	s_and_b64 s[22:23], s[4:5], s[2:3]
	s_and_saveexec_b64 s[2:3], s[22:23]
	s_cbranch_execz .LBB177_10
; %bb.9:                                ;   in Loop: Header=BB177_5 Depth=1
	v_add_u32_e32 v70, v54, v69
	v_mad_i64_i32 v[70:71], s[22:23], v70, 36, s[6:7]
	global_load_dword v70, v[70:71], off
	s_waitcnt vmcnt(0)
	ds_write_b32 v51, v70
.LBB177_10:                             ;   in Loop: Header=BB177_5 Depth=1
	s_or_b64 exec, exec, s[2:3]
	s_mov_b32 s2, -4
	v_mov_b32_e32 v70, v47
	v_mov_b32_e32 v71, v50
	;; [unrolled: 1-line block ×7, first 2 shown]
	s_waitcnt lgkmcnt(0)
	s_barrier
.LBB177_11:                             ;   Parent Loop BB177_5 Depth=1
                                        ; =>  This Inner Loop Header: Depth=2
	v_add_u32_e32 v89, 0x1080, v76
	v_add_u32_e32 v91, 0x1088, v76
	;; [unrolled: 1-line block ×6, first 2 shown]
	ds_read_b128 v[77:80], v70
	ds_read_b128 v[81:84], v70 offset:16
	ds_read2_b32 v[85:86], v76 offset0:2 offset1:3
	ds_read_b32 v101, v71
	ds_read_b32 v102, v72
	ds_read2_b32 v[87:88], v76 offset1:1
	ds_read_b32 v103, v73
	ds_read_b32 v104, v74
	;; [unrolled: 1-line block ×3, first 2 shown]
	ds_read2_b32 v[89:90], v89 offset1:1
	ds_read2_b32 v[91:92], v91 offset1:1
	;; [unrolled: 1-line block ×6, first 2 shown]
	s_waitcnt lgkmcnt(9)
	v_and_b32_e32 v107, 0xf0f0f0f, v87
	v_lshrrev_b32_e32 v87, 4, v87
	v_and_b32_e32 v87, 0xf0f0f0f, v87
	v_dot4_i32_i8 v107, v107, v77, 0
	s_waitcnt lgkmcnt(5)
	v_and_b32_e32 v111, 0xf0f0f0f, v89
	v_lshrrev_b32_e32 v89, 4, v89
	s_waitcnt lgkmcnt(3)
	v_and_b32_e32 v115, 0xf0f0f0f, v93
	v_lshrrev_b32_e32 v93, 4, v93
	;; [unrolled: 3-line block ×3, first 2 shown]
	v_and_b32_e32 v108, 0xf0f0f0f, v88
	v_lshrrev_b32_e32 v88, 4, v88
	v_dot4_i32_i8 v87, v87, v81, v107
	v_and_b32_e32 v89, 0xf0f0f0f, v89
	v_dot4_i32_i8 v107, v111, v77, 0
	v_and_b32_e32 v93, 0xf0f0f0f, v93
	;; [unrolled: 2-line block ×4, first 2 shown]
	v_and_b32_e32 v112, 0xf0f0f0f, v90
	v_lshrrev_b32_e32 v90, 4, v90
	v_and_b32_e32 v116, 0xf0f0f0f, v94
	v_lshrrev_b32_e32 v94, 4, v94
	;; [unrolled: 2-line block ×3, first 2 shown]
	v_dot4_i32_i8 v87, v108, v78, v87
	v_dot4_i32_i8 v89, v89, v81, v107
	;; [unrolled: 1-line block ×4, first 2 shown]
	v_and_b32_e32 v109, 0xf0f0f0f, v85
	v_lshrrev_b32_e32 v85, 4, v85
	v_and_b32_e32 v90, 0xf0f0f0f, v90
	v_and_b32_e32 v94, 0xf0f0f0f, v94
	;; [unrolled: 1-line block ×3, first 2 shown]
	v_dot4_i32_i8 v87, v88, v82, v87
	v_dot4_i32_i8 v88, v112, v78, v89
	;; [unrolled: 1-line block ×4, first 2 shown]
	v_and_b32_e32 v85, 0xf0f0f0f, v85
	v_and_b32_e32 v113, 0xf0f0f0f, v91
	v_lshrrev_b32_e32 v91, 4, v91
	v_and_b32_e32 v117, 0xf0f0f0f, v95
	v_lshrrev_b32_e32 v95, 4, v95
	s_waitcnt lgkmcnt(0)
	v_and_b32_e32 v121, 0xf0f0f0f, v99
	v_lshrrev_b32_e32 v99, 4, v99
	v_dot4_i32_i8 v78, v109, v79, v87
	v_dot4_i32_i8 v87, v90, v82, v88
	;; [unrolled: 1-line block ×4, first 2 shown]
	v_and_b32_e32 v110, 0xf0f0f0f, v86
	v_lshrrev_b32_e32 v86, 4, v86
	v_and_b32_e32 v91, 0xf0f0f0f, v91
	v_and_b32_e32 v95, 0xf0f0f0f, v95
	;; [unrolled: 1-line block ×3, first 2 shown]
	v_dot4_i32_i8 v78, v85, v83, v78
	v_dot4_i32_i8 v82, v113, v79, v87
	;; [unrolled: 1-line block ×4, first 2 shown]
	v_and_b32_e32 v86, 0xf0f0f0f, v86
	v_and_b32_e32 v114, 0xf0f0f0f, v92
	v_lshrrev_b32_e32 v92, 4, v92
	v_and_b32_e32 v118, 0xf0f0f0f, v96
	v_lshrrev_b32_e32 v96, 4, v96
	;; [unrolled: 2-line block ×3, first 2 shown]
	v_dot4_i32_i8 v78, v110, v80, v78
	v_dot4_i32_i8 v79, v91, v83, v82
	;; [unrolled: 1-line block ×4, first 2 shown]
	v_cvt_f32_f16_sdwa v106, v101 dst_sel:DWORD dst_unused:UNUSED_PAD src0_sel:WORD_1
	v_and_b32_e32 v92, 0xf0f0f0f, v92
	v_and_b32_e32 v96, 0xf0f0f0f, v96
	;; [unrolled: 1-line block ×3, first 2 shown]
	v_dot4_i32_i8 v78, v86, v84, v78
	v_dot4_i32_i8 v79, v114, v80, v79
	;; [unrolled: 1-line block ×4, first 2 shown]
	v_cvt_f32_i32_e32 v78, v78
	v_dot4_i32_i8 v79, v92, v84, v79
	v_dot4_i32_i8 v80, v96, v84, v82
	;; [unrolled: 1-line block ×3, first 2 shown]
	v_cvt_f32_i32_e32 v79, v79
	v_cvt_f32_i32_e32 v80, v80
	;; [unrolled: 1-line block ×3, first 2 shown]
	v_mul_f32_e32 v81, 0xc1000000, v106
	v_fma_mix_f32 v78, v101, v78, v81 op_sel_hi:[1,0,0]
	s_add_i32 s2, s2, 4
	v_fmac_f32_e32 v5, v102, v78
	v_fma_mix_f32 v78, v101, v79, v81 op_sel_hi:[1,0,0]
	v_fma_mix_f32 v79, v101, v80, v81 op_sel_hi:[1,0,0]
	;; [unrolled: 1-line block ×3, first 2 shown]
	v_add_u32_e32 v76, 16, v76
	v_add_u32_e32 v75, 4, v75
	;; [unrolled: 1-line block ×7, first 2 shown]
	s_cmp_lt_u32 s2, 12
	v_fmac_f32_e32 v49, v103, v78
	v_fmac_f32_e32 v46, v104, v79
	;; [unrolled: 1-line block ×3, first 2 shown]
	s_cbranch_scc1 .LBB177_11
; %bb.12:                               ;   in Loop: Header=BB177_5 Depth=1
	s_bitset1_b32 s16, 7
	s_cmp_ge_i32 s16, s15
	s_barrier
	s_cbranch_scc1 .LBB177_4
; %bb.13:                               ;   in Loop: Header=BB177_5 Depth=1
	v_add_u32_e32 v70, s21, v53
	v_cmp_gt_i32_e64 s[2:3], s9, v70
	s_and_b64 s[16:17], s[0:1], s[2:3]
	s_and_saveexec_b64 s[2:3], s[16:17]
	s_cbranch_execz .LBB177_15
; %bb.14:                               ;   in Loop: Header=BB177_5 Depth=1
	v_add_u32_e32 v70, v54, v70
	v_mad_i64_i32 v[70:71], s[16:17], v70, 36, v[1:2]
	global_load_dword v70, v[70:71], off offset:4
	s_waitcnt vmcnt(0)
	ds_write_b32 v48, v70
.LBB177_15:                             ;   in Loop: Header=BB177_5 Depth=1
	s_or_b64 exec, exec, s[2:3]
	s_and_saveexec_b64 s[16:17], vcc
	s_cbranch_execz .LBB177_18
; %bb.16:                               ;   in Loop: Header=BB177_5 Depth=1
	v_or_b32_e32 v70, 4, v69
	v_cmp_gt_i32_e64 s[2:3], s9, v70
	s_and_b64 s[2:3], s[0:1], s[2:3]
	s_and_b64 exec, exec, s[2:3]
	s_cbranch_execz .LBB177_18
; %bb.17:                               ;   in Loop: Header=BB177_5 Depth=1
	v_ashrrev_i32_e32 v70, 31, v69
	v_add_co_u32_e64 v69, s[2:3], v54, v69
	v_addc_co_u32_e64 v71, s[2:3], v55, v70, s[2:3]
	v_mad_u64_u32 v[69:70], s[2:3], v69, 36, s[6:7]
	v_mad_i32_i24 v70, v71, 36, v70
	global_load_dword v69, v[69:70], off offset:144
	s_waitcnt vmcnt(0)
	ds_write_b32 v51, v69
.LBB177_18:                             ;   in Loop: Header=BB177_5 Depth=1
	s_or_b64 exec, exec, s[16:17]
	s_mov_b32 s2, 12
	v_mov_b32_e32 v69, v50
	v_mov_b32_e32 v70, v47
	v_mov_b32_e32 v71, v64
	v_mov_b32_e32 v72, v63
	v_mov_b32_e32 v73, v62
	v_mov_b32_e32 v74, v61
	v_mov_b32_e32 v75, v60
	s_waitcnt lgkmcnt(0)
	s_barrier
.LBB177_19:                             ;   Parent Loop BB177_5 Depth=1
                                        ; =>  This Inner Loop Header: Depth=2
	v_add_u32_e32 v88, 0x1080, v75
	v_add_u32_e32 v90, 0x1088, v75
	;; [unrolled: 1-line block ×6, first 2 shown]
	ds_read_b128 v[76:79], v70
	ds_read_b128 v[80:83], v70 offset:16
	ds_read_b32 v100, v69
	ds_read2_b32 v[84:85], v75 offset0:2 offset1:3
	ds_read_b32 v101, v71
	ds_read2_b32 v[86:87], v75 offset1:1
	ds_read_b32 v102, v72
	ds_read_b32 v103, v73
	;; [unrolled: 1-line block ×3, first 2 shown]
	ds_read2_b32 v[88:89], v88 offset1:1
	ds_read2_b32 v[90:91], v90 offset1:1
	;; [unrolled: 1-line block ×6, first 2 shown]
	s_waitcnt lgkmcnt(9)
	v_and_b32_e32 v106, 0xf0f0f0f, v86
	v_lshrrev_b32_e32 v86, 4, v86
	v_and_b32_e32 v86, 0xf0f0f0f, v86
	v_dot4_i32_i8 v106, v106, v76, 0
	s_waitcnt lgkmcnt(5)
	v_and_b32_e32 v110, 0xf0f0f0f, v88
	v_lshrrev_b32_e32 v88, 4, v88
	s_waitcnt lgkmcnt(3)
	v_and_b32_e32 v114, 0xf0f0f0f, v92
	v_lshrrev_b32_e32 v92, 4, v92
	;; [unrolled: 3-line block ×3, first 2 shown]
	v_and_b32_e32 v107, 0xf0f0f0f, v87
	v_lshrrev_b32_e32 v87, 4, v87
	v_dot4_i32_i8 v86, v86, v80, v106
	v_and_b32_e32 v88, 0xf0f0f0f, v88
	v_dot4_i32_i8 v106, v110, v76, 0
	v_and_b32_e32 v92, 0xf0f0f0f, v92
	;; [unrolled: 2-line block ×4, first 2 shown]
	v_and_b32_e32 v111, 0xf0f0f0f, v89
	v_lshrrev_b32_e32 v89, 4, v89
	v_and_b32_e32 v115, 0xf0f0f0f, v93
	v_lshrrev_b32_e32 v93, 4, v93
	;; [unrolled: 2-line block ×3, first 2 shown]
	v_dot4_i32_i8 v86, v107, v77, v86
	v_dot4_i32_i8 v88, v88, v80, v106
	;; [unrolled: 1-line block ×4, first 2 shown]
	v_and_b32_e32 v108, 0xf0f0f0f, v84
	v_lshrrev_b32_e32 v84, 4, v84
	v_and_b32_e32 v89, 0xf0f0f0f, v89
	v_and_b32_e32 v93, 0xf0f0f0f, v93
	;; [unrolled: 1-line block ×3, first 2 shown]
	v_dot4_i32_i8 v86, v87, v81, v86
	v_dot4_i32_i8 v87, v111, v77, v88
	v_dot4_i32_i8 v88, v115, v77, v92
	v_dot4_i32_i8 v76, v119, v77, v76
	v_and_b32_e32 v84, 0xf0f0f0f, v84
	v_and_b32_e32 v112, 0xf0f0f0f, v90
	v_lshrrev_b32_e32 v90, 4, v90
	v_and_b32_e32 v116, 0xf0f0f0f, v94
	v_lshrrev_b32_e32 v94, 4, v94
	s_waitcnt lgkmcnt(0)
	v_and_b32_e32 v120, 0xf0f0f0f, v98
	v_lshrrev_b32_e32 v98, 4, v98
	v_dot4_i32_i8 v77, v108, v78, v86
	v_dot4_i32_i8 v86, v89, v81, v87
	;; [unrolled: 1-line block ×4, first 2 shown]
	v_and_b32_e32 v109, 0xf0f0f0f, v85
	v_lshrrev_b32_e32 v85, 4, v85
	v_and_b32_e32 v90, 0xf0f0f0f, v90
	v_and_b32_e32 v94, 0xf0f0f0f, v94
	;; [unrolled: 1-line block ×3, first 2 shown]
	v_dot4_i32_i8 v77, v84, v82, v77
	v_dot4_i32_i8 v81, v112, v78, v86
	;; [unrolled: 1-line block ×4, first 2 shown]
	v_and_b32_e32 v85, 0xf0f0f0f, v85
	v_and_b32_e32 v113, 0xf0f0f0f, v91
	v_lshrrev_b32_e32 v91, 4, v91
	v_and_b32_e32 v117, 0xf0f0f0f, v95
	v_lshrrev_b32_e32 v95, 4, v95
	;; [unrolled: 2-line block ×3, first 2 shown]
	v_dot4_i32_i8 v77, v109, v79, v77
	v_dot4_i32_i8 v78, v90, v82, v81
	;; [unrolled: 1-line block ×4, first 2 shown]
	v_cvt_f32_f16_sdwa v105, v100 dst_sel:DWORD dst_unused:UNUSED_PAD src0_sel:WORD_1
	v_and_b32_e32 v91, 0xf0f0f0f, v91
	v_and_b32_e32 v95, 0xf0f0f0f, v95
	;; [unrolled: 1-line block ×3, first 2 shown]
	v_dot4_i32_i8 v77, v85, v83, v77
	v_dot4_i32_i8 v78, v113, v79, v78
	;; [unrolled: 1-line block ×4, first 2 shown]
	v_cvt_f32_i32_e32 v77, v77
	v_dot4_i32_i8 v78, v91, v83, v78
	v_dot4_i32_i8 v79, v95, v83, v81
	;; [unrolled: 1-line block ×3, first 2 shown]
	v_cvt_f32_i32_e32 v78, v78
	v_cvt_f32_i32_e32 v79, v79
	;; [unrolled: 1-line block ×3, first 2 shown]
	v_mul_f32_e32 v80, 0xc1000000, v105
	v_fma_mix_f32 v77, v100, v77, v80 op_sel_hi:[1,0,0]
	s_add_i32 s2, s2, 4
	v_fmac_f32_e32 v5, v101, v77
	v_fma_mix_f32 v77, v100, v78, v80 op_sel_hi:[1,0,0]
	v_fma_mix_f32 v78, v100, v79, v80 op_sel_hi:[1,0,0]
	;; [unrolled: 1-line block ×3, first 2 shown]
	v_add_u32_e32 v75, 16, v75
	v_add_u32_e32 v74, 4, v74
	;; [unrolled: 1-line block ×7, first 2 shown]
	s_cmp_lt_u32 s2, 28
	v_fmac_f32_e32 v49, v102, v77
	v_fmac_f32_e32 v46, v103, v78
	;; [unrolled: 1-line block ×3, first 2 shown]
	s_cbranch_scc1 .LBB177_19
; %bb.20:                               ;   in Loop: Header=BB177_5 Depth=1
	s_barrier
	s_branch .LBB177_4
.LBB177_21:
	s_mul_i32 s0, s11, s8
	s_waitcnt vmcnt(0)
	v_cmp_gt_i32_e32 vcc, s0, v4
	s_and_saveexec_b64 s[0:1], vcc
	s_cbranch_execz .LBB177_30
; %bb.22:
	v_mul_lo_u32 v1, v4, s10
	v_add_u32_e32 v0, s18, v0
	v_cmp_gt_u32_e32 vcc, s10, v0
	s_and_saveexec_b64 s[0:1], vcc
	s_cbranch_execz .LBB177_24
; %bb.23:
	v_add_u32_e32 v6, v1, v0
	v_mov_b32_e32 v7, 0
	v_lshlrev_b64 v[6:7], 2, v[6:7]
	v_mov_b32_e32 v2, s13
	v_add_co_u32_e32 v6, vcc, s12, v6
	v_addc_co_u32_e32 v7, vcc, v2, v7, vcc
	global_store_dword v[6:7], v5, off
.LBB177_24:
	s_or_b64 exec, exec, s[0:1]
	v_add_u32_e32 v2, 32, v0
	v_cmp_gt_u32_e32 vcc, s10, v2
	s_and_saveexec_b64 s[0:1], vcc
	s_cbranch_execz .LBB177_26
; %bb.25:
	v_add_u32_e32 v4, v1, v2
	v_mov_b32_e32 v5, 0
	v_lshlrev_b64 v[4:5], 2, v[4:5]
	v_mov_b32_e32 v2, s13
	v_add_co_u32_e32 v4, vcc, s12, v4
	v_addc_co_u32_e32 v5, vcc, v2, v5, vcc
	global_store_dword v[4:5], v49, off
.LBB177_26:
	s_or_b64 exec, exec, s[0:1]
	;; [unrolled: 14-line block ×3, first 2 shown]
	v_add_u32_e32 v0, 0x60, v0
	v_cmp_gt_u32_e32 vcc, s10, v0
	s_and_b64 exec, exec, vcc
	s_cbranch_execz .LBB177_30
; %bb.29:
	v_add_u32_e32 v0, v1, v0
	v_mov_b32_e32 v1, 0
	v_lshlrev_b64 v[0:1], 2, v[0:1]
	v_mov_b32_e32 v2, s13
	v_add_co_u32_e32 v0, vcc, s12, v0
	v_addc_co_u32_e32 v1, vcc, v2, v1, vcc
	global_store_dword v[0:1], v3, off
.LBB177_30:
	s_endpgm
	.section	.rodata,"a",@progbits
	.p2align	6, 0x0
	.amdhsa_kernel _ZL8moe_q4_0IfLb0EEvPKvS1_PT_PKiS5_S5_iiiiiii
		.amdhsa_group_segment_fixed_size 22272
		.amdhsa_private_segment_fixed_size 0
		.amdhsa_kernarg_size 76
		.amdhsa_user_sgpr_count 6
		.amdhsa_user_sgpr_private_segment_buffer 1
		.amdhsa_user_sgpr_dispatch_ptr 0
		.amdhsa_user_sgpr_queue_ptr 0
		.amdhsa_user_sgpr_kernarg_segment_ptr 1
		.amdhsa_user_sgpr_dispatch_id 0
		.amdhsa_user_sgpr_flat_scratch_init 0
		.amdhsa_user_sgpr_private_segment_size 0
		.amdhsa_uses_dynamic_stack 0
		.amdhsa_system_sgpr_private_segment_wavefront_offset 0
		.amdhsa_system_sgpr_workgroup_id_x 1
		.amdhsa_system_sgpr_workgroup_id_y 1
		.amdhsa_system_sgpr_workgroup_id_z 0
		.amdhsa_system_sgpr_workgroup_info 0
		.amdhsa_system_vgpr_workitem_id 1
		.amdhsa_next_free_vgpr 123
		.amdhsa_next_free_sgpr 98
		.amdhsa_reserve_vcc 1
		.amdhsa_reserve_flat_scratch 0
		.amdhsa_float_round_mode_32 0
		.amdhsa_float_round_mode_16_64 0
		.amdhsa_float_denorm_mode_32 3
		.amdhsa_float_denorm_mode_16_64 3
		.amdhsa_dx10_clamp 1
		.amdhsa_ieee_mode 1
		.amdhsa_fp16_overflow 0
		.amdhsa_exception_fp_ieee_invalid_op 0
		.amdhsa_exception_fp_denorm_src 0
		.amdhsa_exception_fp_ieee_div_zero 0
		.amdhsa_exception_fp_ieee_overflow 0
		.amdhsa_exception_fp_ieee_underflow 0
		.amdhsa_exception_fp_ieee_inexact 0
		.amdhsa_exception_int_div_zero 0
	.end_amdhsa_kernel
	.section	.text._ZL8moe_q4_0IfLb0EEvPKvS1_PT_PKiS5_S5_iiiiiii,"axG",@progbits,_ZL8moe_q4_0IfLb0EEvPKvS1_PT_PKiS5_S5_iiiiiii,comdat
.Lfunc_end177:
	.size	_ZL8moe_q4_0IfLb0EEvPKvS1_PT_PKiS5_S5_iiiiiii, .Lfunc_end177-_ZL8moe_q4_0IfLb0EEvPKvS1_PT_PKiS5_S5_iiiiiii
                                        ; -- End function
	.set _ZL8moe_q4_0IfLb0EEvPKvS1_PT_PKiS5_S5_iiiiiii.num_vgpr, 123
	.set _ZL8moe_q4_0IfLb0EEvPKvS1_PT_PKiS5_S5_iiiiiii.num_agpr, 0
	.set _ZL8moe_q4_0IfLb0EEvPKvS1_PT_PKiS5_S5_iiiiiii.numbered_sgpr, 24
	.set _ZL8moe_q4_0IfLb0EEvPKvS1_PT_PKiS5_S5_iiiiiii.num_named_barrier, 0
	.set _ZL8moe_q4_0IfLb0EEvPKvS1_PT_PKiS5_S5_iiiiiii.private_seg_size, 0
	.set _ZL8moe_q4_0IfLb0EEvPKvS1_PT_PKiS5_S5_iiiiiii.uses_vcc, 1
	.set _ZL8moe_q4_0IfLb0EEvPKvS1_PT_PKiS5_S5_iiiiiii.uses_flat_scratch, 0
	.set _ZL8moe_q4_0IfLb0EEvPKvS1_PT_PKiS5_S5_iiiiiii.has_dyn_sized_stack, 0
	.set _ZL8moe_q4_0IfLb0EEvPKvS1_PT_PKiS5_S5_iiiiiii.has_recursion, 0
	.set _ZL8moe_q4_0IfLb0EEvPKvS1_PT_PKiS5_S5_iiiiiii.has_indirect_call, 0
	.section	.AMDGPU.csdata,"",@progbits
; Kernel info:
; codeLenInByte = 4368
; TotalNumSgprs: 28
; NumVgprs: 123
; ScratchSize: 0
; MemoryBound: 0
; FloatMode: 240
; IeeeMode: 1
; LDSByteSize: 22272 bytes/workgroup (compile time only)
; SGPRBlocks: 12
; VGPRBlocks: 30
; NumSGPRsForWavesPerEU: 102
; NumVGPRsForWavesPerEU: 123
; Occupancy: 2
; WaveLimiterHint : 1
; COMPUTE_PGM_RSRC2:SCRATCH_EN: 0
; COMPUTE_PGM_RSRC2:USER_SGPR: 6
; COMPUTE_PGM_RSRC2:TRAP_HANDLER: 0
; COMPUTE_PGM_RSRC2:TGID_X_EN: 1
; COMPUTE_PGM_RSRC2:TGID_Y_EN: 1
; COMPUTE_PGM_RSRC2:TGID_Z_EN: 0
; COMPUTE_PGM_RSRC2:TIDIG_COMP_CNT: 1
	.section	.text._ZL8moe_q4_0IfLb1EEvPKvS1_PT_PKiS5_S5_iiiiiii,"axG",@progbits,_ZL8moe_q4_0IfLb1EEvPKvS1_PT_PKiS5_S5_iiiiiii,comdat
	.globl	_ZL8moe_q4_0IfLb1EEvPKvS1_PT_PKiS5_S5_iiiiiii ; -- Begin function _ZL8moe_q4_0IfLb1EEvPKvS1_PT_PKiS5_S5_iiiiiii
	.p2align	8
	.type	_ZL8moe_q4_0IfLb1EEvPKvS1_PT_PKiS5_S5_iiiiiii,@function
_ZL8moe_q4_0IfLb1EEvPKvS1_PT_PKiS5_S5_iiiiiii: ; @_ZL8moe_q4_0IfLb1EEvPKvS1_PT_PKiS5_S5_iiiiiii
; %bb.0:
	s_load_dwordx4 s[0:3], s[4:5], 0x18
	s_mov_b32 s8, s7
	s_mov_b32 s9, 0
	s_lshl_b64 s[10:11], s[8:9], 2
	s_waitcnt lgkmcnt(0)
	s_add_u32 s2, s2, s10
	s_addc_u32 s3, s3, s11
	s_load_dword s2, s[2:3], 0x0
	s_waitcnt lgkmcnt(0)
	s_cmpk_gt_u32 s2, 0xff
	s_cbranch_scc1 .LBB178_30
; %bb.1:
	s_load_dwordx2 s[10:11], s[4:5], 0x28
	s_lshl_b32 s3, s8, 3
	s_waitcnt lgkmcnt(0)
	s_load_dword s7, s[10:11], 0x0
	s_waitcnt lgkmcnt(0)
	s_cmp_gt_u32 s3, s7
	s_cbranch_scc1 .LBB178_30
; %bb.2:
	v_add_u32_e32 v17, s3, v1
	v_mov_b32_e32 v18, 0
	v_lshlrev_b64 v[2:3], 2, v[17:18]
	v_mov_b32_e32 v4, s1
	v_add_co_u32_e32 v2, vcc, s0, v2
	v_addc_co_u32_e32 v3, vcc, v4, v3, vcc
	global_load_dword v21, v[2:3], off
	s_load_dwordx8 s[8:15], s[4:5], 0x30
	s_load_dwordx2 s[16:17], s[4:5], 0x10
	s_waitcnt lgkmcnt(0)
	s_lshl_b32 s15, s6, 7
	v_mov_b32_e32 v47, v18
	v_mov_b32_e32 v50, v18
	s_cmp_lt_i32 s9, 32
	v_mov_b32_e32 v22, v18
	s_cbranch_scc1 .LBB178_21
; %bb.3:
	s_ashr_i32 s0, s9, 31
	s_lshr_b32 s0, s0, 27
	s_load_dwordx4 s[4:7], s[4:5], 0x0
	s_add_i32 s0, s9, s0
	s_ashr_i32 s20, s0, 5
	s_ashr_i32 s0, s12, 31
	s_lshr_b32 s0, s0, 27
	s_add_i32 s0, s12, s0
	s_mul_i32 s2, s2, s8
	s_ashr_i32 s12, s0, 5
	s_ashr_i32 s0, s2, 31
	s_waitcnt lgkmcnt(0)
	s_add_u32 s1, s4, s2
	s_mul_i32 s2, s20, s15
	s_addc_u32 s0, s5, s0
	s_mul_hi_i32 s3, s2, 18
	s_mul_i32 s2, s2, 18
	s_add_u32 s8, s1, s2
	s_addc_u32 s21, s0, s3
	s_not_b32 s0, s15
	s_add_i32 s2, s10, s0
	v_lshlrev_b32_e32 v19, 2, v0
	v_min_i32_e32 v2, s2, v1
	s_movk_i32 s18, 0x84
	v_mul_lo_u32 v25, v2, s20
	v_mad_u64_u32 v[2:3], s[0:1], v2, s18, v[19:20]
	v_add_u32_e32 v3, 8, v1
	v_min_i32_e32 v3, s2, v3
	v_mul_lo_u32 v26, v3, s20
	v_mad_u64_u32 v[3:4], s[0:1], v3, s18, v[19:20]
	v_add_u32_e32 v4, 16, v1
	v_min_i32_e32 v4, s2, v4
	;; [unrolled: 4-line block ×15, first 2 shown]
	v_mul_lo_u32 v40, v17, s20
	v_mad_u64_u32 v[17:18], s[0:1], v17, s18, v[19:20]
	v_lshrrev_b32_e32 v42, 3, v0
	v_lshl_add_u32 v18, v1, 2, v42
	v_min_i32_e32 v20, s2, v18
	v_ashrrev_i32_e32 v44, 31, v20
	v_lshrrev_b32_e32 v44, 30, v44
	v_mul_lo_u32 v43, v20, s20
	v_add_u32_e32 v44, v20, v44
	v_lshlrev_b32_e32 v65, 5, v20
	v_add_u32_e32 v20, 32, v18
	v_min_i32_e32 v20, s2, v20
	v_and_b32_e32 v41, 7, v0
	v_ashrrev_i32_e32 v45, 31, v20
	v_and_b32_e32 v44, -4, v44
	v_lshlrev_b32_e32 v47, 2, v41
	s_movk_i32 s0, 0x4200
	v_lshrrev_b32_e32 v45, 30, v45
	v_add3_u32 v50, v44, v47, s0
	v_mul_lo_u32 v44, v20, s20
	v_add_u32_e32 v45, v20, v45
	v_lshlrev_b32_e32 v67, 5, v20
	v_add_u32_e32 v20, 64, v18
	v_min_i32_e32 v20, s2, v20
	v_ashrrev_i32_e32 v46, 31, v20
	v_add_u32_e32 v18, 0x60, v18
	v_and_b32_e32 v45, -4, v45
	v_lshrrev_b32_e32 v46, 30, v46
	v_min_i32_e32 v18, s2, v18
	v_add3_u32 v66, v45, v47, s0
	v_mul_lo_u32 v45, v20, s20
	v_add_u32_e32 v46, v20, v46
	v_lshlrev_b32_e32 v69, 5, v20
	v_ashrrev_i32_e32 v20, 31, v18
	v_lshrrev_b32_e32 v20, 30, v20
	v_add_u32_e32 v20, v18, v20
	v_and_b32_e32 v46, -4, v46
	v_and_b32_e32 v20, -4, v20
	s_abs_i32 s2, s14
	v_add3_u32 v68, v46, v47, s0
	v_add3_u32 v47, v20, v47, s0
	v_cvt_f32_u32_e32 v20, s2
	s_sub_i32 s0, 0, s2
	v_mov_b32_e32 v48, 0x5280
	v_mov_b32_e32 v51, 0x5680
	v_rcp_iflag_f32_e32 v20, v20
	v_lshl_add_u32 v48, v1, 7, v48
	v_lshl_add_u32 v1, v1, 4, v51
	v_and_b32_e32 v24, 12, v19
	v_mul_f32_e32 v20, 0x4f7ffffe, v20
	v_cvt_u32_f32_e32 v20, v20
	v_and_b32_e32 v55, 28, v19
	v_add_u32_e32 v51, v1, v19
	s_waitcnt vmcnt(0)
	v_xor_b32_e32 v59, s14, v21
	v_mul_lo_u32 v52, s0, v20
	v_ashrrev_i32_e32 v59, 31, v59
	v_mul_lo_u32 v46, v18, s20
	v_add_u32_e32 v58, 32, v0
	v_mul_hi_u32 v19, v20, v52
	v_sub_u32_e32 v52, 0, v21
	v_max_i32_e32 v54, v21, v52
	v_add_u32_e32 v57, 64, v0
	v_add_u32_e32 v19, v20, v19
	v_mul_hi_u32 v19, v54, v19
	v_add_u32_e32 v56, 0x60, v0
	v_lshrrev_b32_e32 v53, 3, v58
	v_and_b32_e32 v56, 0x1fc, v56
	v_mul_lo_u32 v20, v19, s2
	v_and_b32_e32 v57, 0x1fc, v57
	v_and_b32_e32 v58, 0x1fc, v58
	;; [unrolled: 1-line block ×3, first 2 shown]
	v_sub_u32_e32 v20, v54, v20
	v_add_u32_e32 v54, 1, v19
	v_cmp_le_u32_e64 s[0:1], s2, v20
	v_cndmask_b32_e64 v19, v19, v54, s[0:1]
	v_subrev_u32_e32 v54, s2, v20
	v_cndmask_b32_e64 v20, v20, v54, s[0:1]
	v_add_u32_e32 v54, 1, v19
	v_cmp_le_u32_e64 s[0:1], s2, v20
	v_cndmask_b32_e64 v19, v19, v54, s[0:1]
	v_xor_b32_e32 v19, v19, v59
	v_sub_u32_e32 v19, v19, v59
	v_mul_lo_u32 v54, v19, s12
	v_lshlrev_b32_e32 v59, 5, v0
	v_lshlrev_b32_e32 v18, 5, v18
	v_and_b32_e32 v49, 31, v0
	v_cmp_gt_u32_e32 vcc, 4, v0
	v_cmp_gt_i32_e64 s[0:1], s11, v19
	v_mov_b32_e32 v20, s7
	v_add_co_u32_e64 v19, s[2:3], s6, v55
	v_add_u32_e32 v61, v59, v56
	v_add_u32_e32 v62, v59, v57
	;; [unrolled: 1-line block ×4, first 2 shown]
	v_lshrrev_b32_e32 v23, 2, v0
	v_mov_b32_e32 v22, 0
	v_lshl_or_b32 v49, v49, 2, v48
	v_mul_u32_u24_e32 v52, 0x84, v0
	s_mov_b32 s10, 0
	v_addc_co_u32_e64 v20, s[2:3], 0, v20, s[2:3]
	s_and_b64 s[4:5], vcc, s[0:1]
	v_ashrrev_i32_e32 v55, 31, v54
	v_add_u32_e32 v56, 0x4e00, v61
	v_add_u32_e32 v57, 0x4a00, v62
	;; [unrolled: 1-line block ×4, first 2 shown]
	v_mad_u32_u24 v60, v0, s18, 64
	v_add_u32_e32 v61, 0x4e10, v61
	v_add_u32_e32 v62, 0x4a10, v62
	;; [unrolled: 1-line block ×8, first 2 shown]
	v_mov_b32_e32 v50, 0
	v_mov_b32_e32 v47, 0
	;; [unrolled: 1-line block ×3, first 2 shown]
	s_branch .LBB178_5
.LBB178_4:                              ;   in Loop: Header=BB178_5 Depth=1
	s_add_i32 s10, s10, 8
	s_cmp_ge_i32 s10, s20
	s_cbranch_scc1 .LBB178_21
.LBB178_5:                              ; =>This Loop Header: Depth=1
                                        ;     Child Loop BB178_11 Depth 2
                                        ;     Child Loop BB178_19 Depth 2
	s_mul_i32 s3, s10, 18
	s_mul_hi_u32 s2, s10, 18
	s_add_u32 s18, s8, s3
	s_addc_u32 s19, s21, s2
	v_mad_u64_u32 v[69:70], s[2:3], v23, 18, s[18:19]
	v_mad_i64_i32 v[71:72], s[2:3], v25, 18, v[69:70]
	v_mad_i64_i32 v[73:74], s[2:3], v26, 18, v[69:70]
	v_add_co_u32_e64 v71, s[2:3], v71, v24
	v_addc_co_u32_e64 v72, s[2:3], 0, v72, s[2:3]
	v_add_co_u32_e64 v73, s[2:3], v73, v24
	v_addc_co_u32_e64 v74, s[2:3], 0, v74, s[2:3]
	v_mad_i64_i32 v[75:76], s[2:3], v27, 18, v[69:70]
	v_mad_i64_i32 v[77:78], s[2:3], v28, 18, v[69:70]
	v_add_co_u32_e64 v75, s[2:3], v75, v24
	v_addc_co_u32_e64 v76, s[2:3], 0, v76, s[2:3]
	v_add_co_u32_e64 v77, s[2:3], v77, v24
	v_addc_co_u32_e64 v78, s[2:3], 0, v78, s[2:3]
	;; [unrolled: 6-line block ×4, first 2 shown]
	global_load_dword v87, v[71:72], off offset:2
	global_load_dword v88, v[73:74], off offset:2
	;; [unrolled: 1-line block ×8, first 2 shown]
	v_mad_i64_i32 v[71:72], s[2:3], v33, 18, v[69:70]
	v_mad_i64_i32 v[73:74], s[2:3], v34, 18, v[69:70]
	v_add_co_u32_e64 v71, s[2:3], v71, v24
	v_addc_co_u32_e64 v72, s[2:3], 0, v72, s[2:3]
	v_add_co_u32_e64 v73, s[2:3], v73, v24
	v_addc_co_u32_e64 v74, s[2:3], 0, v74, s[2:3]
	v_mad_i64_i32 v[75:76], s[2:3], v35, 18, v[69:70]
	v_mad_i64_i32 v[77:78], s[2:3], v36, 18, v[69:70]
	v_add_co_u32_e64 v75, s[2:3], v75, v24
	v_addc_co_u32_e64 v76, s[2:3], 0, v76, s[2:3]
	v_add_co_u32_e64 v77, s[2:3], v77, v24
	v_addc_co_u32_e64 v78, s[2:3], 0, v78, s[2:3]
	;; [unrolled: 6-line block ×4, first 2 shown]
	v_mad_u64_u32 v[85:86], s[2:3], v41, 18, s[18:19]
	global_load_dword v95, v[71:72], off offset:2
	global_load_dword v96, v[73:74], off offset:2
	s_nop 0
	global_load_dword v75, v[75:76], off offset:2
	s_nop 0
	;; [unrolled: 2-line block ×3, first 2 shown]
	global_load_dword v77, v[79:80], off offset:2
	global_load_dword v78, v[81:82], off offset:2
	s_nop 0
	global_load_dword v79, v[83:84], off offset:2
	global_load_dword v80, v[69:70], off offset:2
	s_lshl_b32 s18, s10, 5
	v_mad_i64_i32 v[69:70], s[2:3], v43, 18, v[85:86]
	v_mad_i64_i32 v[71:72], s[2:3], v44, 18, v[85:86]
	;; [unrolled: 1-line block ×3, first 2 shown]
	global_load_ushort v81, v[69:70], off
	s_nop 0
	global_load_ushort v71, v[71:72], off
	v_mad_i64_i32 v[69:70], s[2:3], v46, 18, v[85:86]
	global_load_ushort v72, v[73:74], off
	s_nop 0
	global_load_ushort v69, v[69:70], off
	s_cmp_lt_i32 s18, s9
	s_waitcnt vmcnt(19)
	ds_write_b32 v2, v87
	s_waitcnt vmcnt(18)
	ds_write_b32 v3, v88
	;; [unrolled: 2-line block ×16, first 2 shown]
	s_waitcnt vmcnt(3)
	v_cvt_f32_f16_e32 v70, v81
	s_waitcnt vmcnt(2)
	v_cvt_f32_f16_e32 v71, v71
	ds_write_b32 v65, v70
	ds_write_b32 v66, v71
	s_waitcnt vmcnt(1)
	v_cvt_f32_f16_e32 v72, v72
	s_waitcnt vmcnt(0)
	v_cvt_f32_f16_e32 v69, v69
	ds_write_b32 v67, v72
	ds_write_b32 v68, v69
	s_cbranch_scc0 .LBB178_4
; %bb.6:                                ;   in Loop: Header=BB178_5 Depth=1
	v_add_u32_e32 v69, s10, v42
	v_cmp_gt_i32_e64 s[2:3], s12, v69
	s_and_b64 s[22:23], s[0:1], s[2:3]
	s_and_saveexec_b64 s[2:3], s[22:23]
	s_cbranch_execz .LBB178_8
; %bb.7:                                ;   in Loop: Header=BB178_5 Depth=1
	v_add_u32_e32 v69, v54, v69
	v_mad_i64_i32 v[69:70], s[22:23], v69, 36, v[19:20]
	global_load_dword v69, v[69:70], off offset:4
	s_waitcnt vmcnt(0)
	ds_write_b32 v49, v69
.LBB178_8:                              ;   in Loop: Header=BB178_5 Depth=1
	s_or_b64 exec, exec, s[2:3]
	v_add_u32_e32 v69, s10, v0
	v_cmp_gt_i32_e64 s[2:3], s12, v69
	s_and_b64 s[22:23], s[4:5], s[2:3]
	s_and_saveexec_b64 s[2:3], s[22:23]
	s_cbranch_execz .LBB178_10
; %bb.9:                                ;   in Loop: Header=BB178_5 Depth=1
	v_add_u32_e32 v70, v54, v69
	v_mad_i64_i32 v[70:71], s[22:23], v70, 36, s[6:7]
	global_load_dword v70, v[70:71], off
	s_waitcnt vmcnt(0)
	ds_write_b32 v51, v70
.LBB178_10:                             ;   in Loop: Header=BB178_5 Depth=1
	s_or_b64 exec, exec, s[2:3]
	s_mov_b32 s2, -4
	v_mov_b32_e32 v70, v48
	v_mov_b32_e32 v71, v1
	;; [unrolled: 1-line block ×7, first 2 shown]
	s_waitcnt lgkmcnt(0)
	s_barrier
.LBB178_11:                             ;   Parent Loop BB178_5 Depth=1
                                        ; =>  This Inner Loop Header: Depth=2
	v_add_u32_e32 v89, 0x1080, v76
	v_add_u32_e32 v91, 0x1088, v76
	;; [unrolled: 1-line block ×6, first 2 shown]
	ds_read_b128 v[77:80], v70
	ds_read_b128 v[81:84], v70 offset:16
	ds_read2_b32 v[85:86], v76 offset0:2 offset1:3
	ds_read_b32 v101, v71
	ds_read_b32 v102, v72
	ds_read2_b32 v[87:88], v76 offset1:1
	ds_read_b32 v103, v73
	ds_read_b32 v104, v74
	ds_read_b32 v105, v75
	ds_read2_b32 v[89:90], v89 offset1:1
	ds_read2_b32 v[91:92], v91 offset1:1
	;; [unrolled: 1-line block ×6, first 2 shown]
	s_waitcnt lgkmcnt(9)
	v_and_b32_e32 v107, 0xf0f0f0f, v87
	v_lshrrev_b32_e32 v87, 4, v87
	v_and_b32_e32 v87, 0xf0f0f0f, v87
	v_dot4_i32_i8 v107, v107, v77, 0
	s_waitcnt lgkmcnt(5)
	v_and_b32_e32 v111, 0xf0f0f0f, v89
	v_lshrrev_b32_e32 v89, 4, v89
	s_waitcnt lgkmcnt(3)
	v_and_b32_e32 v115, 0xf0f0f0f, v93
	v_lshrrev_b32_e32 v93, 4, v93
	;; [unrolled: 3-line block ×3, first 2 shown]
	v_and_b32_e32 v108, 0xf0f0f0f, v88
	v_lshrrev_b32_e32 v88, 4, v88
	v_dot4_i32_i8 v87, v87, v81, v107
	v_and_b32_e32 v89, 0xf0f0f0f, v89
	v_dot4_i32_i8 v107, v111, v77, 0
	v_and_b32_e32 v93, 0xf0f0f0f, v93
	;; [unrolled: 2-line block ×4, first 2 shown]
	v_and_b32_e32 v112, 0xf0f0f0f, v90
	v_lshrrev_b32_e32 v90, 4, v90
	v_and_b32_e32 v116, 0xf0f0f0f, v94
	v_lshrrev_b32_e32 v94, 4, v94
	;; [unrolled: 2-line block ×3, first 2 shown]
	v_dot4_i32_i8 v87, v108, v78, v87
	v_dot4_i32_i8 v89, v89, v81, v107
	;; [unrolled: 1-line block ×4, first 2 shown]
	v_and_b32_e32 v109, 0xf0f0f0f, v85
	v_lshrrev_b32_e32 v85, 4, v85
	v_and_b32_e32 v90, 0xf0f0f0f, v90
	v_and_b32_e32 v94, 0xf0f0f0f, v94
	;; [unrolled: 1-line block ×3, first 2 shown]
	v_dot4_i32_i8 v87, v88, v82, v87
	v_dot4_i32_i8 v88, v112, v78, v89
	;; [unrolled: 1-line block ×4, first 2 shown]
	v_and_b32_e32 v85, 0xf0f0f0f, v85
	v_and_b32_e32 v113, 0xf0f0f0f, v91
	v_lshrrev_b32_e32 v91, 4, v91
	v_and_b32_e32 v117, 0xf0f0f0f, v95
	v_lshrrev_b32_e32 v95, 4, v95
	s_waitcnt lgkmcnt(0)
	v_and_b32_e32 v121, 0xf0f0f0f, v99
	v_lshrrev_b32_e32 v99, 4, v99
	v_dot4_i32_i8 v78, v109, v79, v87
	v_dot4_i32_i8 v87, v90, v82, v88
	;; [unrolled: 1-line block ×4, first 2 shown]
	v_and_b32_e32 v110, 0xf0f0f0f, v86
	v_lshrrev_b32_e32 v86, 4, v86
	v_and_b32_e32 v91, 0xf0f0f0f, v91
	v_and_b32_e32 v95, 0xf0f0f0f, v95
	;; [unrolled: 1-line block ×3, first 2 shown]
	v_dot4_i32_i8 v78, v85, v83, v78
	v_dot4_i32_i8 v82, v113, v79, v87
	;; [unrolled: 1-line block ×4, first 2 shown]
	v_and_b32_e32 v86, 0xf0f0f0f, v86
	v_and_b32_e32 v114, 0xf0f0f0f, v92
	v_lshrrev_b32_e32 v92, 4, v92
	v_and_b32_e32 v118, 0xf0f0f0f, v96
	v_lshrrev_b32_e32 v96, 4, v96
	;; [unrolled: 2-line block ×3, first 2 shown]
	v_dot4_i32_i8 v78, v110, v80, v78
	v_dot4_i32_i8 v79, v91, v83, v82
	v_dot4_i32_i8 v82, v95, v83, v85
	v_dot4_i32_i8 v77, v99, v83, v77
	v_cvt_f32_f16_sdwa v106, v101 dst_sel:DWORD dst_unused:UNUSED_PAD src0_sel:WORD_1
	v_and_b32_e32 v92, 0xf0f0f0f, v92
	v_and_b32_e32 v96, 0xf0f0f0f, v96
	;; [unrolled: 1-line block ×3, first 2 shown]
	v_dot4_i32_i8 v78, v86, v84, v78
	v_dot4_i32_i8 v79, v114, v80, v79
	;; [unrolled: 1-line block ×4, first 2 shown]
	v_cvt_f32_i32_e32 v78, v78
	v_dot4_i32_i8 v79, v92, v84, v79
	v_dot4_i32_i8 v80, v96, v84, v82
	;; [unrolled: 1-line block ×3, first 2 shown]
	v_cvt_f32_i32_e32 v79, v79
	v_cvt_f32_i32_e32 v80, v80
	;; [unrolled: 1-line block ×3, first 2 shown]
	v_mul_f32_e32 v81, 0xc1000000, v106
	v_fma_mix_f32 v78, v101, v78, v81 op_sel_hi:[1,0,0]
	s_add_i32 s2, s2, 4
	v_fmac_f32_e32 v22, v102, v78
	v_fma_mix_f32 v78, v101, v79, v81 op_sel_hi:[1,0,0]
	v_fma_mix_f32 v79, v101, v80, v81 op_sel_hi:[1,0,0]
	;; [unrolled: 1-line block ×3, first 2 shown]
	v_add_u32_e32 v76, 16, v76
	v_add_u32_e32 v75, 4, v75
	;; [unrolled: 1-line block ×7, first 2 shown]
	s_cmp_lt_u32 s2, 12
	v_fmac_f32_e32 v50, v103, v78
	v_fmac_f32_e32 v47, v104, v79
	v_fmac_f32_e32 v18, v105, v77
	s_cbranch_scc1 .LBB178_11
; %bb.12:                               ;   in Loop: Header=BB178_5 Depth=1
	s_bitset1_b32 s18, 7
	s_cmp_ge_i32 s18, s9
	s_barrier
	s_cbranch_scc1 .LBB178_4
; %bb.13:                               ;   in Loop: Header=BB178_5 Depth=1
	v_add_u32_e32 v70, s10, v53
	v_cmp_gt_i32_e64 s[2:3], s12, v70
	s_and_b64 s[18:19], s[0:1], s[2:3]
	s_and_saveexec_b64 s[2:3], s[18:19]
	s_cbranch_execz .LBB178_15
; %bb.14:                               ;   in Loop: Header=BB178_5 Depth=1
	v_add_u32_e32 v70, v54, v70
	v_mad_i64_i32 v[70:71], s[18:19], v70, 36, v[19:20]
	global_load_dword v70, v[70:71], off offset:4
	s_waitcnt vmcnt(0)
	ds_write_b32 v49, v70
.LBB178_15:                             ;   in Loop: Header=BB178_5 Depth=1
	s_or_b64 exec, exec, s[2:3]
	s_and_saveexec_b64 s[18:19], vcc
	s_cbranch_execz .LBB178_18
; %bb.16:                               ;   in Loop: Header=BB178_5 Depth=1
	v_or_b32_e32 v70, 4, v69
	v_cmp_gt_i32_e64 s[2:3], s12, v70
	s_and_b64 s[2:3], s[0:1], s[2:3]
	s_and_b64 exec, exec, s[2:3]
	s_cbranch_execz .LBB178_18
; %bb.17:                               ;   in Loop: Header=BB178_5 Depth=1
	v_ashrrev_i32_e32 v70, 31, v69
	v_add_co_u32_e64 v69, s[2:3], v54, v69
	v_addc_co_u32_e64 v71, s[2:3], v55, v70, s[2:3]
	v_mad_u64_u32 v[69:70], s[2:3], v69, 36, s[6:7]
	v_mad_i32_i24 v70, v71, 36, v70
	global_load_dword v69, v[69:70], off offset:144
	s_waitcnt vmcnt(0)
	ds_write_b32 v51, v69
.LBB178_18:                             ;   in Loop: Header=BB178_5 Depth=1
	s_or_b64 exec, exec, s[18:19]
	s_mov_b32 s2, 12
	v_mov_b32_e32 v69, v1
	v_mov_b32_e32 v70, v48
	;; [unrolled: 1-line block ×7, first 2 shown]
	s_waitcnt lgkmcnt(0)
	s_barrier
.LBB178_19:                             ;   Parent Loop BB178_5 Depth=1
                                        ; =>  This Inner Loop Header: Depth=2
	v_add_u32_e32 v88, 0x1080, v75
	v_add_u32_e32 v90, 0x1088, v75
	;; [unrolled: 1-line block ×6, first 2 shown]
	ds_read_b128 v[76:79], v70
	ds_read_b128 v[80:83], v70 offset:16
	ds_read_b32 v100, v69
	ds_read2_b32 v[84:85], v75 offset0:2 offset1:3
	ds_read_b32 v101, v71
	ds_read2_b32 v[86:87], v75 offset1:1
	ds_read_b32 v102, v72
	ds_read_b32 v103, v73
	ds_read_b32 v104, v74
	ds_read2_b32 v[88:89], v88 offset1:1
	ds_read2_b32 v[90:91], v90 offset1:1
	;; [unrolled: 1-line block ×6, first 2 shown]
	s_waitcnt lgkmcnt(9)
	v_and_b32_e32 v106, 0xf0f0f0f, v86
	v_lshrrev_b32_e32 v86, 4, v86
	v_and_b32_e32 v86, 0xf0f0f0f, v86
	v_dot4_i32_i8 v106, v106, v76, 0
	s_waitcnt lgkmcnt(5)
	v_and_b32_e32 v110, 0xf0f0f0f, v88
	v_lshrrev_b32_e32 v88, 4, v88
	s_waitcnt lgkmcnt(3)
	v_and_b32_e32 v114, 0xf0f0f0f, v92
	v_lshrrev_b32_e32 v92, 4, v92
	s_waitcnt lgkmcnt(1)
	v_and_b32_e32 v118, 0xf0f0f0f, v96
	v_lshrrev_b32_e32 v96, 4, v96
	v_and_b32_e32 v107, 0xf0f0f0f, v87
	v_lshrrev_b32_e32 v87, 4, v87
	v_dot4_i32_i8 v86, v86, v80, v106
	v_and_b32_e32 v88, 0xf0f0f0f, v88
	v_dot4_i32_i8 v106, v110, v76, 0
	v_and_b32_e32 v92, 0xf0f0f0f, v92
	;; [unrolled: 2-line block ×4, first 2 shown]
	v_and_b32_e32 v111, 0xf0f0f0f, v89
	v_lshrrev_b32_e32 v89, 4, v89
	v_and_b32_e32 v115, 0xf0f0f0f, v93
	v_lshrrev_b32_e32 v93, 4, v93
	;; [unrolled: 2-line block ×3, first 2 shown]
	v_dot4_i32_i8 v86, v107, v77, v86
	v_dot4_i32_i8 v88, v88, v80, v106
	;; [unrolled: 1-line block ×4, first 2 shown]
	v_and_b32_e32 v108, 0xf0f0f0f, v84
	v_lshrrev_b32_e32 v84, 4, v84
	v_and_b32_e32 v89, 0xf0f0f0f, v89
	v_and_b32_e32 v93, 0xf0f0f0f, v93
	;; [unrolled: 1-line block ×3, first 2 shown]
	v_dot4_i32_i8 v86, v87, v81, v86
	v_dot4_i32_i8 v87, v111, v77, v88
	;; [unrolled: 1-line block ×4, first 2 shown]
	v_and_b32_e32 v84, 0xf0f0f0f, v84
	v_and_b32_e32 v112, 0xf0f0f0f, v90
	v_lshrrev_b32_e32 v90, 4, v90
	v_and_b32_e32 v116, 0xf0f0f0f, v94
	v_lshrrev_b32_e32 v94, 4, v94
	s_waitcnt lgkmcnt(0)
	v_and_b32_e32 v120, 0xf0f0f0f, v98
	v_lshrrev_b32_e32 v98, 4, v98
	v_dot4_i32_i8 v77, v108, v78, v86
	v_dot4_i32_i8 v86, v89, v81, v87
	;; [unrolled: 1-line block ×4, first 2 shown]
	v_and_b32_e32 v109, 0xf0f0f0f, v85
	v_lshrrev_b32_e32 v85, 4, v85
	v_and_b32_e32 v90, 0xf0f0f0f, v90
	v_and_b32_e32 v94, 0xf0f0f0f, v94
	;; [unrolled: 1-line block ×3, first 2 shown]
	v_dot4_i32_i8 v77, v84, v82, v77
	v_dot4_i32_i8 v81, v112, v78, v86
	;; [unrolled: 1-line block ×4, first 2 shown]
	v_and_b32_e32 v85, 0xf0f0f0f, v85
	v_and_b32_e32 v113, 0xf0f0f0f, v91
	v_lshrrev_b32_e32 v91, 4, v91
	v_and_b32_e32 v117, 0xf0f0f0f, v95
	v_lshrrev_b32_e32 v95, 4, v95
	;; [unrolled: 2-line block ×3, first 2 shown]
	v_dot4_i32_i8 v77, v109, v79, v77
	v_dot4_i32_i8 v78, v90, v82, v81
	;; [unrolled: 1-line block ×4, first 2 shown]
	v_cvt_f32_f16_sdwa v105, v100 dst_sel:DWORD dst_unused:UNUSED_PAD src0_sel:WORD_1
	v_and_b32_e32 v91, 0xf0f0f0f, v91
	v_and_b32_e32 v95, 0xf0f0f0f, v95
	;; [unrolled: 1-line block ×3, first 2 shown]
	v_dot4_i32_i8 v77, v85, v83, v77
	v_dot4_i32_i8 v78, v113, v79, v78
	;; [unrolled: 1-line block ×4, first 2 shown]
	v_cvt_f32_i32_e32 v77, v77
	v_dot4_i32_i8 v78, v91, v83, v78
	v_dot4_i32_i8 v79, v95, v83, v81
	;; [unrolled: 1-line block ×3, first 2 shown]
	v_cvt_f32_i32_e32 v78, v78
	v_cvt_f32_i32_e32 v79, v79
	;; [unrolled: 1-line block ×3, first 2 shown]
	v_mul_f32_e32 v80, 0xc1000000, v105
	v_fma_mix_f32 v77, v100, v77, v80 op_sel_hi:[1,0,0]
	s_add_i32 s2, s2, 4
	v_fmac_f32_e32 v22, v101, v77
	v_fma_mix_f32 v77, v100, v78, v80 op_sel_hi:[1,0,0]
	v_fma_mix_f32 v78, v100, v79, v80 op_sel_hi:[1,0,0]
	;; [unrolled: 1-line block ×3, first 2 shown]
	v_add_u32_e32 v75, 16, v75
	v_add_u32_e32 v74, 4, v74
	;; [unrolled: 1-line block ×7, first 2 shown]
	s_cmp_lt_u32 s2, 28
	v_fmac_f32_e32 v50, v102, v77
	v_fmac_f32_e32 v47, v103, v78
	;; [unrolled: 1-line block ×3, first 2 shown]
	s_cbranch_scc1 .LBB178_19
; %bb.20:                               ;   in Loop: Header=BB178_5 Depth=1
	s_barrier
	s_branch .LBB178_4
.LBB178_21:
	s_mul_i32 s0, s14, s11
	s_waitcnt vmcnt(0)
	v_cmp_gt_i32_e32 vcc, s0, v21
	s_and_saveexec_b64 s[0:1], vcc
	s_cbranch_execz .LBB178_30
; %bb.22:
	v_mul_lo_u32 v1, v21, s13
	v_add_u32_e32 v0, s15, v0
	v_cmp_gt_u32_e32 vcc, s13, v0
	s_and_saveexec_b64 s[0:1], vcc
	s_cbranch_execz .LBB178_24
; %bb.23:
	v_add_u32_e32 v2, v1, v0
	v_mov_b32_e32 v3, 0
	v_lshlrev_b64 v[2:3], 2, v[2:3]
	v_mov_b32_e32 v4, s17
	v_add_co_u32_e32 v2, vcc, s16, v2
	v_addc_co_u32_e32 v3, vcc, v4, v3, vcc
	global_store_dword v[2:3], v22, off
.LBB178_24:
	s_or_b64 exec, exec, s[0:1]
	v_add_u32_e32 v2, 32, v0
	v_cmp_gt_u32_e32 vcc, s13, v2
	s_and_saveexec_b64 s[0:1], vcc
	s_cbranch_execz .LBB178_26
; %bb.25:
	v_add_u32_e32 v2, v1, v2
	v_mov_b32_e32 v3, 0
	v_lshlrev_b64 v[2:3], 2, v[2:3]
	v_mov_b32_e32 v4, s17
	v_add_co_u32_e32 v2, vcc, s16, v2
	v_addc_co_u32_e32 v3, vcc, v4, v3, vcc
	global_store_dword v[2:3], v50, off
.LBB178_26:
	s_or_b64 exec, exec, s[0:1]
	;; [unrolled: 14-line block ×3, first 2 shown]
	v_add_u32_e32 v0, 0x60, v0
	v_cmp_gt_u32_e32 vcc, s13, v0
	s_and_b64 exec, exec, vcc
	s_cbranch_execz .LBB178_30
; %bb.29:
	v_add_u32_e32 v0, v1, v0
	v_mov_b32_e32 v1, 0
	v_lshlrev_b64 v[0:1], 2, v[0:1]
	v_mov_b32_e32 v2, s17
	v_add_co_u32_e32 v0, vcc, s16, v0
	v_addc_co_u32_e32 v1, vcc, v2, v1, vcc
	global_store_dword v[0:1], v18, off
.LBB178_30:
	s_endpgm
	.section	.rodata,"a",@progbits
	.p2align	6, 0x0
	.amdhsa_kernel _ZL8moe_q4_0IfLb1EEvPKvS1_PT_PKiS5_S5_iiiiiii
		.amdhsa_group_segment_fixed_size 22272
		.amdhsa_private_segment_fixed_size 0
		.amdhsa_kernarg_size 76
		.amdhsa_user_sgpr_count 6
		.amdhsa_user_sgpr_private_segment_buffer 1
		.amdhsa_user_sgpr_dispatch_ptr 0
		.amdhsa_user_sgpr_queue_ptr 0
		.amdhsa_user_sgpr_kernarg_segment_ptr 1
		.amdhsa_user_sgpr_dispatch_id 0
		.amdhsa_user_sgpr_flat_scratch_init 0
		.amdhsa_user_sgpr_private_segment_size 0
		.amdhsa_uses_dynamic_stack 0
		.amdhsa_system_sgpr_private_segment_wavefront_offset 0
		.amdhsa_system_sgpr_workgroup_id_x 1
		.amdhsa_system_sgpr_workgroup_id_y 1
		.amdhsa_system_sgpr_workgroup_id_z 0
		.amdhsa_system_sgpr_workgroup_info 0
		.amdhsa_system_vgpr_workitem_id 1
		.amdhsa_next_free_vgpr 123
		.amdhsa_next_free_sgpr 98
		.amdhsa_reserve_vcc 1
		.amdhsa_reserve_flat_scratch 0
		.amdhsa_float_round_mode_32 0
		.amdhsa_float_round_mode_16_64 0
		.amdhsa_float_denorm_mode_32 3
		.amdhsa_float_denorm_mode_16_64 3
		.amdhsa_dx10_clamp 1
		.amdhsa_ieee_mode 1
		.amdhsa_fp16_overflow 0
		.amdhsa_exception_fp_ieee_invalid_op 0
		.amdhsa_exception_fp_denorm_src 0
		.amdhsa_exception_fp_ieee_div_zero 0
		.amdhsa_exception_fp_ieee_overflow 0
		.amdhsa_exception_fp_ieee_underflow 0
		.amdhsa_exception_fp_ieee_inexact 0
		.amdhsa_exception_int_div_zero 0
	.end_amdhsa_kernel
	.section	.text._ZL8moe_q4_0IfLb1EEvPKvS1_PT_PKiS5_S5_iiiiiii,"axG",@progbits,_ZL8moe_q4_0IfLb1EEvPKvS1_PT_PKiS5_S5_iiiiiii,comdat
.Lfunc_end178:
	.size	_ZL8moe_q4_0IfLb1EEvPKvS1_PT_PKiS5_S5_iiiiiii, .Lfunc_end178-_ZL8moe_q4_0IfLb1EEvPKvS1_PT_PKiS5_S5_iiiiiii
                                        ; -- End function
	.set _ZL8moe_q4_0IfLb1EEvPKvS1_PT_PKiS5_S5_iiiiiii.num_vgpr, 123
	.set _ZL8moe_q4_0IfLb1EEvPKvS1_PT_PKiS5_S5_iiiiiii.num_agpr, 0
	.set _ZL8moe_q4_0IfLb1EEvPKvS1_PT_PKiS5_S5_iiiiiii.numbered_sgpr, 24
	.set _ZL8moe_q4_0IfLb1EEvPKvS1_PT_PKiS5_S5_iiiiiii.num_named_barrier, 0
	.set _ZL8moe_q4_0IfLb1EEvPKvS1_PT_PKiS5_S5_iiiiiii.private_seg_size, 0
	.set _ZL8moe_q4_0IfLb1EEvPKvS1_PT_PKiS5_S5_iiiiiii.uses_vcc, 1
	.set _ZL8moe_q4_0IfLb1EEvPKvS1_PT_PKiS5_S5_iiiiiii.uses_flat_scratch, 0
	.set _ZL8moe_q4_0IfLb1EEvPKvS1_PT_PKiS5_S5_iiiiiii.has_dyn_sized_stack, 0
	.set _ZL8moe_q4_0IfLb1EEvPKvS1_PT_PKiS5_S5_iiiiiii.has_recursion, 0
	.set _ZL8moe_q4_0IfLb1EEvPKvS1_PT_PKiS5_S5_iiiiiii.has_indirect_call, 0
	.section	.AMDGPU.csdata,"",@progbits
; Kernel info:
; codeLenInByte = 4632
; TotalNumSgprs: 28
; NumVgprs: 123
; ScratchSize: 0
; MemoryBound: 0
; FloatMode: 240
; IeeeMode: 1
; LDSByteSize: 22272 bytes/workgroup (compile time only)
; SGPRBlocks: 12
; VGPRBlocks: 30
; NumSGPRsForWavesPerEU: 102
; NumVGPRsForWavesPerEU: 123
; Occupancy: 2
; WaveLimiterHint : 1
; COMPUTE_PGM_RSRC2:SCRATCH_EN: 0
; COMPUTE_PGM_RSRC2:USER_SGPR: 6
; COMPUTE_PGM_RSRC2:TRAP_HANDLER: 0
; COMPUTE_PGM_RSRC2:TGID_X_EN: 1
; COMPUTE_PGM_RSRC2:TGID_Y_EN: 1
; COMPUTE_PGM_RSRC2:TGID_Z_EN: 0
; COMPUTE_PGM_RSRC2:TIDIG_COMP_CNT: 1
	.section	.text._ZL8moe_q4_1IfLb0EEvPKvS1_PT_PKiS5_S5_iiiiiii,"axG",@progbits,_ZL8moe_q4_1IfLb0EEvPKvS1_PT_PKiS5_S5_iiiiiii,comdat
	.globl	_ZL8moe_q4_1IfLb0EEvPKvS1_PT_PKiS5_S5_iiiiiii ; -- Begin function _ZL8moe_q4_1IfLb0EEvPKvS1_PT_PKiS5_S5_iiiiiii
	.p2align	8
	.type	_ZL8moe_q4_1IfLb0EEvPKvS1_PT_PKiS5_S5_iiiiiii,@function
_ZL8moe_q4_1IfLb0EEvPKvS1_PT_PKiS5_S5_iiiiiii: ; @_ZL8moe_q4_1IfLb0EEvPKvS1_PT_PKiS5_S5_iiiiiii
; %bb.0:
	s_load_dwordx4 s[0:3], s[4:5], 0x18
	s_mov_b32 s8, s7
	s_mov_b32 s9, 0
	s_lshl_b64 s[10:11], s[8:9], 2
	s_waitcnt lgkmcnt(0)
	s_add_u32 s2, s2, s10
	s_addc_u32 s3, s3, s11
	s_load_dword s2, s[2:3], 0x0
	s_waitcnt lgkmcnt(0)
	s_cmpk_gt_u32 s2, 0xff
	s_cbranch_scc1 .LBB179_30
; %bb.1:
	s_load_dwordx2 s[10:11], s[4:5], 0x28
	s_lshl_b32 s3, s8, 3
	s_waitcnt lgkmcnt(0)
	s_load_dword s7, s[10:11], 0x0
	s_waitcnt lgkmcnt(0)
	s_cmp_gt_u32 s3, s7
	s_cbranch_scc1 .LBB179_30
; %bb.2:
	v_add_u32_e32 v2, s3, v1
	v_mov_b32_e32 v3, 0
	v_lshlrev_b64 v[4:5], 2, v[2:3]
	v_mov_b32_e32 v2, s1
	v_add_co_u32_e32 v4, vcc, s0, v4
	v_addc_co_u32_e32 v5, vcc, v2, v5, vcc
	global_load_dword v4, v[4:5], off
	s_load_dwordx2 s[14:15], s[4:5], 0x30
	s_load_dwordx2 s[12:13], s[4:5], 0x10
	s_load_dwordx4 s[8:11], s[4:5], 0x3c
	s_lshl_b32 s18, s6, 7
	v_mov_b32_e32 v46, v3
	s_waitcnt lgkmcnt(0)
	s_cmp_lt_i32 s15, 32
	v_mov_b32_e32 v49, v3
	v_mov_b32_e32 v5, v3
	s_cbranch_scc1 .LBB179_21
; %bb.3:
	s_load_dwordx4 s[4:7], s[4:5], 0x0
	s_ashr_i32 s0, s15, 31
	s_ashr_i32 s1, s9, 31
	s_lshr_b32 s0, s0, 27
	s_lshr_b32 s1, s1, 27
	s_add_i32 s0, s15, s0
	s_add_i32 s1, s9, s1
	s_mul_i32 s2, s2, s14
	s_ashr_i32 s19, s0, 5
	s_ashr_i32 s9, s1, 5
	;; [unrolled: 1-line block ×3, first 2 shown]
	s_waitcnt lgkmcnt(0)
	s_add_u32 s2, s4, s2
	s_mul_i32 s3, s19, s18
	v_mul_lo_u32 v8, s19, v1
	s_addc_u32 s1, s5, s1
	s_mul_hi_i32 s4, s3, 20
	s_mul_i32 s3, s3, 20
	s_add_u32 s14, s2, s3
	s_addc_u32 s20, s1, s4
	s_lshl_b32 s1, s19, 3
	v_add_u32_e32 v10, s1, v8
	v_add_u32_e32 v12, s1, v10
	v_add_u32_e32 v14, s1, v12
	v_add_u32_e32 v16, s1, v14
	v_add_u32_e32 v18, s1, v16
	v_add_u32_e32 v20, s1, v18
	v_add_u32_e32 v22, s1, v20
	v_add_u32_e32 v24, s1, v22
	v_add_u32_e32 v26, s1, v24
	v_add_u32_e32 v28, s1, v26
	v_add_u32_e32 v30, s1, v28
	v_add_u32_e32 v32, s1, v30
	v_lshrrev_b32_e32 v41, 3, v0
	v_add_u32_e32 v34, s1, v32
	v_lshl_add_u32 v3, v1, 2, v41
	v_add_u32_e32 v36, s1, v34
	v_and_b32_e32 v40, 7, v0
	v_add_u32_e32 v44, 32, v3
	v_add_u32_e32 v38, s1, v36
	v_lshlrev_b32_e32 v46, 2, v40
	s_movk_i32 s1, 0x4200
	v_and_b32_e32 v45, 0xffc, v44
	v_add3_u32 v66, v45, v46, s1
	v_add_u32_e32 v45, 64, v3
	v_mul_lo_u32 v42, s19, v3
	v_and_b32_e32 v43, 0x7fc, v3
	v_lshlrev_b32_e32 v65, 5, v3
	v_and_b32_e32 v47, 0xffc, v45
	v_add_u32_e32 v3, 0x60, v3
	v_add3_u32 v68, v47, v46, s1
	v_and_b32_e32 v47, 0xffc, v3
	s_abs_i32 s2, s11
	v_add3_u32 v49, v43, v46, s1
	v_add3_u32 v46, v47, v46, s1
	v_cvt_f32_u32_e32 v47, s2
	s_andn2_b32 s0, s0, 31
	v_add_u32_e32 v43, s0, v42
	v_lshlrev_b32_e32 v67, 5, v44
	v_rcp_iflag_f32_e32 v50, v47
	v_add_u32_e32 v44, s0, v43
	v_lshlrev_b32_e32 v69, 5, v45
	v_add_u32_e32 v45, s0, v44
	v_mul_f32_e32 v50, 0x4f7ffffe, v50
	v_cvt_u32_f32_e32 v52, v50
	s_sub_i32 s0, 0, s2
	v_lshlrev_b32_e32 v2, 2, v0
	s_movk_i32 s16, 0x84
	v_mul_lo_u32 v53, s0, v52
	v_mov_b32_e32 v47, 0x5280
	v_mov_b32_e32 v50, 0x5680
	v_mad_u32_u24 v9, v1, s16, v2
	v_lshl_add_u32 v47, v1, 7, v47
	v_lshl_add_u32 v50, v1, 4, v50
	v_mul_hi_u32 v1, v52, v53
	v_and_b32_e32 v7, 12, v2
	v_and_b32_e32 v55, 28, v2
	v_add_u32_e32 v51, v50, v2
	s_waitcnt vmcnt(0)
	v_sub_u32_e32 v2, 0, v4
	v_max_i32_e32 v2, v4, v2
	v_add_u32_e32 v1, v52, v1
	v_mul_hi_u32 v1, v2, v1
	v_xor_b32_e32 v59, s11, v4
	v_ashrrev_i32_e32 v59, 31, v59
	v_add_u32_e32 v58, 32, v0
	v_mul_lo_u32 v54, v1, s2
	v_add_u32_e32 v57, 64, v0
	v_add_u32_e32 v56, 0x60, v0
	v_lshrrev_b32_e32 v53, 3, v58
	v_sub_u32_e32 v2, v2, v54
	v_add_u32_e32 v54, 1, v1
	v_cmp_le_u32_e64 s[0:1], s2, v2
	v_cndmask_b32_e64 v1, v1, v54, s[0:1]
	v_subrev_u32_e32 v54, s2, v2
	v_cndmask_b32_e64 v2, v2, v54, s[0:1]
	v_add_u32_e32 v54, 1, v1
	v_cmp_le_u32_e64 s[0:1], s2, v2
	v_cndmask_b32_e64 v1, v1, v54, s[0:1]
	v_xor_b32_e32 v1, v1, v59
	v_sub_u32_e32 v1, v1, v59
	v_mul_lo_u32 v54, v1, s9
	v_lshlrev_b32_e32 v59, 5, v0
	v_and_b32_e32 v56, 0x1fc, v56
	v_and_b32_e32 v57, 0x1fc, v57
	;; [unrolled: 1-line block ×4, first 2 shown]
	v_lshlrev_b32_e32 v3, 5, v3
	v_and_b32_e32 v48, 31, v0
	v_cmp_gt_u32_e32 vcc, 4, v0
	v_cmp_gt_i32_e64 s[0:1], s8, v1
	v_mov_b32_e32 v2, s7
	v_add_co_u32_e64 v1, s[2:3], s6, v55
	v_add_u32_e32 v61, v59, v56
	v_add_u32_e32 v62, v59, v57
	;; [unrolled: 1-line block ×4, first 2 shown]
	v_lshrrev_b32_e32 v6, 2, v0
	v_mov_b32_e32 v5, 0
	v_add_u32_e32 v11, 0x420, v9
	v_add_u32_e32 v13, 0x840, v9
	;; [unrolled: 1-line block ×15, first 2 shown]
	v_lshl_or_b32 v48, v48, 2, v47
	v_mul_u32_u24_e32 v52, 0x84, v0
	s_mov_b32 s21, 0
	v_addc_co_u32_e64 v2, s[2:3], 0, v2, s[2:3]
	s_and_b64 s[4:5], vcc, s[0:1]
	v_ashrrev_i32_e32 v55, 31, v54
	v_add_u32_e32 v56, 0x4e00, v61
	v_add_u32_e32 v57, 0x4a00, v62
	;; [unrolled: 1-line block ×4, first 2 shown]
	v_mad_u32_u24 v60, v0, s16, 64
	v_add_u32_e32 v61, 0x4e10, v61
	v_add_u32_e32 v62, 0x4a10, v62
	;; [unrolled: 1-line block ×8, first 2 shown]
	v_mov_b32_e32 v49, 0
	v_mov_b32_e32 v46, 0
	;; [unrolled: 1-line block ×3, first 2 shown]
	s_branch .LBB179_5
.LBB179_4:                              ;   in Loop: Header=BB179_5 Depth=1
	s_add_i32 s21, s21, 8
	s_cmp_ge_i32 s21, s19
	s_cbranch_scc1 .LBB179_21
.LBB179_5:                              ; =>This Loop Header: Depth=1
                                        ;     Child Loop BB179_11 Depth 2
                                        ;     Child Loop BB179_19 Depth 2
	s_mul_i32 s3, s21, 20
	s_mul_hi_u32 s2, s21, 20
	s_add_u32 s16, s14, s3
	s_addc_u32 s17, s20, s2
	v_mad_u64_u32 v[69:70], s[2:3], v6, 20, s[16:17]
	v_mad_u64_u32 v[71:72], s[2:3], v8, 20, v[69:70]
	;; [unrolled: 1-line block ×3, first 2 shown]
	v_add_co_u32_e64 v71, s[2:3], v71, v7
	v_addc_co_u32_e64 v72, s[2:3], 0, v72, s[2:3]
	v_add_co_u32_e64 v73, s[2:3], v73, v7
	v_addc_co_u32_e64 v74, s[2:3], 0, v74, s[2:3]
	v_mad_u64_u32 v[75:76], s[2:3], v12, 20, v[69:70]
	v_mad_u64_u32 v[77:78], s[2:3], v14, 20, v[69:70]
	v_add_co_u32_e64 v75, s[2:3], v75, v7
	v_addc_co_u32_e64 v76, s[2:3], 0, v76, s[2:3]
	v_add_co_u32_e64 v77, s[2:3], v77, v7
	v_addc_co_u32_e64 v78, s[2:3], 0, v78, s[2:3]
	v_mad_u64_u32 v[79:80], s[2:3], v16, 20, v[69:70]
	v_mad_u64_u32 v[81:82], s[2:3], v18, 20, v[69:70]
	;; [unrolled: 6-line block ×3, first 2 shown]
	v_add_co_u32_e64 v83, s[2:3], v83, v7
	v_addc_co_u32_e64 v84, s[2:3], 0, v84, s[2:3]
	v_add_co_u32_e64 v85, s[2:3], v85, v7
	v_addc_co_u32_e64 v86, s[2:3], 0, v86, s[2:3]
	global_load_dword v87, v[71:72], off offset:4
	global_load_dword v88, v[73:74], off offset:4
	;; [unrolled: 1-line block ×8, first 2 shown]
	v_mad_u64_u32 v[71:72], s[2:3], v24, 20, v[69:70]
	v_mad_u64_u32 v[73:74], s[2:3], v26, 20, v[69:70]
	v_add_co_u32_e64 v71, s[2:3], v71, v7
	v_addc_co_u32_e64 v72, s[2:3], 0, v72, s[2:3]
	v_add_co_u32_e64 v73, s[2:3], v73, v7
	v_addc_co_u32_e64 v74, s[2:3], 0, v74, s[2:3]
	v_mad_u64_u32 v[75:76], s[2:3], v28, 20, v[69:70]
	v_mad_u64_u32 v[77:78], s[2:3], v30, 20, v[69:70]
	v_add_co_u32_e64 v75, s[2:3], v75, v7
	v_addc_co_u32_e64 v76, s[2:3], 0, v76, s[2:3]
	v_add_co_u32_e64 v77, s[2:3], v77, v7
	v_addc_co_u32_e64 v78, s[2:3], 0, v78, s[2:3]
	;; [unrolled: 6-line block ×4, first 2 shown]
	v_mad_u64_u32 v[85:86], s[2:3], v40, 20, s[16:17]
	global_load_dword v95, v[71:72], off offset:4
	global_load_dword v96, v[73:74], off offset:4
	;; [unrolled: 1-line block ×3, first 2 shown]
	s_nop 0
	global_load_dword v77, v[77:78], off offset:4
	s_nop 0
	global_load_dword v78, v[79:80], off offset:4
	;; [unrolled: 2-line block ×3, first 2 shown]
	global_load_dword v80, v[83:84], off offset:4
	s_nop 0
	global_load_dword v81, v[69:70], off offset:4
	s_lshl_b32 s16, s21, 5
	v_mad_u64_u32 v[69:70], s[2:3], v42, 20, v[85:86]
	v_mad_u64_u32 v[71:72], s[2:3], v43, 20, v[85:86]
	;; [unrolled: 1-line block ×4, first 2 shown]
	global_load_dword v69, v[69:70], off
	s_nop 0
	global_load_dword v70, v[71:72], off
	s_nop 0
	global_load_dword v71, v[73:74], off
	global_load_dword v72, v[75:76], off
	s_cmp_lt_i32 s16, s15
	s_waitcnt vmcnt(19)
	ds_write_b32 v9, v87
	s_waitcnt vmcnt(18)
	ds_write_b32 v11, v88
	;; [unrolled: 2-line block ×20, first 2 shown]
	s_cbranch_scc0 .LBB179_4
; %bb.6:                                ;   in Loop: Header=BB179_5 Depth=1
	v_add_u32_e32 v69, s21, v41
	v_cmp_gt_i32_e64 s[2:3], s9, v69
	s_and_b64 s[22:23], s[0:1], s[2:3]
	s_and_saveexec_b64 s[2:3], s[22:23]
	s_cbranch_execz .LBB179_8
; %bb.7:                                ;   in Loop: Header=BB179_5 Depth=1
	v_add_u32_e32 v69, v54, v69
	v_mad_i64_i32 v[69:70], s[22:23], v69, 36, v[1:2]
	global_load_dword v69, v[69:70], off offset:4
	s_waitcnt vmcnt(0)
	ds_write_b32 v48, v69
.LBB179_8:                              ;   in Loop: Header=BB179_5 Depth=1
	s_or_b64 exec, exec, s[2:3]
	v_add_u32_e32 v69, s21, v0
	v_cmp_gt_i32_e64 s[2:3], s9, v69
	s_and_b64 s[22:23], s[4:5], s[2:3]
	s_and_saveexec_b64 s[2:3], s[22:23]
	s_cbranch_execz .LBB179_10
; %bb.9:                                ;   in Loop: Header=BB179_5 Depth=1
	v_add_u32_e32 v70, v54, v69
	v_mad_i64_i32 v[70:71], s[22:23], v70, 36, s[6:7]
	global_load_dword v70, v[70:71], off
	s_waitcnt vmcnt(0)
	ds_write_b32 v51, v70
.LBB179_10:                             ;   in Loop: Header=BB179_5 Depth=1
	s_or_b64 exec, exec, s[2:3]
	s_mov_b32 s2, -4
	v_mov_b32_e32 v70, v47
	v_mov_b32_e32 v71, v50
	;; [unrolled: 1-line block ×7, first 2 shown]
	s_waitcnt lgkmcnt(0)
	s_barrier
.LBB179_11:                             ;   Parent Loop BB179_5 Depth=1
                                        ; =>  This Inner Loop Header: Depth=2
	ds_read_b128 v[77:80], v70
	ds_read_b128 v[81:84], v70 offset:16
	ds_read2_b32 v[85:86], v76 offset0:2 offset1:3
	v_add_u32_e32 v89, 0x1080, v76
	v_add_u32_e32 v91, 0x1088, v76
	;; [unrolled: 1-line block ×5, first 2 shown]
	ds_read_b32 v101, v71
	ds_read_b32 v102, v72
	ds_read2_b32 v[87:88], v76 offset1:1
	ds_read_b32 v103, v73
	ds_read_b32 v104, v74
	;; [unrolled: 1-line block ×3, first 2 shown]
	v_add_u32_e32 v99, 0x3188, v76
	ds_read2_b32 v[89:90], v89 offset1:1
	ds_read2_b32 v[91:92], v91 offset1:1
	;; [unrolled: 1-line block ×6, first 2 shown]
	s_waitcnt lgkmcnt(9)
	v_and_b32_e32 v106, 0xf0f0f0f, v87
	v_lshrrev_b32_e32 v87, 4, v87
	v_pk_mul_f16 v102, v101, v102
	s_waitcnt lgkmcnt(8)
	v_pk_mul_f16 v103, v101, v103
	s_waitcnt lgkmcnt(7)
	;; [unrolled: 2-line block ×3, first 2 shown]
	v_pk_mul_f16 v101, v101, v105
	v_and_b32_e32 v87, 0xf0f0f0f, v87
	v_dot4_i32_i8 v105, v106, v77, 0
	s_waitcnt lgkmcnt(5)
	v_and_b32_e32 v106, 0xf0f0f0f, v89
	v_lshrrev_b32_e32 v89, 4, v89
	s_waitcnt lgkmcnt(3)
	v_and_b32_e32 v113, 0xf0f0f0f, v93
	v_lshrrev_b32_e32 v93, 4, v93
	;; [unrolled: 3-line block ×3, first 2 shown]
	v_and_b32_e32 v107, 0xf0f0f0f, v88
	v_lshrrev_b32_e32 v88, 4, v88
	v_dot4_i32_i8 v87, v87, v81, v105
	v_and_b32_e32 v89, 0xf0f0f0f, v89
	v_dot4_i32_i8 v105, v106, v77, 0
	v_and_b32_e32 v93, 0xf0f0f0f, v93
	;; [unrolled: 2-line block ×4, first 2 shown]
	v_and_b32_e32 v110, 0xf0f0f0f, v90
	v_lshrrev_b32_e32 v90, 4, v90
	v_and_b32_e32 v114, 0xf0f0f0f, v94
	v_lshrrev_b32_e32 v94, 4, v94
	;; [unrolled: 2-line block ×3, first 2 shown]
	v_dot4_i32_i8 v87, v107, v78, v87
	v_dot4_i32_i8 v89, v89, v81, v105
	;; [unrolled: 1-line block ×4, first 2 shown]
	v_and_b32_e32 v108, 0xf0f0f0f, v85
	v_lshrrev_b32_e32 v85, 4, v85
	v_and_b32_e32 v90, 0xf0f0f0f, v90
	v_and_b32_e32 v94, 0xf0f0f0f, v94
	;; [unrolled: 1-line block ×3, first 2 shown]
	v_dot4_i32_i8 v81, v88, v82, v87
	v_dot4_i32_i8 v87, v110, v78, v89
	;; [unrolled: 1-line block ×4, first 2 shown]
	v_and_b32_e32 v85, 0xf0f0f0f, v85
	v_and_b32_e32 v111, 0xf0f0f0f, v91
	v_lshrrev_b32_e32 v91, 4, v91
	v_and_b32_e32 v115, 0xf0f0f0f, v95
	v_lshrrev_b32_e32 v95, 4, v95
	s_waitcnt lgkmcnt(0)
	v_and_b32_e32 v119, 0xf0f0f0f, v99
	v_lshrrev_b32_e32 v99, 4, v99
	v_dot4_i32_i8 v78, v108, v79, v81
	v_dot4_i32_i8 v81, v90, v82, v87
	;; [unrolled: 1-line block ×4, first 2 shown]
	v_and_b32_e32 v109, 0xf0f0f0f, v86
	v_lshrrev_b32_e32 v86, 4, v86
	v_and_b32_e32 v91, 0xf0f0f0f, v91
	v_and_b32_e32 v95, 0xf0f0f0f, v95
	;; [unrolled: 1-line block ×3, first 2 shown]
	v_dot4_i32_i8 v78, v85, v83, v78
	v_dot4_i32_i8 v81, v111, v79, v81
	;; [unrolled: 1-line block ×4, first 2 shown]
	v_and_b32_e32 v86, 0xf0f0f0f, v86
	v_and_b32_e32 v112, 0xf0f0f0f, v92
	v_lshrrev_b32_e32 v92, 4, v92
	v_and_b32_e32 v116, 0xf0f0f0f, v96
	v_lshrrev_b32_e32 v96, 4, v96
	;; [unrolled: 2-line block ×3, first 2 shown]
	v_dot4_i32_i8 v78, v109, v80, v78
	v_dot4_i32_i8 v79, v91, v83, v81
	;; [unrolled: 1-line block ×4, first 2 shown]
	v_and_b32_e32 v92, 0xf0f0f0f, v92
	v_and_b32_e32 v96, 0xf0f0f0f, v96
	v_and_b32_e32 v100, 0xf0f0f0f, v100
	v_dot4_i32_i8 v78, v86, v84, v78
	v_dot4_i32_i8 v79, v112, v80, v79
	;; [unrolled: 1-line block ×4, first 2 shown]
	v_cvt_f32_i32_e32 v78, v78
	v_dot4_i32_i8 v79, v92, v84, v79
	v_dot4_i32_i8 v80, v96, v84, v81
	;; [unrolled: 1-line block ×3, first 2 shown]
	v_cvt_f32_i32_e32 v79, v79
	v_cvt_f32_i32_e32 v80, v80
	;; [unrolled: 1-line block ×3, first 2 shown]
	v_fma_mix_f32 v78, v102, v78, v102 op_sel:[0,0,1] op_sel_hi:[1,0,1]
	s_add_i32 s2, s2, 4
	v_add_f32_e32 v5, v5, v78
	v_fma_mix_f32 v78, v103, v79, v103 op_sel:[0,0,1] op_sel_hi:[1,0,1]
	v_fma_mix_f32 v79, v104, v80, v104 op_sel:[0,0,1] op_sel_hi:[1,0,1]
	;; [unrolled: 1-line block ×3, first 2 shown]
	v_add_u32_e32 v76, 16, v76
	v_add_u32_e32 v75, 4, v75
	;; [unrolled: 1-line block ×7, first 2 shown]
	s_cmp_lt_u32 s2, 12
	v_add_f32_e32 v49, v49, v78
	v_add_f32_e32 v46, v46, v79
	;; [unrolled: 1-line block ×3, first 2 shown]
	s_cbranch_scc1 .LBB179_11
; %bb.12:                               ;   in Loop: Header=BB179_5 Depth=1
	s_bitset1_b32 s16, 7
	s_cmp_ge_i32 s16, s15
	s_barrier
	s_cbranch_scc1 .LBB179_4
; %bb.13:                               ;   in Loop: Header=BB179_5 Depth=1
	v_add_u32_e32 v70, s21, v53
	v_cmp_gt_i32_e64 s[2:3], s9, v70
	s_and_b64 s[16:17], s[0:1], s[2:3]
	s_and_saveexec_b64 s[2:3], s[16:17]
	s_cbranch_execz .LBB179_15
; %bb.14:                               ;   in Loop: Header=BB179_5 Depth=1
	v_add_u32_e32 v70, v54, v70
	v_mad_i64_i32 v[70:71], s[16:17], v70, 36, v[1:2]
	global_load_dword v70, v[70:71], off offset:4
	s_waitcnt vmcnt(0)
	ds_write_b32 v48, v70
.LBB179_15:                             ;   in Loop: Header=BB179_5 Depth=1
	s_or_b64 exec, exec, s[2:3]
	s_and_saveexec_b64 s[16:17], vcc
	s_cbranch_execz .LBB179_18
; %bb.16:                               ;   in Loop: Header=BB179_5 Depth=1
	v_or_b32_e32 v70, 4, v69
	v_cmp_gt_i32_e64 s[2:3], s9, v70
	s_and_b64 s[2:3], s[0:1], s[2:3]
	s_and_b64 exec, exec, s[2:3]
	s_cbranch_execz .LBB179_18
; %bb.17:                               ;   in Loop: Header=BB179_5 Depth=1
	v_ashrrev_i32_e32 v70, 31, v69
	v_add_co_u32_e64 v69, s[2:3], v54, v69
	v_addc_co_u32_e64 v71, s[2:3], v55, v70, s[2:3]
	v_mad_u64_u32 v[69:70], s[2:3], v69, 36, s[6:7]
	v_mad_i32_i24 v70, v71, 36, v70
	global_load_dword v69, v[69:70], off offset:144
	s_waitcnt vmcnt(0)
	ds_write_b32 v51, v69
.LBB179_18:                             ;   in Loop: Header=BB179_5 Depth=1
	s_or_b64 exec, exec, s[16:17]
	s_mov_b32 s2, 12
	v_mov_b32_e32 v69, v50
	v_mov_b32_e32 v70, v47
	v_mov_b32_e32 v71, v64
	v_mov_b32_e32 v72, v63
	v_mov_b32_e32 v73, v62
	v_mov_b32_e32 v74, v61
	v_mov_b32_e32 v75, v60
	s_waitcnt lgkmcnt(0)
	s_barrier
.LBB179_19:                             ;   Parent Loop BB179_5 Depth=1
                                        ; =>  This Inner Loop Header: Depth=2
	ds_read_b128 v[76:79], v70
	ds_read_b128 v[80:83], v70 offset:16
	ds_read_b32 v100, v69
	ds_read2_b32 v[84:85], v75 offset0:2 offset1:3
	v_add_u32_e32 v88, 0x1080, v75
	v_add_u32_e32 v90, 0x1088, v75
	;; [unrolled: 1-line block ×5, first 2 shown]
	ds_read_b32 v101, v71
	ds_read2_b32 v[86:87], v75 offset1:1
	ds_read_b32 v102, v72
	ds_read_b32 v103, v73
	ds_read_b32 v104, v74
	v_add_u32_e32 v98, 0x3188, v75
	ds_read2_b32 v[88:89], v88 offset1:1
	ds_read2_b32 v[90:91], v90 offset1:1
	;; [unrolled: 1-line block ×6, first 2 shown]
	s_waitcnt lgkmcnt(9)
	v_and_b32_e32 v105, 0xf0f0f0f, v86
	v_lshrrev_b32_e32 v86, 4, v86
	v_pk_mul_f16 v101, v100, v101
	s_waitcnt lgkmcnt(8)
	v_pk_mul_f16 v102, v100, v102
	s_waitcnt lgkmcnt(7)
	v_pk_mul_f16 v103, v100, v103
	s_waitcnt lgkmcnt(6)
	v_pk_mul_f16 v100, v100, v104
	v_and_b32_e32 v86, 0xf0f0f0f, v86
	v_dot4_i32_i8 v104, v105, v76, 0
	s_waitcnt lgkmcnt(5)
	v_and_b32_e32 v105, 0xf0f0f0f, v88
	v_lshrrev_b32_e32 v88, 4, v88
	s_waitcnt lgkmcnt(3)
	v_and_b32_e32 v112, 0xf0f0f0f, v92
	v_lshrrev_b32_e32 v92, 4, v92
	;; [unrolled: 3-line block ×3, first 2 shown]
	v_and_b32_e32 v106, 0xf0f0f0f, v87
	v_lshrrev_b32_e32 v87, 4, v87
	v_dot4_i32_i8 v86, v86, v80, v104
	v_and_b32_e32 v88, 0xf0f0f0f, v88
	v_dot4_i32_i8 v104, v105, v76, 0
	v_and_b32_e32 v92, 0xf0f0f0f, v92
	;; [unrolled: 2-line block ×4, first 2 shown]
	v_and_b32_e32 v109, 0xf0f0f0f, v89
	v_lshrrev_b32_e32 v89, 4, v89
	v_and_b32_e32 v113, 0xf0f0f0f, v93
	v_lshrrev_b32_e32 v93, 4, v93
	;; [unrolled: 2-line block ×3, first 2 shown]
	v_dot4_i32_i8 v86, v106, v77, v86
	v_dot4_i32_i8 v88, v88, v80, v104
	;; [unrolled: 1-line block ×4, first 2 shown]
	v_and_b32_e32 v107, 0xf0f0f0f, v84
	v_lshrrev_b32_e32 v84, 4, v84
	v_and_b32_e32 v89, 0xf0f0f0f, v89
	v_and_b32_e32 v93, 0xf0f0f0f, v93
	;; [unrolled: 1-line block ×3, first 2 shown]
	v_dot4_i32_i8 v80, v87, v81, v86
	v_dot4_i32_i8 v86, v109, v77, v88
	;; [unrolled: 1-line block ×4, first 2 shown]
	v_and_b32_e32 v84, 0xf0f0f0f, v84
	v_and_b32_e32 v110, 0xf0f0f0f, v90
	v_lshrrev_b32_e32 v90, 4, v90
	v_and_b32_e32 v114, 0xf0f0f0f, v94
	v_lshrrev_b32_e32 v94, 4, v94
	s_waitcnt lgkmcnt(0)
	v_and_b32_e32 v118, 0xf0f0f0f, v98
	v_lshrrev_b32_e32 v98, 4, v98
	v_dot4_i32_i8 v77, v107, v78, v80
	v_dot4_i32_i8 v80, v89, v81, v86
	;; [unrolled: 1-line block ×4, first 2 shown]
	v_and_b32_e32 v108, 0xf0f0f0f, v85
	v_lshrrev_b32_e32 v85, 4, v85
	v_and_b32_e32 v90, 0xf0f0f0f, v90
	v_and_b32_e32 v94, 0xf0f0f0f, v94
	;; [unrolled: 1-line block ×3, first 2 shown]
	v_dot4_i32_i8 v77, v84, v82, v77
	v_dot4_i32_i8 v80, v110, v78, v80
	;; [unrolled: 1-line block ×4, first 2 shown]
	v_and_b32_e32 v85, 0xf0f0f0f, v85
	v_and_b32_e32 v111, 0xf0f0f0f, v91
	v_lshrrev_b32_e32 v91, 4, v91
	v_and_b32_e32 v115, 0xf0f0f0f, v95
	v_lshrrev_b32_e32 v95, 4, v95
	;; [unrolled: 2-line block ×3, first 2 shown]
	v_dot4_i32_i8 v77, v108, v79, v77
	v_dot4_i32_i8 v78, v90, v82, v80
	;; [unrolled: 1-line block ×4, first 2 shown]
	v_and_b32_e32 v91, 0xf0f0f0f, v91
	v_and_b32_e32 v95, 0xf0f0f0f, v95
	;; [unrolled: 1-line block ×3, first 2 shown]
	v_dot4_i32_i8 v77, v85, v83, v77
	v_dot4_i32_i8 v78, v111, v79, v78
	;; [unrolled: 1-line block ×4, first 2 shown]
	v_cvt_f32_i32_e32 v77, v77
	v_dot4_i32_i8 v78, v91, v83, v78
	v_dot4_i32_i8 v79, v95, v83, v80
	;; [unrolled: 1-line block ×3, first 2 shown]
	v_cvt_f32_i32_e32 v78, v78
	v_cvt_f32_i32_e32 v79, v79
	;; [unrolled: 1-line block ×3, first 2 shown]
	v_fma_mix_f32 v77, v101, v77, v101 op_sel:[0,0,1] op_sel_hi:[1,0,1]
	s_add_i32 s2, s2, 4
	v_add_f32_e32 v5, v5, v77
	v_fma_mix_f32 v77, v102, v78, v102 op_sel:[0,0,1] op_sel_hi:[1,0,1]
	v_fma_mix_f32 v78, v103, v79, v103 op_sel:[0,0,1] op_sel_hi:[1,0,1]
	;; [unrolled: 1-line block ×3, first 2 shown]
	v_add_u32_e32 v75, 16, v75
	v_add_u32_e32 v74, 4, v74
	;; [unrolled: 1-line block ×7, first 2 shown]
	s_cmp_lt_u32 s2, 28
	v_add_f32_e32 v49, v49, v77
	v_add_f32_e32 v46, v46, v78
	;; [unrolled: 1-line block ×3, first 2 shown]
	s_cbranch_scc1 .LBB179_19
; %bb.20:                               ;   in Loop: Header=BB179_5 Depth=1
	s_barrier
	s_branch .LBB179_4
.LBB179_21:
	s_mul_i32 s0, s11, s8
	s_waitcnt vmcnt(0)
	v_cmp_gt_i32_e32 vcc, s0, v4
	s_and_saveexec_b64 s[0:1], vcc
	s_cbranch_execz .LBB179_30
; %bb.22:
	v_mul_lo_u32 v1, v4, s10
	v_add_u32_e32 v0, s18, v0
	v_cmp_gt_u32_e32 vcc, s10, v0
	s_and_saveexec_b64 s[0:1], vcc
	s_cbranch_execz .LBB179_24
; %bb.23:
	v_add_u32_e32 v6, v1, v0
	v_mov_b32_e32 v7, 0
	v_lshlrev_b64 v[6:7], 2, v[6:7]
	v_mov_b32_e32 v2, s13
	v_add_co_u32_e32 v6, vcc, s12, v6
	v_addc_co_u32_e32 v7, vcc, v2, v7, vcc
	global_store_dword v[6:7], v5, off
.LBB179_24:
	s_or_b64 exec, exec, s[0:1]
	v_add_u32_e32 v2, 32, v0
	v_cmp_gt_u32_e32 vcc, s10, v2
	s_and_saveexec_b64 s[0:1], vcc
	s_cbranch_execz .LBB179_26
; %bb.25:
	v_add_u32_e32 v4, v1, v2
	v_mov_b32_e32 v5, 0
	v_lshlrev_b64 v[4:5], 2, v[4:5]
	v_mov_b32_e32 v2, s13
	v_add_co_u32_e32 v4, vcc, s12, v4
	v_addc_co_u32_e32 v5, vcc, v2, v5, vcc
	global_store_dword v[4:5], v49, off
.LBB179_26:
	s_or_b64 exec, exec, s[0:1]
	;; [unrolled: 14-line block ×3, first 2 shown]
	v_add_u32_e32 v0, 0x60, v0
	v_cmp_gt_u32_e32 vcc, s10, v0
	s_and_b64 exec, exec, vcc
	s_cbranch_execz .LBB179_30
; %bb.29:
	v_add_u32_e32 v0, v1, v0
	v_mov_b32_e32 v1, 0
	v_lshlrev_b64 v[0:1], 2, v[0:1]
	v_mov_b32_e32 v2, s13
	v_add_co_u32_e32 v0, vcc, s12, v0
	v_addc_co_u32_e32 v1, vcc, v2, v1, vcc
	global_store_dword v[0:1], v3, off
.LBB179_30:
	s_endpgm
	.section	.rodata,"a",@progbits
	.p2align	6, 0x0
	.amdhsa_kernel _ZL8moe_q4_1IfLb0EEvPKvS1_PT_PKiS5_S5_iiiiiii
		.amdhsa_group_segment_fixed_size 22272
		.amdhsa_private_segment_fixed_size 0
		.amdhsa_kernarg_size 76
		.amdhsa_user_sgpr_count 6
		.amdhsa_user_sgpr_private_segment_buffer 1
		.amdhsa_user_sgpr_dispatch_ptr 0
		.amdhsa_user_sgpr_queue_ptr 0
		.amdhsa_user_sgpr_kernarg_segment_ptr 1
		.amdhsa_user_sgpr_dispatch_id 0
		.amdhsa_user_sgpr_flat_scratch_init 0
		.amdhsa_user_sgpr_private_segment_size 0
		.amdhsa_uses_dynamic_stack 0
		.amdhsa_system_sgpr_private_segment_wavefront_offset 0
		.amdhsa_system_sgpr_workgroup_id_x 1
		.amdhsa_system_sgpr_workgroup_id_y 1
		.amdhsa_system_sgpr_workgroup_id_z 0
		.amdhsa_system_sgpr_workgroup_info 0
		.amdhsa_system_vgpr_workitem_id 1
		.amdhsa_next_free_vgpr 121
		.amdhsa_next_free_sgpr 98
		.amdhsa_reserve_vcc 1
		.amdhsa_reserve_flat_scratch 0
		.amdhsa_float_round_mode_32 0
		.amdhsa_float_round_mode_16_64 0
		.amdhsa_float_denorm_mode_32 3
		.amdhsa_float_denorm_mode_16_64 3
		.amdhsa_dx10_clamp 1
		.amdhsa_ieee_mode 1
		.amdhsa_fp16_overflow 0
		.amdhsa_exception_fp_ieee_invalid_op 0
		.amdhsa_exception_fp_denorm_src 0
		.amdhsa_exception_fp_ieee_div_zero 0
		.amdhsa_exception_fp_ieee_overflow 0
		.amdhsa_exception_fp_ieee_underflow 0
		.amdhsa_exception_fp_ieee_inexact 0
		.amdhsa_exception_int_div_zero 0
	.end_amdhsa_kernel
	.section	.text._ZL8moe_q4_1IfLb0EEvPKvS1_PT_PKiS5_S5_iiiiiii,"axG",@progbits,_ZL8moe_q4_1IfLb0EEvPKvS1_PT_PKiS5_S5_iiiiiii,comdat
.Lfunc_end179:
	.size	_ZL8moe_q4_1IfLb0EEvPKvS1_PT_PKiS5_S5_iiiiiii, .Lfunc_end179-_ZL8moe_q4_1IfLb0EEvPKvS1_PT_PKiS5_S5_iiiiiii
                                        ; -- End function
	.set _ZL8moe_q4_1IfLb0EEvPKvS1_PT_PKiS5_S5_iiiiiii.num_vgpr, 121
	.set _ZL8moe_q4_1IfLb0EEvPKvS1_PT_PKiS5_S5_iiiiiii.num_agpr, 0
	.set _ZL8moe_q4_1IfLb0EEvPKvS1_PT_PKiS5_S5_iiiiiii.numbered_sgpr, 24
	.set _ZL8moe_q4_1IfLb0EEvPKvS1_PT_PKiS5_S5_iiiiiii.num_named_barrier, 0
	.set _ZL8moe_q4_1IfLb0EEvPKvS1_PT_PKiS5_S5_iiiiiii.private_seg_size, 0
	.set _ZL8moe_q4_1IfLb0EEvPKvS1_PT_PKiS5_S5_iiiiiii.uses_vcc, 1
	.set _ZL8moe_q4_1IfLb0EEvPKvS1_PT_PKiS5_S5_iiiiiii.uses_flat_scratch, 0
	.set _ZL8moe_q4_1IfLb0EEvPKvS1_PT_PKiS5_S5_iiiiiii.has_dyn_sized_stack, 0
	.set _ZL8moe_q4_1IfLb0EEvPKvS1_PT_PKiS5_S5_iiiiiii.has_recursion, 0
	.set _ZL8moe_q4_1IfLb0EEvPKvS1_PT_PKiS5_S5_iiiiiii.has_indirect_call, 0
	.section	.AMDGPU.csdata,"",@progbits
; Kernel info:
; codeLenInByte = 4408
; TotalNumSgprs: 28
; NumVgprs: 121
; ScratchSize: 0
; MemoryBound: 0
; FloatMode: 240
; IeeeMode: 1
; LDSByteSize: 22272 bytes/workgroup (compile time only)
; SGPRBlocks: 12
; VGPRBlocks: 30
; NumSGPRsForWavesPerEU: 102
; NumVGPRsForWavesPerEU: 121
; Occupancy: 2
; WaveLimiterHint : 1
; COMPUTE_PGM_RSRC2:SCRATCH_EN: 0
; COMPUTE_PGM_RSRC2:USER_SGPR: 6
; COMPUTE_PGM_RSRC2:TRAP_HANDLER: 0
; COMPUTE_PGM_RSRC2:TGID_X_EN: 1
; COMPUTE_PGM_RSRC2:TGID_Y_EN: 1
; COMPUTE_PGM_RSRC2:TGID_Z_EN: 0
; COMPUTE_PGM_RSRC2:TIDIG_COMP_CNT: 1
	.section	.text._ZL8moe_q4_1IfLb1EEvPKvS1_PT_PKiS5_S5_iiiiiii,"axG",@progbits,_ZL8moe_q4_1IfLb1EEvPKvS1_PT_PKiS5_S5_iiiiiii,comdat
	.globl	_ZL8moe_q4_1IfLb1EEvPKvS1_PT_PKiS5_S5_iiiiiii ; -- Begin function _ZL8moe_q4_1IfLb1EEvPKvS1_PT_PKiS5_S5_iiiiiii
	.p2align	8
	.type	_ZL8moe_q4_1IfLb1EEvPKvS1_PT_PKiS5_S5_iiiiiii,@function
_ZL8moe_q4_1IfLb1EEvPKvS1_PT_PKiS5_S5_iiiiiii: ; @_ZL8moe_q4_1IfLb1EEvPKvS1_PT_PKiS5_S5_iiiiiii
; %bb.0:
	s_load_dwordx4 s[0:3], s[4:5], 0x18
	s_mov_b32 s8, s7
	s_mov_b32 s9, 0
	s_lshl_b64 s[10:11], s[8:9], 2
	s_waitcnt lgkmcnt(0)
	s_add_u32 s2, s2, s10
	s_addc_u32 s3, s3, s11
	s_load_dword s2, s[2:3], 0x0
	s_waitcnt lgkmcnt(0)
	s_cmpk_gt_u32 s2, 0xff
	s_cbranch_scc1 .LBB180_30
; %bb.1:
	s_load_dwordx2 s[10:11], s[4:5], 0x28
	s_lshl_b32 s3, s8, 3
	s_waitcnt lgkmcnt(0)
	s_load_dword s7, s[10:11], 0x0
	s_waitcnt lgkmcnt(0)
	s_cmp_gt_u32 s3, s7
	s_cbranch_scc1 .LBB180_30
; %bb.2:
	v_add_u32_e32 v17, s3, v1
	v_mov_b32_e32 v18, 0
	v_lshlrev_b64 v[2:3], 2, v[17:18]
	v_mov_b32_e32 v4, s1
	v_add_co_u32_e32 v2, vcc, s0, v2
	v_addc_co_u32_e32 v3, vcc, v4, v3, vcc
	global_load_dword v21, v[2:3], off
	s_load_dwordx8 s[8:15], s[4:5], 0x30
	s_load_dwordx2 s[16:17], s[4:5], 0x10
	s_waitcnt lgkmcnt(0)
	s_lshl_b32 s15, s6, 7
	v_mov_b32_e32 v47, v18
	v_mov_b32_e32 v50, v18
	s_cmp_lt_i32 s9, 32
	v_mov_b32_e32 v22, v18
	s_cbranch_scc1 .LBB180_21
; %bb.3:
	s_ashr_i32 s0, s9, 31
	s_lshr_b32 s0, s0, 27
	s_load_dwordx4 s[4:7], s[4:5], 0x0
	s_add_i32 s0, s9, s0
	s_ashr_i32 s20, s0, 5
	s_ashr_i32 s0, s12, 31
	s_lshr_b32 s0, s0, 27
	s_add_i32 s0, s12, s0
	s_mul_i32 s2, s2, s8
	s_ashr_i32 s12, s0, 5
	s_ashr_i32 s0, s2, 31
	s_waitcnt lgkmcnt(0)
	s_add_u32 s1, s4, s2
	s_mul_i32 s2, s20, s15
	s_addc_u32 s0, s5, s0
	s_mul_hi_i32 s3, s2, 20
	s_mul_i32 s2, s2, 20
	s_add_u32 s8, s1, s2
	s_addc_u32 s21, s0, s3
	s_not_b32 s0, s15
	s_add_i32 s2, s10, s0
	v_lshlrev_b32_e32 v19, 2, v0
	v_min_i32_e32 v2, s2, v1
	s_movk_i32 s18, 0x84
	v_mul_lo_u32 v25, v2, s20
	v_mad_u64_u32 v[2:3], s[0:1], v2, s18, v[19:20]
	v_add_u32_e32 v3, 8, v1
	v_min_i32_e32 v3, s2, v3
	v_mul_lo_u32 v26, v3, s20
	v_mad_u64_u32 v[3:4], s[0:1], v3, s18, v[19:20]
	v_add_u32_e32 v4, 16, v1
	v_min_i32_e32 v4, s2, v4
	;; [unrolled: 4-line block ×15, first 2 shown]
	v_mul_lo_u32 v40, v17, s20
	v_mad_u64_u32 v[17:18], s[0:1], v17, s18, v[19:20]
	v_lshrrev_b32_e32 v42, 3, v0
	v_lshl_add_u32 v18, v1, 2, v42
	v_min_i32_e32 v20, s2, v18
	v_ashrrev_i32_e32 v44, 31, v20
	v_lshrrev_b32_e32 v44, 30, v44
	v_mul_lo_u32 v43, v20, s20
	v_add_u32_e32 v44, v20, v44
	v_lshlrev_b32_e32 v65, 5, v20
	v_add_u32_e32 v20, 32, v18
	v_min_i32_e32 v20, s2, v20
	v_and_b32_e32 v41, 7, v0
	v_ashrrev_i32_e32 v45, 31, v20
	v_and_b32_e32 v44, -4, v44
	v_lshlrev_b32_e32 v47, 2, v41
	s_movk_i32 s0, 0x4200
	v_lshrrev_b32_e32 v45, 30, v45
	v_add3_u32 v50, v44, v47, s0
	v_mul_lo_u32 v44, v20, s20
	v_add_u32_e32 v45, v20, v45
	v_lshlrev_b32_e32 v67, 5, v20
	v_add_u32_e32 v20, 64, v18
	v_min_i32_e32 v20, s2, v20
	v_ashrrev_i32_e32 v46, 31, v20
	v_add_u32_e32 v18, 0x60, v18
	v_and_b32_e32 v45, -4, v45
	v_lshrrev_b32_e32 v46, 30, v46
	v_min_i32_e32 v18, s2, v18
	v_add3_u32 v66, v45, v47, s0
	v_mul_lo_u32 v45, v20, s20
	v_add_u32_e32 v46, v20, v46
	v_lshlrev_b32_e32 v69, 5, v20
	v_ashrrev_i32_e32 v20, 31, v18
	v_lshrrev_b32_e32 v20, 30, v20
	v_add_u32_e32 v20, v18, v20
	v_and_b32_e32 v46, -4, v46
	v_and_b32_e32 v20, -4, v20
	s_abs_i32 s2, s14
	v_add3_u32 v68, v46, v47, s0
	v_add3_u32 v47, v20, v47, s0
	v_cvt_f32_u32_e32 v20, s2
	s_sub_i32 s0, 0, s2
	v_mov_b32_e32 v48, 0x5280
	v_mov_b32_e32 v51, 0x5680
	v_rcp_iflag_f32_e32 v20, v20
	v_lshl_add_u32 v48, v1, 7, v48
	v_lshl_add_u32 v1, v1, 4, v51
	v_and_b32_e32 v24, 12, v19
	v_mul_f32_e32 v20, 0x4f7ffffe, v20
	v_cvt_u32_f32_e32 v20, v20
	v_and_b32_e32 v55, 28, v19
	v_add_u32_e32 v51, v1, v19
	s_waitcnt vmcnt(0)
	v_xor_b32_e32 v59, s14, v21
	v_mul_lo_u32 v52, s0, v20
	v_ashrrev_i32_e32 v59, 31, v59
	v_mul_lo_u32 v46, v18, s20
	v_add_u32_e32 v58, 32, v0
	v_mul_hi_u32 v19, v20, v52
	v_sub_u32_e32 v52, 0, v21
	v_max_i32_e32 v54, v21, v52
	v_add_u32_e32 v57, 64, v0
	v_add_u32_e32 v19, v20, v19
	v_mul_hi_u32 v19, v54, v19
	v_add_u32_e32 v56, 0x60, v0
	v_lshrrev_b32_e32 v53, 3, v58
	v_and_b32_e32 v56, 0x1fc, v56
	v_mul_lo_u32 v20, v19, s2
	v_and_b32_e32 v57, 0x1fc, v57
	v_and_b32_e32 v58, 0x1fc, v58
	;; [unrolled: 1-line block ×3, first 2 shown]
	v_sub_u32_e32 v20, v54, v20
	v_add_u32_e32 v54, 1, v19
	v_cmp_le_u32_e64 s[0:1], s2, v20
	v_cndmask_b32_e64 v19, v19, v54, s[0:1]
	v_subrev_u32_e32 v54, s2, v20
	v_cndmask_b32_e64 v20, v20, v54, s[0:1]
	v_add_u32_e32 v54, 1, v19
	v_cmp_le_u32_e64 s[0:1], s2, v20
	v_cndmask_b32_e64 v19, v19, v54, s[0:1]
	v_xor_b32_e32 v19, v19, v59
	v_sub_u32_e32 v19, v19, v59
	v_mul_lo_u32 v54, v19, s12
	v_lshlrev_b32_e32 v59, 5, v0
	v_lshlrev_b32_e32 v18, 5, v18
	v_and_b32_e32 v49, 31, v0
	v_cmp_gt_u32_e32 vcc, 4, v0
	v_cmp_gt_i32_e64 s[0:1], s11, v19
	v_mov_b32_e32 v20, s7
	v_add_co_u32_e64 v19, s[2:3], s6, v55
	v_add_u32_e32 v61, v59, v56
	v_add_u32_e32 v62, v59, v57
	;; [unrolled: 1-line block ×4, first 2 shown]
	v_lshrrev_b32_e32 v23, 2, v0
	v_mov_b32_e32 v22, 0
	v_lshl_or_b32 v49, v49, 2, v48
	v_mul_u32_u24_e32 v52, 0x84, v0
	s_mov_b32 s10, 0
	v_addc_co_u32_e64 v20, s[2:3], 0, v20, s[2:3]
	s_and_b64 s[4:5], vcc, s[0:1]
	v_ashrrev_i32_e32 v55, 31, v54
	v_add_u32_e32 v56, 0x4e00, v61
	v_add_u32_e32 v57, 0x4a00, v62
	;; [unrolled: 1-line block ×4, first 2 shown]
	v_mad_u32_u24 v60, v0, s18, 64
	v_add_u32_e32 v61, 0x4e10, v61
	v_add_u32_e32 v62, 0x4a10, v62
	;; [unrolled: 1-line block ×8, first 2 shown]
	v_mov_b32_e32 v50, 0
	v_mov_b32_e32 v47, 0
	;; [unrolled: 1-line block ×3, first 2 shown]
	s_branch .LBB180_5
.LBB180_4:                              ;   in Loop: Header=BB180_5 Depth=1
	s_add_i32 s10, s10, 8
	s_cmp_ge_i32 s10, s20
	s_cbranch_scc1 .LBB180_21
.LBB180_5:                              ; =>This Loop Header: Depth=1
                                        ;     Child Loop BB180_11 Depth 2
                                        ;     Child Loop BB180_19 Depth 2
	s_mul_i32 s3, s10, 20
	s_mul_hi_u32 s2, s10, 20
	s_add_u32 s18, s8, s3
	s_addc_u32 s19, s21, s2
	v_mad_u64_u32 v[69:70], s[2:3], v23, 20, s[18:19]
	v_mad_i64_i32 v[71:72], s[2:3], v25, 20, v[69:70]
	v_mad_i64_i32 v[73:74], s[2:3], v26, 20, v[69:70]
	v_add_co_u32_e64 v71, s[2:3], v71, v24
	v_addc_co_u32_e64 v72, s[2:3], 0, v72, s[2:3]
	v_add_co_u32_e64 v73, s[2:3], v73, v24
	v_addc_co_u32_e64 v74, s[2:3], 0, v74, s[2:3]
	v_mad_i64_i32 v[75:76], s[2:3], v27, 20, v[69:70]
	v_mad_i64_i32 v[77:78], s[2:3], v28, 20, v[69:70]
	v_add_co_u32_e64 v75, s[2:3], v75, v24
	v_addc_co_u32_e64 v76, s[2:3], 0, v76, s[2:3]
	v_add_co_u32_e64 v77, s[2:3], v77, v24
	v_addc_co_u32_e64 v78, s[2:3], 0, v78, s[2:3]
	;; [unrolled: 6-line block ×4, first 2 shown]
	global_load_dword v87, v[71:72], off offset:4
	global_load_dword v88, v[73:74], off offset:4
	;; [unrolled: 1-line block ×8, first 2 shown]
	v_mad_i64_i32 v[71:72], s[2:3], v33, 20, v[69:70]
	v_mad_i64_i32 v[73:74], s[2:3], v34, 20, v[69:70]
	v_add_co_u32_e64 v71, s[2:3], v71, v24
	v_addc_co_u32_e64 v72, s[2:3], 0, v72, s[2:3]
	v_add_co_u32_e64 v73, s[2:3], v73, v24
	v_addc_co_u32_e64 v74, s[2:3], 0, v74, s[2:3]
	v_mad_i64_i32 v[75:76], s[2:3], v35, 20, v[69:70]
	v_mad_i64_i32 v[77:78], s[2:3], v36, 20, v[69:70]
	v_add_co_u32_e64 v75, s[2:3], v75, v24
	v_addc_co_u32_e64 v76, s[2:3], 0, v76, s[2:3]
	v_add_co_u32_e64 v77, s[2:3], v77, v24
	v_addc_co_u32_e64 v78, s[2:3], 0, v78, s[2:3]
	;; [unrolled: 6-line block ×4, first 2 shown]
	v_mad_u64_u32 v[85:86], s[2:3], v41, 20, s[18:19]
	global_load_dword v95, v[71:72], off offset:4
	global_load_dword v96, v[73:74], off offset:4
	;; [unrolled: 1-line block ×3, first 2 shown]
	s_nop 0
	global_load_dword v77, v[77:78], off offset:4
	s_nop 0
	global_load_dword v78, v[79:80], off offset:4
	;; [unrolled: 2-line block ×3, first 2 shown]
	global_load_dword v80, v[83:84], off offset:4
	s_nop 0
	global_load_dword v81, v[69:70], off offset:4
	s_lshl_b32 s18, s10, 5
	v_mad_i64_i32 v[69:70], s[2:3], v43, 20, v[85:86]
	v_mad_i64_i32 v[71:72], s[2:3], v44, 20, v[85:86]
	;; [unrolled: 1-line block ×4, first 2 shown]
	global_load_dword v69, v[69:70], off
	s_nop 0
	global_load_dword v70, v[71:72], off
	s_nop 0
	global_load_dword v71, v[73:74], off
	global_load_dword v72, v[75:76], off
	s_cmp_lt_i32 s18, s9
	s_waitcnt vmcnt(19)
	ds_write_b32 v2, v87
	s_waitcnt vmcnt(18)
	ds_write_b32 v3, v88
	;; [unrolled: 2-line block ×20, first 2 shown]
	s_cbranch_scc0 .LBB180_4
; %bb.6:                                ;   in Loop: Header=BB180_5 Depth=1
	v_add_u32_e32 v69, s10, v42
	v_cmp_gt_i32_e64 s[2:3], s12, v69
	s_and_b64 s[22:23], s[0:1], s[2:3]
	s_and_saveexec_b64 s[2:3], s[22:23]
	s_cbranch_execz .LBB180_8
; %bb.7:                                ;   in Loop: Header=BB180_5 Depth=1
	v_add_u32_e32 v69, v54, v69
	v_mad_i64_i32 v[69:70], s[22:23], v69, 36, v[19:20]
	global_load_dword v69, v[69:70], off offset:4
	s_waitcnt vmcnt(0)
	ds_write_b32 v49, v69
.LBB180_8:                              ;   in Loop: Header=BB180_5 Depth=1
	s_or_b64 exec, exec, s[2:3]
	v_add_u32_e32 v69, s10, v0
	v_cmp_gt_i32_e64 s[2:3], s12, v69
	s_and_b64 s[22:23], s[4:5], s[2:3]
	s_and_saveexec_b64 s[2:3], s[22:23]
	s_cbranch_execz .LBB180_10
; %bb.9:                                ;   in Loop: Header=BB180_5 Depth=1
	v_add_u32_e32 v70, v54, v69
	v_mad_i64_i32 v[70:71], s[22:23], v70, 36, s[6:7]
	global_load_dword v70, v[70:71], off
	s_waitcnt vmcnt(0)
	ds_write_b32 v51, v70
.LBB180_10:                             ;   in Loop: Header=BB180_5 Depth=1
	s_or_b64 exec, exec, s[2:3]
	s_mov_b32 s2, -4
	v_mov_b32_e32 v70, v48
	v_mov_b32_e32 v71, v1
	;; [unrolled: 1-line block ×7, first 2 shown]
	s_waitcnt lgkmcnt(0)
	s_barrier
.LBB180_11:                             ;   Parent Loop BB180_5 Depth=1
                                        ; =>  This Inner Loop Header: Depth=2
	ds_read_b128 v[77:80], v70
	ds_read_b128 v[81:84], v70 offset:16
	ds_read2_b32 v[85:86], v76 offset0:2 offset1:3
	v_add_u32_e32 v89, 0x1080, v76
	v_add_u32_e32 v91, 0x1088, v76
	;; [unrolled: 1-line block ×5, first 2 shown]
	ds_read_b32 v101, v71
	ds_read_b32 v102, v72
	ds_read2_b32 v[87:88], v76 offset1:1
	ds_read_b32 v103, v73
	ds_read_b32 v104, v74
	;; [unrolled: 1-line block ×3, first 2 shown]
	v_add_u32_e32 v99, 0x3188, v76
	ds_read2_b32 v[89:90], v89 offset1:1
	ds_read2_b32 v[91:92], v91 offset1:1
	;; [unrolled: 1-line block ×6, first 2 shown]
	s_waitcnt lgkmcnt(9)
	v_and_b32_e32 v106, 0xf0f0f0f, v87
	v_lshrrev_b32_e32 v87, 4, v87
	v_pk_mul_f16 v102, v101, v102
	s_waitcnt lgkmcnt(8)
	v_pk_mul_f16 v103, v101, v103
	s_waitcnt lgkmcnt(7)
	;; [unrolled: 2-line block ×3, first 2 shown]
	v_pk_mul_f16 v101, v101, v105
	v_and_b32_e32 v87, 0xf0f0f0f, v87
	v_dot4_i32_i8 v105, v106, v77, 0
	s_waitcnt lgkmcnt(5)
	v_and_b32_e32 v106, 0xf0f0f0f, v89
	v_lshrrev_b32_e32 v89, 4, v89
	s_waitcnt lgkmcnt(3)
	v_and_b32_e32 v113, 0xf0f0f0f, v93
	v_lshrrev_b32_e32 v93, 4, v93
	;; [unrolled: 3-line block ×3, first 2 shown]
	v_and_b32_e32 v107, 0xf0f0f0f, v88
	v_lshrrev_b32_e32 v88, 4, v88
	v_dot4_i32_i8 v87, v87, v81, v105
	v_and_b32_e32 v89, 0xf0f0f0f, v89
	v_dot4_i32_i8 v105, v106, v77, 0
	v_and_b32_e32 v93, 0xf0f0f0f, v93
	;; [unrolled: 2-line block ×4, first 2 shown]
	v_and_b32_e32 v110, 0xf0f0f0f, v90
	v_lshrrev_b32_e32 v90, 4, v90
	v_and_b32_e32 v114, 0xf0f0f0f, v94
	v_lshrrev_b32_e32 v94, 4, v94
	;; [unrolled: 2-line block ×3, first 2 shown]
	v_dot4_i32_i8 v87, v107, v78, v87
	v_dot4_i32_i8 v89, v89, v81, v105
	;; [unrolled: 1-line block ×4, first 2 shown]
	v_and_b32_e32 v108, 0xf0f0f0f, v85
	v_lshrrev_b32_e32 v85, 4, v85
	v_and_b32_e32 v90, 0xf0f0f0f, v90
	v_and_b32_e32 v94, 0xf0f0f0f, v94
	;; [unrolled: 1-line block ×3, first 2 shown]
	v_dot4_i32_i8 v81, v88, v82, v87
	v_dot4_i32_i8 v87, v110, v78, v89
	;; [unrolled: 1-line block ×4, first 2 shown]
	v_and_b32_e32 v85, 0xf0f0f0f, v85
	v_and_b32_e32 v111, 0xf0f0f0f, v91
	v_lshrrev_b32_e32 v91, 4, v91
	v_and_b32_e32 v115, 0xf0f0f0f, v95
	v_lshrrev_b32_e32 v95, 4, v95
	s_waitcnt lgkmcnt(0)
	v_and_b32_e32 v119, 0xf0f0f0f, v99
	v_lshrrev_b32_e32 v99, 4, v99
	v_dot4_i32_i8 v78, v108, v79, v81
	v_dot4_i32_i8 v81, v90, v82, v87
	;; [unrolled: 1-line block ×4, first 2 shown]
	v_and_b32_e32 v109, 0xf0f0f0f, v86
	v_lshrrev_b32_e32 v86, 4, v86
	v_and_b32_e32 v91, 0xf0f0f0f, v91
	v_and_b32_e32 v95, 0xf0f0f0f, v95
	;; [unrolled: 1-line block ×3, first 2 shown]
	v_dot4_i32_i8 v78, v85, v83, v78
	v_dot4_i32_i8 v81, v111, v79, v81
	;; [unrolled: 1-line block ×4, first 2 shown]
	v_and_b32_e32 v86, 0xf0f0f0f, v86
	v_and_b32_e32 v112, 0xf0f0f0f, v92
	v_lshrrev_b32_e32 v92, 4, v92
	v_and_b32_e32 v116, 0xf0f0f0f, v96
	v_lshrrev_b32_e32 v96, 4, v96
	;; [unrolled: 2-line block ×3, first 2 shown]
	v_dot4_i32_i8 v78, v109, v80, v78
	v_dot4_i32_i8 v79, v91, v83, v81
	;; [unrolled: 1-line block ×4, first 2 shown]
	v_and_b32_e32 v92, 0xf0f0f0f, v92
	v_and_b32_e32 v96, 0xf0f0f0f, v96
	;; [unrolled: 1-line block ×3, first 2 shown]
	v_dot4_i32_i8 v78, v86, v84, v78
	v_dot4_i32_i8 v79, v112, v80, v79
	;; [unrolled: 1-line block ×4, first 2 shown]
	v_cvt_f32_i32_e32 v78, v78
	v_dot4_i32_i8 v79, v92, v84, v79
	v_dot4_i32_i8 v80, v96, v84, v81
	;; [unrolled: 1-line block ×3, first 2 shown]
	v_cvt_f32_i32_e32 v79, v79
	v_cvt_f32_i32_e32 v80, v80
	;; [unrolled: 1-line block ×3, first 2 shown]
	v_fma_mix_f32 v78, v102, v78, v102 op_sel:[0,0,1] op_sel_hi:[1,0,1]
	s_add_i32 s2, s2, 4
	v_add_f32_e32 v22, v22, v78
	v_fma_mix_f32 v78, v103, v79, v103 op_sel:[0,0,1] op_sel_hi:[1,0,1]
	v_fma_mix_f32 v79, v104, v80, v104 op_sel:[0,0,1] op_sel_hi:[1,0,1]
	;; [unrolled: 1-line block ×3, first 2 shown]
	v_add_u32_e32 v76, 16, v76
	v_add_u32_e32 v75, 4, v75
	;; [unrolled: 1-line block ×7, first 2 shown]
	s_cmp_lt_u32 s2, 12
	v_add_f32_e32 v50, v50, v78
	v_add_f32_e32 v47, v47, v79
	;; [unrolled: 1-line block ×3, first 2 shown]
	s_cbranch_scc1 .LBB180_11
; %bb.12:                               ;   in Loop: Header=BB180_5 Depth=1
	s_bitset1_b32 s18, 7
	s_cmp_ge_i32 s18, s9
	s_barrier
	s_cbranch_scc1 .LBB180_4
; %bb.13:                               ;   in Loop: Header=BB180_5 Depth=1
	v_add_u32_e32 v70, s10, v53
	v_cmp_gt_i32_e64 s[2:3], s12, v70
	s_and_b64 s[18:19], s[0:1], s[2:3]
	s_and_saveexec_b64 s[2:3], s[18:19]
	s_cbranch_execz .LBB180_15
; %bb.14:                               ;   in Loop: Header=BB180_5 Depth=1
	v_add_u32_e32 v70, v54, v70
	v_mad_i64_i32 v[70:71], s[18:19], v70, 36, v[19:20]
	global_load_dword v70, v[70:71], off offset:4
	s_waitcnt vmcnt(0)
	ds_write_b32 v49, v70
.LBB180_15:                             ;   in Loop: Header=BB180_5 Depth=1
	s_or_b64 exec, exec, s[2:3]
	s_and_saveexec_b64 s[18:19], vcc
	s_cbranch_execz .LBB180_18
; %bb.16:                               ;   in Loop: Header=BB180_5 Depth=1
	v_or_b32_e32 v70, 4, v69
	v_cmp_gt_i32_e64 s[2:3], s12, v70
	s_and_b64 s[2:3], s[0:1], s[2:3]
	s_and_b64 exec, exec, s[2:3]
	s_cbranch_execz .LBB180_18
; %bb.17:                               ;   in Loop: Header=BB180_5 Depth=1
	v_ashrrev_i32_e32 v70, 31, v69
	v_add_co_u32_e64 v69, s[2:3], v54, v69
	v_addc_co_u32_e64 v71, s[2:3], v55, v70, s[2:3]
	v_mad_u64_u32 v[69:70], s[2:3], v69, 36, s[6:7]
	v_mad_i32_i24 v70, v71, 36, v70
	global_load_dword v69, v[69:70], off offset:144
	s_waitcnt vmcnt(0)
	ds_write_b32 v51, v69
.LBB180_18:                             ;   in Loop: Header=BB180_5 Depth=1
	s_or_b64 exec, exec, s[18:19]
	s_mov_b32 s2, 12
	v_mov_b32_e32 v69, v1
	v_mov_b32_e32 v70, v48
	;; [unrolled: 1-line block ×7, first 2 shown]
	s_waitcnt lgkmcnt(0)
	s_barrier
.LBB180_19:                             ;   Parent Loop BB180_5 Depth=1
                                        ; =>  This Inner Loop Header: Depth=2
	ds_read_b128 v[76:79], v70
	ds_read_b128 v[80:83], v70 offset:16
	ds_read_b32 v100, v69
	ds_read2_b32 v[84:85], v75 offset0:2 offset1:3
	v_add_u32_e32 v88, 0x1080, v75
	v_add_u32_e32 v90, 0x1088, v75
	;; [unrolled: 1-line block ×5, first 2 shown]
	ds_read_b32 v101, v71
	ds_read2_b32 v[86:87], v75 offset1:1
	ds_read_b32 v102, v72
	ds_read_b32 v103, v73
	;; [unrolled: 1-line block ×3, first 2 shown]
	v_add_u32_e32 v98, 0x3188, v75
	ds_read2_b32 v[88:89], v88 offset1:1
	ds_read2_b32 v[90:91], v90 offset1:1
	ds_read2_b32 v[92:93], v92 offset1:1
	ds_read2_b32 v[94:95], v94 offset1:1
	ds_read2_b32 v[96:97], v96 offset1:1
	ds_read2_b32 v[98:99], v98 offset1:1
	s_waitcnt lgkmcnt(9)
	v_and_b32_e32 v105, 0xf0f0f0f, v86
	v_lshrrev_b32_e32 v86, 4, v86
	v_pk_mul_f16 v101, v100, v101
	s_waitcnt lgkmcnt(8)
	v_pk_mul_f16 v102, v100, v102
	s_waitcnt lgkmcnt(7)
	;; [unrolled: 2-line block ×3, first 2 shown]
	v_pk_mul_f16 v100, v100, v104
	v_and_b32_e32 v86, 0xf0f0f0f, v86
	v_dot4_i32_i8 v104, v105, v76, 0
	s_waitcnt lgkmcnt(5)
	v_and_b32_e32 v105, 0xf0f0f0f, v88
	v_lshrrev_b32_e32 v88, 4, v88
	s_waitcnt lgkmcnt(3)
	v_and_b32_e32 v112, 0xf0f0f0f, v92
	v_lshrrev_b32_e32 v92, 4, v92
	;; [unrolled: 3-line block ×3, first 2 shown]
	v_and_b32_e32 v106, 0xf0f0f0f, v87
	v_lshrrev_b32_e32 v87, 4, v87
	v_dot4_i32_i8 v86, v86, v80, v104
	v_and_b32_e32 v88, 0xf0f0f0f, v88
	v_dot4_i32_i8 v104, v105, v76, 0
	v_and_b32_e32 v92, 0xf0f0f0f, v92
	v_dot4_i32_i8 v105, v112, v76, 0
	v_and_b32_e32 v96, 0xf0f0f0f, v96
	v_dot4_i32_i8 v76, v116, v76, 0
	v_and_b32_e32 v87, 0xf0f0f0f, v87
	v_and_b32_e32 v109, 0xf0f0f0f, v89
	v_lshrrev_b32_e32 v89, 4, v89
	v_and_b32_e32 v113, 0xf0f0f0f, v93
	v_lshrrev_b32_e32 v93, 4, v93
	v_and_b32_e32 v117, 0xf0f0f0f, v97
	v_lshrrev_b32_e32 v97, 4, v97
	v_dot4_i32_i8 v86, v106, v77, v86
	v_dot4_i32_i8 v88, v88, v80, v104
	v_dot4_i32_i8 v92, v92, v80, v105
	v_dot4_i32_i8 v76, v96, v80, v76
	v_and_b32_e32 v107, 0xf0f0f0f, v84
	v_lshrrev_b32_e32 v84, 4, v84
	v_and_b32_e32 v89, 0xf0f0f0f, v89
	v_and_b32_e32 v93, 0xf0f0f0f, v93
	;; [unrolled: 1-line block ×3, first 2 shown]
	v_dot4_i32_i8 v80, v87, v81, v86
	v_dot4_i32_i8 v86, v109, v77, v88
	;; [unrolled: 1-line block ×4, first 2 shown]
	v_and_b32_e32 v84, 0xf0f0f0f, v84
	v_and_b32_e32 v110, 0xf0f0f0f, v90
	v_lshrrev_b32_e32 v90, 4, v90
	v_and_b32_e32 v114, 0xf0f0f0f, v94
	v_lshrrev_b32_e32 v94, 4, v94
	s_waitcnt lgkmcnt(0)
	v_and_b32_e32 v118, 0xf0f0f0f, v98
	v_lshrrev_b32_e32 v98, 4, v98
	v_dot4_i32_i8 v77, v107, v78, v80
	v_dot4_i32_i8 v80, v89, v81, v86
	;; [unrolled: 1-line block ×4, first 2 shown]
	v_and_b32_e32 v108, 0xf0f0f0f, v85
	v_lshrrev_b32_e32 v85, 4, v85
	v_and_b32_e32 v90, 0xf0f0f0f, v90
	v_and_b32_e32 v94, 0xf0f0f0f, v94
	;; [unrolled: 1-line block ×3, first 2 shown]
	v_dot4_i32_i8 v77, v84, v82, v77
	v_dot4_i32_i8 v80, v110, v78, v80
	;; [unrolled: 1-line block ×4, first 2 shown]
	v_and_b32_e32 v85, 0xf0f0f0f, v85
	v_and_b32_e32 v111, 0xf0f0f0f, v91
	v_lshrrev_b32_e32 v91, 4, v91
	v_and_b32_e32 v115, 0xf0f0f0f, v95
	v_lshrrev_b32_e32 v95, 4, v95
	;; [unrolled: 2-line block ×3, first 2 shown]
	v_dot4_i32_i8 v77, v108, v79, v77
	v_dot4_i32_i8 v78, v90, v82, v80
	;; [unrolled: 1-line block ×4, first 2 shown]
	v_and_b32_e32 v91, 0xf0f0f0f, v91
	v_and_b32_e32 v95, 0xf0f0f0f, v95
	;; [unrolled: 1-line block ×3, first 2 shown]
	v_dot4_i32_i8 v77, v85, v83, v77
	v_dot4_i32_i8 v78, v111, v79, v78
	v_dot4_i32_i8 v80, v115, v79, v80
	v_dot4_i32_i8 v76, v119, v79, v76
	v_cvt_f32_i32_e32 v77, v77
	v_dot4_i32_i8 v78, v91, v83, v78
	v_dot4_i32_i8 v79, v95, v83, v80
	;; [unrolled: 1-line block ×3, first 2 shown]
	v_cvt_f32_i32_e32 v78, v78
	v_cvt_f32_i32_e32 v79, v79
	v_cvt_f32_i32_e32 v76, v76
	v_fma_mix_f32 v77, v101, v77, v101 op_sel:[0,0,1] op_sel_hi:[1,0,1]
	s_add_i32 s2, s2, 4
	v_add_f32_e32 v22, v22, v77
	v_fma_mix_f32 v77, v102, v78, v102 op_sel:[0,0,1] op_sel_hi:[1,0,1]
	v_fma_mix_f32 v78, v103, v79, v103 op_sel:[0,0,1] op_sel_hi:[1,0,1]
	;; [unrolled: 1-line block ×3, first 2 shown]
	v_add_u32_e32 v75, 16, v75
	v_add_u32_e32 v74, 4, v74
	v_add_u32_e32 v73, 4, v73
	v_add_u32_e32 v72, 4, v72
	v_add_u32_e32 v71, 4, v71
	v_add_u32_e32 v70, 32, v70
	v_add_u32_e32 v69, 4, v69
	s_cmp_lt_u32 s2, 28
	v_add_f32_e32 v50, v50, v77
	v_add_f32_e32 v47, v47, v78
	;; [unrolled: 1-line block ×3, first 2 shown]
	s_cbranch_scc1 .LBB180_19
; %bb.20:                               ;   in Loop: Header=BB180_5 Depth=1
	s_barrier
	s_branch .LBB180_4
.LBB180_21:
	s_mul_i32 s0, s14, s11
	s_waitcnt vmcnt(0)
	v_cmp_gt_i32_e32 vcc, s0, v21
	s_and_saveexec_b64 s[0:1], vcc
	s_cbranch_execz .LBB180_30
; %bb.22:
	v_mul_lo_u32 v1, v21, s13
	v_add_u32_e32 v0, s15, v0
	v_cmp_gt_u32_e32 vcc, s13, v0
	s_and_saveexec_b64 s[0:1], vcc
	s_cbranch_execz .LBB180_24
; %bb.23:
	v_add_u32_e32 v2, v1, v0
	v_mov_b32_e32 v3, 0
	v_lshlrev_b64 v[2:3], 2, v[2:3]
	v_mov_b32_e32 v4, s17
	v_add_co_u32_e32 v2, vcc, s16, v2
	v_addc_co_u32_e32 v3, vcc, v4, v3, vcc
	global_store_dword v[2:3], v22, off
.LBB180_24:
	s_or_b64 exec, exec, s[0:1]
	v_add_u32_e32 v2, 32, v0
	v_cmp_gt_u32_e32 vcc, s13, v2
	s_and_saveexec_b64 s[0:1], vcc
	s_cbranch_execz .LBB180_26
; %bb.25:
	v_add_u32_e32 v2, v1, v2
	v_mov_b32_e32 v3, 0
	v_lshlrev_b64 v[2:3], 2, v[2:3]
	v_mov_b32_e32 v4, s17
	v_add_co_u32_e32 v2, vcc, s16, v2
	v_addc_co_u32_e32 v3, vcc, v4, v3, vcc
	global_store_dword v[2:3], v50, off
.LBB180_26:
	s_or_b64 exec, exec, s[0:1]
	;; [unrolled: 14-line block ×3, first 2 shown]
	v_add_u32_e32 v0, 0x60, v0
	v_cmp_gt_u32_e32 vcc, s13, v0
	s_and_b64 exec, exec, vcc
	s_cbranch_execz .LBB180_30
; %bb.29:
	v_add_u32_e32 v0, v1, v0
	v_mov_b32_e32 v1, 0
	v_lshlrev_b64 v[0:1], 2, v[0:1]
	v_mov_b32_e32 v2, s17
	v_add_co_u32_e32 v0, vcc, s16, v0
	v_addc_co_u32_e32 v1, vcc, v2, v1, vcc
	global_store_dword v[0:1], v18, off
.LBB180_30:
	s_endpgm
	.section	.rodata,"a",@progbits
	.p2align	6, 0x0
	.amdhsa_kernel _ZL8moe_q4_1IfLb1EEvPKvS1_PT_PKiS5_S5_iiiiiii
		.amdhsa_group_segment_fixed_size 22272
		.amdhsa_private_segment_fixed_size 0
		.amdhsa_kernarg_size 76
		.amdhsa_user_sgpr_count 6
		.amdhsa_user_sgpr_private_segment_buffer 1
		.amdhsa_user_sgpr_dispatch_ptr 0
		.amdhsa_user_sgpr_queue_ptr 0
		.amdhsa_user_sgpr_kernarg_segment_ptr 1
		.amdhsa_user_sgpr_dispatch_id 0
		.amdhsa_user_sgpr_flat_scratch_init 0
		.amdhsa_user_sgpr_private_segment_size 0
		.amdhsa_uses_dynamic_stack 0
		.amdhsa_system_sgpr_private_segment_wavefront_offset 0
		.amdhsa_system_sgpr_workgroup_id_x 1
		.amdhsa_system_sgpr_workgroup_id_y 1
		.amdhsa_system_sgpr_workgroup_id_z 0
		.amdhsa_system_sgpr_workgroup_info 0
		.amdhsa_system_vgpr_workitem_id 1
		.amdhsa_next_free_vgpr 121
		.amdhsa_next_free_sgpr 98
		.amdhsa_reserve_vcc 1
		.amdhsa_reserve_flat_scratch 0
		.amdhsa_float_round_mode_32 0
		.amdhsa_float_round_mode_16_64 0
		.amdhsa_float_denorm_mode_32 3
		.amdhsa_float_denorm_mode_16_64 3
		.amdhsa_dx10_clamp 1
		.amdhsa_ieee_mode 1
		.amdhsa_fp16_overflow 0
		.amdhsa_exception_fp_ieee_invalid_op 0
		.amdhsa_exception_fp_denorm_src 0
		.amdhsa_exception_fp_ieee_div_zero 0
		.amdhsa_exception_fp_ieee_overflow 0
		.amdhsa_exception_fp_ieee_underflow 0
		.amdhsa_exception_fp_ieee_inexact 0
		.amdhsa_exception_int_div_zero 0
	.end_amdhsa_kernel
	.section	.text._ZL8moe_q4_1IfLb1EEvPKvS1_PT_PKiS5_S5_iiiiiii,"axG",@progbits,_ZL8moe_q4_1IfLb1EEvPKvS1_PT_PKiS5_S5_iiiiiii,comdat
.Lfunc_end180:
	.size	_ZL8moe_q4_1IfLb1EEvPKvS1_PT_PKiS5_S5_iiiiiii, .Lfunc_end180-_ZL8moe_q4_1IfLb1EEvPKvS1_PT_PKiS5_S5_iiiiiii
                                        ; -- End function
	.set _ZL8moe_q4_1IfLb1EEvPKvS1_PT_PKiS5_S5_iiiiiii.num_vgpr, 121
	.set _ZL8moe_q4_1IfLb1EEvPKvS1_PT_PKiS5_S5_iiiiiii.num_agpr, 0
	.set _ZL8moe_q4_1IfLb1EEvPKvS1_PT_PKiS5_S5_iiiiiii.numbered_sgpr, 24
	.set _ZL8moe_q4_1IfLb1EEvPKvS1_PT_PKiS5_S5_iiiiiii.num_named_barrier, 0
	.set _ZL8moe_q4_1IfLb1EEvPKvS1_PT_PKiS5_S5_iiiiiii.private_seg_size, 0
	.set _ZL8moe_q4_1IfLb1EEvPKvS1_PT_PKiS5_S5_iiiiiii.uses_vcc, 1
	.set _ZL8moe_q4_1IfLb1EEvPKvS1_PT_PKiS5_S5_iiiiiii.uses_flat_scratch, 0
	.set _ZL8moe_q4_1IfLb1EEvPKvS1_PT_PKiS5_S5_iiiiiii.has_dyn_sized_stack, 0
	.set _ZL8moe_q4_1IfLb1EEvPKvS1_PT_PKiS5_S5_iiiiiii.has_recursion, 0
	.set _ZL8moe_q4_1IfLb1EEvPKvS1_PT_PKiS5_S5_iiiiiii.has_indirect_call, 0
	.section	.AMDGPU.csdata,"",@progbits
; Kernel info:
; codeLenInByte = 4672
; TotalNumSgprs: 28
; NumVgprs: 121
; ScratchSize: 0
; MemoryBound: 0
; FloatMode: 240
; IeeeMode: 1
; LDSByteSize: 22272 bytes/workgroup (compile time only)
; SGPRBlocks: 12
; VGPRBlocks: 30
; NumSGPRsForWavesPerEU: 102
; NumVGPRsForWavesPerEU: 121
; Occupancy: 2
; WaveLimiterHint : 1
; COMPUTE_PGM_RSRC2:SCRATCH_EN: 0
; COMPUTE_PGM_RSRC2:USER_SGPR: 6
; COMPUTE_PGM_RSRC2:TRAP_HANDLER: 0
; COMPUTE_PGM_RSRC2:TGID_X_EN: 1
; COMPUTE_PGM_RSRC2:TGID_Y_EN: 1
; COMPUTE_PGM_RSRC2:TGID_Z_EN: 0
; COMPUTE_PGM_RSRC2:TIDIG_COMP_CNT: 1
	.section	.text._ZL8moe_q5_0IfLb0EEvPKvS1_PT_PKiS5_S5_iiiiiii,"axG",@progbits,_ZL8moe_q5_0IfLb0EEvPKvS1_PT_PKiS5_S5_iiiiiii,comdat
	.globl	_ZL8moe_q5_0IfLb0EEvPKvS1_PT_PKiS5_S5_iiiiiii ; -- Begin function _ZL8moe_q5_0IfLb0EEvPKvS1_PT_PKiS5_S5_iiiiiii
	.p2align	8
	.type	_ZL8moe_q5_0IfLb0EEvPKvS1_PT_PKiS5_S5_iiiiiii,@function
_ZL8moe_q5_0IfLb0EEvPKvS1_PT_PKiS5_S5_iiiiiii: ; @_ZL8moe_q5_0IfLb0EEvPKvS1_PT_PKiS5_S5_iiiiiii
; %bb.0:
	s_load_dwordx4 s[0:3], s[4:5], 0x18
	s_mov_b32 s8, s7
	s_mov_b32 s9, 0
	s_lshl_b64 s[10:11], s[8:9], 2
	s_waitcnt lgkmcnt(0)
	s_add_u32 s2, s2, s10
	s_addc_u32 s3, s3, s11
	s_load_dword s2, s[2:3], 0x0
	s_waitcnt lgkmcnt(0)
	s_cmpk_gt_u32 s2, 0xff
	s_cbranch_scc1 .LBB181_26
; %bb.1:
	s_load_dwordx2 s[10:11], s[4:5], 0x28
	s_lshl_b32 s3, s8, 3
	s_waitcnt lgkmcnt(0)
	s_load_dword s7, s[10:11], 0x0
	s_waitcnt lgkmcnt(0)
	s_cmp_gt_u32 s3, s7
	s_cbranch_scc1 .LBB181_26
; %bb.2:
	v_add_u32_e32 v8, s3, v1
	v_mov_b32_e32 v9, 0
	v_lshlrev_b64 v[2:3], 2, v[8:9]
	v_mov_b32_e32 v4, s1
	v_add_co_u32_e32 v2, vcc, s0, v2
	v_addc_co_u32_e32 v3, vcc, v4, v3, vcc
	global_load_dword v10, v[2:3], off
	s_load_dwordx2 s[14:15], s[4:5], 0x30
	s_load_dwordx2 s[12:13], s[4:5], 0x10
	s_load_dwordx4 s[8:11], s[4:5], 0x3c
	s_lshl_b32 s20, s6, 7
	v_mov_b32_e32 v107, v9
	s_waitcnt lgkmcnt(0)
	s_cmp_lt_i32 s15, 32
	v_mov_b32_e32 v112, v9
	v_mov_b32_e32 v11, v9
	s_cbranch_scc1 .LBB181_17
; %bb.3:
	s_ashr_i32 s0, s15, 31
	s_ashr_i32 s1, s9, 31
	s_lshr_b32 s0, s0, 27
	s_lshr_b32 s1, s1, 27
	v_lshrrev_b32_e32 v29, 3, v0
	s_add_i32 s0, s15, s0
	s_add_i32 s1, s9, s1
	v_lshl_add_u32 v6, v1, 2, v29
	s_ashr_i32 s21, s0, 5
	s_ashr_i32 s9, s1, 5
	v_lshlrev_b32_e32 v2, 3, v0
	s_movk_i32 s1, 0x104
	v_add_u32_e32 v8, 32, v6
	v_mad_u32_u24 v13, v1, s1, v2
	v_and_b32_e32 v109, 7, v0
	v_mul_lo_u32 v107, s21, v6
	v_and_b32_e32 v2, 0x7fc, v6
	v_lshlrev_b32_e32 v3, 5, v6
	v_and_b32_e32 v4, 0xffc, v8
	v_lshlrev_b32_e32 v9, 5, v8
	v_add_u32_e32 v8, 64, v6
	v_add_u32_e32 v6, 0x60, v6
	s_mul_i32 s14, s2, s14
	v_lshlrev_b32_e32 v7, 2, v109
	s_mov_b32 s2, 0x8200
	v_and_b32_e32 v30, 0xffc, v8
	v_lshlrev_b32_e32 v120, 5, v8
	v_and_b32_e32 v8, 0xffc, v6
	v_add3_u32 v121, v8, v7, s2
	v_mov_b32_e32 v8, 0x9280
	v_add3_u32 v119, v30, v7, s2
	v_lshlrev_b32_e32 v122, 5, v6
	v_and_b32_e32 v6, 31, v0
	v_lshl_add_u32 v30, v1, 7, v8
	v_lshl_or_b32 v31, v6, 2, v30
	v_mov_b32_e32 v6, 0x9680
	v_lshlrev_b32_e32 v5, 2, v0
	v_lshl_add_u32 v32, v1, 4, v6
	s_abs_i32 s3, s11
	v_and_b32_e32 v12, 12, v5
	v_add3_u32 v2, v2, v7, s2
	v_add3_u32 v4, v4, v7, s2
	v_and_b32_e32 v7, 28, v5
	v_add_u32_e32 v33, v32, v5
	v_cvt_f32_u32_e32 v5, s3
	v_mul_lo_u32 v43, s21, v1
	v_and_b32_e32 v1, 0xfc, v0
	v_lshlrev_b32_e32 v6, 5, v0
	v_rcp_iflag_f32_e32 v5, v5
	s_sub_i32 s16, 0, s3
	v_add3_u32 v35, v6, v1, s2
	v_add_u32_e32 v1, 32, v0
	v_mul_f32_e32 v5, 0x4f7ffffe, v5
	v_cvt_u32_f32_e32 v5, v5
	v_and_b32_e32 v6, 0x1fc, v1
	v_lshlrev_b32_e32 v8, 5, v1
	v_add3_u32 v36, v8, v6, s2
	v_mul_lo_u32 v38, s16, v5
	v_add_u32_e32 v6, 64, v0
	v_and_b32_e32 v8, 0x1fc, v6
	v_lshlrev_b32_e32 v6, 5, v6
	v_add3_u32 v37, v6, v8, s2
	v_mul_hi_u32 v8, v5, v38
	s_waitcnt vmcnt(0)
	v_sub_u32_e32 v39, 0, v10
	v_max_i32_e32 v40, v10, v39
	v_lshrrev_b32_e32 v39, 3, v1
	v_add_u32_e32 v5, v5, v8
	v_mul_hi_u32 v5, v40, v5
	v_add_u32_e32 v6, 0x60, v0
	v_and_b32_e32 v38, 0x1fc, v6
	v_lshlrev_b32_e32 v6, 5, v6
	v_mul_lo_u32 v1, v5, s3
	v_add_u32_e32 v8, 1, v5
	v_add3_u32 v38, v6, v38, s2
	v_xor_b32_e32 v6, s11, v10
	v_sub_u32_e32 v1, v40, v1
	v_cmp_le_u32_e32 vcc, s3, v1
	v_cndmask_b32_e32 v5, v5, v8, vcc
	v_subrev_u32_e32 v8, s3, v1
	v_cndmask_b32_e32 v1, v1, v8, vcc
	v_add_u32_e32 v8, 1, v5
	v_cmp_le_u32_e32 vcc, s3, v1
	s_load_dwordx4 s[4:7], s[4:5], 0x0
	v_ashrrev_i32_e32 v6, 31, v6
	v_cndmask_b32_e32 v1, v5, v8, vcc
	v_xor_b32_e32 v1, v1, v6
	v_sub_u32_e32 v1, v1, v6
	v_cmp_gt_i32_e64 s[2:3], s8, v1
	v_mul_lo_u32 v1, v1, s9
	s_waitcnt lgkmcnt(0)
	v_mov_b32_e32 v6, s7
	v_add_co_u32_e32 v5, vcc, s6, v7
	v_addc_co_u32_e32 v6, vcc, 0, v6, vcc
	v_ashrrev_i32_e32 v7, 31, v1
	v_add_co_u32_e32 v8, vcc, v1, v0
	s_mul_i32 s23, s21, s20
	v_addc_co_u32_e32 v44, vcc, 0, v7, vcc
	v_mad_u64_u32 v[7:8], s[18:19], v8, 36, s[6:7]
	v_lshrrev_b32_e32 v42, 2, v0
	s_mul_hi_i32 s19, s23, 22
	s_mul_i32 s18, s23, 22
	v_mad_u64_u32 v[101:102], s[26:27], v42, 22, s[18:19]
	s_movk_i32 s23, 0x90
	v_mad_i32_i24 v8, v44, 36, v8
	v_mad_u64_u32 v[45:46], s[26:27], v43, 22, v[101:102]
	v_add_co_u32_e32 v7, vcc, s23, v7
	v_addc_co_u32_e32 v8, vcc, 0, v8, vcc
	s_lshl_b32 s1, s21, 3
	v_add_u32_e32 v40, v39, v1
	v_add_u32_e32 v41, v29, v1
	;; [unrolled: 1-line block ×3, first 2 shown]
	v_add_co_u32_e32 v1, vcc, v45, v12
	v_add_u32_e32 v47, s1, v43
	v_addc_co_u32_e32 v43, vcc, 0, v46, vcc
	v_mov_b32_e32 v44, s5
	v_add_co_u32_e32 v1, vcc, s4, v1
	v_addc_co_u32_e32 v44, vcc, v44, v43, vcc
	v_add_co_u32_e32 v43, vcc, 6, v1
	v_mad_u64_u32 v[49:50], s[26:27], v47, 22, v[101:102]
	v_addc_co_u32_e32 v44, vcc, 0, v44, vcc
	v_mov_b32_e32 v1, s5
	v_add_co_u32_e32 v45, vcc, s4, v45
	v_addc_co_u32_e32 v46, vcc, v1, v46, vcc
	v_add_co_u32_e32 v1, vcc, v49, v12
	v_add_u32_e32 v51, s1, v47
	v_addc_co_u32_e32 v47, vcc, 0, v50, vcc
	v_mov_b32_e32 v48, s5
	v_add_co_u32_e32 v1, vcc, s4, v1
	v_addc_co_u32_e32 v48, vcc, v48, v47, vcc
	v_add_co_u32_e32 v47, vcc, 6, v1
	v_addc_co_u32_e32 v48, vcc, 0, v48, vcc
	v_mov_b32_e32 v1, s5
	v_add_co_u32_e32 v49, vcc, s4, v49
	v_mad_u64_u32 v[53:54], s[26:27], v51, 22, v[101:102]
	v_addc_co_u32_e32 v1, vcc, v1, v50, vcc
	v_add_co_u32_e32 v49, vcc, 2, v49
	v_addc_co_u32_e32 v50, vcc, 0, v1, vcc
	v_add_co_u32_e32 v1, vcc, v53, v12
	v_add_u32_e32 v55, s1, v51
	v_addc_co_u32_e32 v51, vcc, 0, v54, vcc
	v_mov_b32_e32 v52, s5
	v_add_co_u32_e32 v1, vcc, s4, v1
	v_addc_co_u32_e32 v52, vcc, v52, v51, vcc
	v_add_co_u32_e32 v51, vcc, 6, v1
	v_addc_co_u32_e32 v52, vcc, 0, v52, vcc
	v_mov_b32_e32 v1, s5
	v_add_co_u32_e32 v53, vcc, s4, v53
	v_mad_u64_u32 v[57:58], s[26:27], v55, 22, v[101:102]
	v_addc_co_u32_e32 v1, vcc, v1, v54, vcc
	;; [unrolled: 14-line block ×14, first 2 shown]
	v_add_co_u32_e32 v101, vcc, 2, v103
	v_addc_co_u32_e32 v102, vcc, 0, v1, vcc
	v_add_co_u32_e32 v1, vcc, v105, v12
	v_addc_co_u32_e32 v103, vcc, 0, v106, vcc
	v_mov_b32_e32 v104, s5
	v_add_co_u32_e32 v1, vcc, s4, v1
	v_addc_co_u32_e32 v104, vcc, v104, v103, vcc
	v_add_co_u32_e32 v103, vcc, 6, v1
	s_andn2_b32 s0, s0, 31
	v_addc_co_u32_e32 v104, vcc, 0, v104, vcc
	v_add_u32_e32 v110, s0, v107
	v_mov_b32_e32 v1, s5
	v_add_co_u32_e32 v105, vcc, s4, v105
	v_mad_u64_u32 v[107:108], s[26:27], v107, 22, 0
	v_addc_co_u32_e32 v1, vcc, v1, v106, vcc
	v_add_co_u32_e32 v105, vcc, 2, v105
	v_addc_co_u32_e32 v106, vcc, 0, v1, vcc
	v_mov_b32_e32 v1, s19
	v_add_co_u32_e32 v107, vcc, s18, v107
	v_addc_co_u32_e32 v1, vcc, v1, v108, vcc
	v_mul_u32_u24_e32 v118, 22, v109
	v_add_u32_e32 v112, s0, v110
	v_mul_hi_u32_u24_e32 v117, 22, v109
	v_add_co_u32_e32 v107, vcc, v107, v118
	v_mad_u64_u32 v[110:111], s[26:27], v110, 22, 0
	v_addc_co_u32_e32 v1, vcc, v1, v117, vcc
	v_mov_b32_e32 v109, s5
	v_add_co_u32_e32 v108, vcc, s4, v107
	v_addc_co_u32_e32 v109, vcc, v109, v1, vcc
	v_mov_b32_e32 v1, s19
	v_add_co_u32_e32 v107, vcc, s18, v110
	v_addc_co_u32_e32 v1, vcc, v1, v111, vcc
	v_add_u32_e32 v114, s0, v112
	v_add_co_u32_e32 v107, vcc, v107, v118
	v_mad_u64_u32 v[112:113], s[26:27], v112, 22, 0
	v_addc_co_u32_e32 v1, vcc, v1, v117, vcc
	v_mov_b32_e32 v111, s5
	v_add_co_u32_e32 v110, vcc, s4, v107
	v_addc_co_u32_e32 v111, vcc, v111, v1, vcc
	v_mov_b32_e32 v1, s19
	v_add_co_u32_e32 v107, vcc, s18, v112
	v_addc_co_u32_e32 v1, vcc, v1, v113, vcc
	v_add_co_u32_e32 v107, vcc, v107, v118
	v_mad_u64_u32 v[115:116], s[26:27], v114, 22, 0
	v_addc_co_u32_e32 v1, vcc, v1, v117, vcc
	v_mov_b32_e32 v112, s5
	v_add_co_u32_e32 v113, vcc, s4, v107
	v_addc_co_u32_e32 v114, vcc, v112, v1, vcc
	v_mov_b32_e32 v1, s19
	v_add_co_u32_e32 v107, vcc, s18, v115
	v_addc_co_u32_e32 v1, vcc, v1, v116, vcc
	v_add_co_u32_e32 v107, vcc, v107, v118
	v_addc_co_u32_e32 v1, vcc, v1, v117, vcc
	s_ashr_i32 s24, s14, 31
	v_cmp_gt_u32_e64 s[0:1], 4, v0
	v_add_co_u32_e32 v115, vcc, s4, v107
	v_mov_b32_e32 v11, 0
	v_add_u32_e32 v14, 0x820, v13
	v_add_u32_e32 v15, 0x1040, v13
	;; [unrolled: 1-line block ×15, first 2 shown]
	v_mul_u32_u24_e32 v34, 0x104, v0
	s_mov_b32 s22, 0
	s_and_b64 s[16:17], s[0:1], s[2:3]
	v_addc_co_u32_e32 v116, vcc, v112, v1, vcc
	s_movk_i32 s18, 0x80
	s_movk_i32 s19, 0x1f00
	s_mov_b32 s23, 0xc0c0105
	v_add_u32_e32 v117, v2, v3
	v_add_u32_e32 v118, v4, v9
	v_add_u32_e32 v119, v119, v120
	v_add_u32_e32 v120, v121, v122
	v_mov_b32_e32 v121, s24
	v_mov_b32_e32 v122, 8
	;; [unrolled: 1-line block ×5, first 2 shown]
	s_branch .LBB181_6
.LBB181_4:                              ;   in Loop: Header=BB181_6 Depth=1
	s_or_b64 exec, exec, s[4:5]
	s_waitcnt lgkmcnt(0)
	s_barrier
	ds_read_b128 v[1:4], v32
	ds_read2_b32 v[139:140], v34 offset0:32 offset1:33
	ds_read_b128 v[123:126], v30
	ds_read_b128 v[127:130], v30 offset:16
	ds_read_b128 v[131:134], v30 offset:32
	;; [unrolled: 1-line block ×3, first 2 shown]
	ds_read2_b32 v[141:142], v35 offset0:4 offset1:5
	ds_read2_b32 v[143:144], v34 offset0:34 offset1:35
	s_waitcnt lgkmcnt(5)
	v_dot4_i32_i8 v139, v139, v123, 0
	s_waitcnt lgkmcnt(4)
	v_dot4_i32_i8 v149, v140, v127, v139
	ds_read2_b32 v[139:140], v34 offset0:36 offset1:37
	ds_read2_b32 v[145:146], v34 offset0:38 offset1:39
	;; [unrolled: 1-line block ×3, first 2 shown]
	s_waitcnt lgkmcnt(4)
	v_mul_f32_e32 v141, v1, v141
	s_waitcnt lgkmcnt(3)
	v_dot4_i32_i8 v143, v143, v124, v149
	v_dot4_i32_i8 v143, v144, v128, v143
	s_waitcnt lgkmcnt(2)
	v_dot4_i32_i8 v139, v139, v125, v143
	v_dot4_i32_i8 v139, v140, v129, v139
	s_waitcnt lgkmcnt(1)
	v_dot4_i32_i8 v139, v145, v126, v139
	v_dot4_i32_i8 v139, v146, v130, v139
	v_add_u32_e32 v149, 0x2100, v34
	v_cvt_f32_i32_e32 v151, v139
	ds_read2_b32 v[139:140], v34 offset0:58 offset1:59
	ds_read2_b32 v[143:144], v34 offset0:60 offset1:61
	;; [unrolled: 1-line block ×3, first 2 shown]
	ds_read2_b32 v[149:150], v149 offset1:1
	v_add_u32_e32 v157, 0x2110, v34
	v_fmac_f32_e32 v11, v141, v151
	ds_read2_b32 v[151:152], v36 offset0:4 offset1:5
	ds_read2_b32 v[153:154], v38 offset0:4 offset1:5
	;; [unrolled: 1-line block ×3, first 2 shown]
	v_add_u32_e32 v159, 0x2118, v34
	s_waitcnt lgkmcnt(3)
	v_dot4_i32_i8 v141, v149, v123, 0
	v_add_u32_e32 v149, 0x2108, v34
	v_dot4_i32_i8 v141, v150, v127, v141
	ds_read2_b32 v[149:150], v149 offset1:1
	v_add_u32_e32 v161, 0x4180, v34
	ds_read2_b32 v[157:158], v157 offset1:1
	ds_read2_b32 v[159:160], v159 offset1:1
	;; [unrolled: 1-line block ×3, first 2 shown]
	s_waitcnt lgkmcnt(6)
	v_mul_f32_e32 v151, v1, v151
	v_add_u32_e32 v165, 0x4198, v34
	s_waitcnt lgkmcnt(3)
	v_dot4_i32_i8 v141, v149, v124, v141
	v_dot4_i32_i8 v141, v150, v128, v141
	s_waitcnt lgkmcnt(2)
	v_dot4_i32_i8 v141, v157, v125, v141
	v_dot4_i32_i8 v141, v158, v129, v141
	;; [unrolled: 3-line block ×3, first 2 shown]
	v_cvt_f32_i32_e32 v141, v141
	ds_read2_b32 v[149:150], v37 offset0:4 offset1:5
	ds_read2_b32 v[157:158], v36 offset0:6 offset1:7
	;; [unrolled: 1-line block ×3, first 2 shown]
	v_add_u32_e32 v167, 0x6200, v34
	v_fmac_f32_e32 v112, v151, v141
	s_waitcnt lgkmcnt(3)
	v_dot4_i32_i8 v141, v161, v123, 0
	v_add_u32_e32 v151, 0x4188, v34
	v_dot4_i32_i8 v141, v162, v127, v141
	ds_read2_b32 v[161:162], v151 offset1:1
	v_add_u32_e32 v151, 0x4190, v34
	ds_read2_b32 v[163:164], v151 offset1:1
	ds_read2_b32 v[165:166], v165 offset1:1
	;; [unrolled: 1-line block ×3, first 2 shown]
	v_add_u32_e32 v151, 0x6218, v34
	s_waitcnt lgkmcnt(6)
	v_mul_f32_e32 v149, v1, v149
	s_waitcnt lgkmcnt(3)
	v_dot4_i32_i8 v141, v161, v124, v141
	v_dot4_i32_i8 v141, v162, v128, v141
	s_waitcnt lgkmcnt(0)
	v_dot4_i32_i8 v123, v167, v123, 0
	v_dot4_i32_i8 v123, v168, v127, v123
	v_add_u32_e32 v127, 0x6208, v34
	ds_read2_b32 v[161:162], v127 offset1:1
	v_dot4_i32_i8 v141, v163, v125, v141
	v_dot4_i32_i8 v141, v164, v129, v141
	;; [unrolled: 1-line block ×3, first 2 shown]
	v_add_u32_e32 v127, 0x6210, v34
	v_add_u32_e32 v167, 0x2120, v34
	v_dot4_i32_i8 v141, v166, v130, v141
	ds_read2_b32 v[163:164], v127 offset1:1
	ds_read2_b32 v[165:166], v151 offset1:1
	;; [unrolled: 1-line block ×3, first 2 shown]
	s_waitcnt lgkmcnt(3)
	v_dot4_i32_i8 v123, v161, v124, v123
	v_dot4_i32_i8 v123, v162, v128, v123
	s_waitcnt lgkmcnt(2)
	v_dot4_i32_i8 v123, v163, v125, v123
	v_dot4_i32_i8 v123, v164, v129, v123
	s_waitcnt lgkmcnt(1)
	v_dot4_i32_i8 v123, v165, v126, v123
	v_dot4_i32_i8 v123, v166, v130, v123
	v_cvt_f32_i32_e32 v123, v123
	v_mul_f32_e32 v1, v1, v153
	ds_read2_b32 v[161:162], v37 offset0:6 offset1:7
	v_cvt_f32_i32_e32 v141, v141
	v_fmac_f32_e32 v9, v1, v123
	ds_read2_b32 v[123:124], v34 offset0:42 offset1:43
	v_dot4_i32_i8 v1, v147, v131, 0
	v_dot4_i32_i8 v1, v148, v135, v1
	ds_read2_b32 v[125:126], v34 offset0:44 offset1:45
	ds_read2_b32 v[127:128], v34 offset0:46 offset1:47
	;; [unrolled: 1-line block ×3, first 2 shown]
	v_fmac_f32_e32 v107, v149, v141
	s_waitcnt lgkmcnt(3)
	v_dot4_i32_i8 v1, v123, v132, v1
	v_dot4_i32_i8 v123, v167, v131, 0
	;; [unrolled: 1-line block ×3, first 2 shown]
	v_add_u32_e32 v123, 0x2128, v34
	v_dot4_i32_i8 v1, v124, v136, v1
	ds_read2_b32 v[123:124], v123 offset1:1
	s_waitcnt lgkmcnt(3)
	v_dot4_i32_i8 v1, v125, v133, v1
	v_dot4_i32_i8 v1, v126, v137, v1
	s_waitcnt lgkmcnt(2)
	v_dot4_i32_i8 v1, v127, v134, v1
	v_add_u32_e32 v125, 0x2130, v34
	v_add_u32_e32 v127, 0x2138, v34
	;; [unrolled: 1-line block ×3, first 2 shown]
	v_dot4_i32_i8 v1, v128, v138, v1
	ds_read2_b32 v[125:126], v125 offset1:1
	ds_read2_b32 v[127:128], v127 offset1:1
	;; [unrolled: 1-line block ×3, first 2 shown]
	s_waitcnt lgkmcnt(3)
	v_dot4_i32_i8 v123, v123, v132, v141
	v_dot4_i32_i8 v123, v124, v136, v123
	s_waitcnt lgkmcnt(2)
	v_dot4_i32_i8 v123, v125, v133, v123
	v_dot4_i32_i8 v123, v126, v137, v123
	s_waitcnt lgkmcnt(1)
	v_dot4_i32_i8 v123, v127, v134, v123
	v_cvt_f32_i32_e32 v1, v1
	v_dot4_i32_i8 v123, v128, v138, v123
	v_cvt_f32_i32_e32 v123, v123
	v_mul_f32_e32 v124, v2, v142
	v_fmac_f32_e32 v11, v124, v1
	v_mul_f32_e32 v1, v2, v152
	v_fmac_f32_e32 v112, v1, v123
	s_waitcnt lgkmcnt(0)
	v_dot4_i32_i8 v1, v129, v131, 0
	v_add_u32_e32 v123, 0x41a8, v34
	v_add_u32_e32 v125, 0x41b0, v34
	;; [unrolled: 1-line block ×4, first 2 shown]
	v_dot4_i32_i8 v1, v130, v135, v1
	ds_read2_b32 v[123:124], v123 offset1:1
	ds_read2_b32 v[125:126], v125 offset1:1
	;; [unrolled: 1-line block ×4, first 2 shown]
	v_mul_f32_e32 v149, v2, v150
	s_waitcnt lgkmcnt(3)
	v_dot4_i32_i8 v1, v123, v132, v1
	s_waitcnt lgkmcnt(0)
	v_dot4_i32_i8 v123, v129, v131, 0
	v_dot4_i32_i8 v129, v130, v135, v123
	v_add_u32_e32 v123, 0x6228, v34
	v_dot4_i32_i8 v1, v124, v136, v1
	ds_read2_b32 v[123:124], v123 offset1:1
	v_dot4_i32_i8 v1, v125, v133, v1
	v_dot4_i32_i8 v1, v126, v137, v1
	;; [unrolled: 1-line block ×3, first 2 shown]
	v_add_u32_e32 v125, 0x6230, v34
	v_add_u32_e32 v127, 0x6238, v34
	v_dot4_i32_i8 v1, v128, v138, v1
	v_add_u32_e32 v130, 0x2140, v34
	ds_read2_b32 v[125:126], v125 offset1:1
	ds_read2_b32 v[127:128], v127 offset1:1
	;; [unrolled: 1-line block ×3, first 2 shown]
	s_waitcnt lgkmcnt(3)
	v_dot4_i32_i8 v123, v123, v132, v129
	v_dot4_i32_i8 v123, v124, v136, v123
	s_waitcnt lgkmcnt(2)
	v_dot4_i32_i8 v123, v125, v133, v123
	v_dot4_i32_i8 v123, v126, v137, v123
	s_waitcnt lgkmcnt(1)
	v_dot4_i32_i8 v123, v127, v134, v123
	v_cvt_f32_i32_e32 v1, v1
	v_dot4_i32_i8 v123, v128, v138, v123
	v_cvt_f32_i32_e32 v131, v123
	ds_read_b128 v[123:126], v30 offset:64
	ds_read_b128 v[127:130], v30 offset:80
	v_fmac_f32_e32 v107, v149, v1
	v_mul_f32_e32 v1, v2, v154
	v_fmac_f32_e32 v9, v1, v131
	ds_read2_b32 v[1:2], v34 offset0:50 offset1:51
	s_waitcnt lgkmcnt(2)
	v_dot4_i32_i8 v131, v147, v123, 0
	s_waitcnt lgkmcnt(1)
	v_dot4_i32_i8 v137, v148, v127, v131
	ds_read2_b32 v[131:132], v34 offset0:52 offset1:53
	ds_read2_b32 v[133:134], v34 offset0:54 offset1:55
	;; [unrolled: 1-line block ×3, first 2 shown]
	s_waitcnt lgkmcnt(3)
	v_dot4_i32_i8 v1, v1, v124, v137
	v_dot4_i32_i8 v1, v2, v128, v1
	s_waitcnt lgkmcnt(2)
	v_dot4_i32_i8 v1, v131, v125, v1
	v_dot4_i32_i8 v1, v132, v129, v1
	;; [unrolled: 3-line block ×3, first 2 shown]
	v_cvt_f32_i32_e32 v147, v1
	v_dot4_i32_i8 v1, v141, v123, 0
	v_dot4_i32_i8 v141, v142, v127, v1
	v_add_u32_e32 v1, 0x2148, v34
	ds_read2_b32 v[1:2], v1 offset1:1
	v_add_u32_e32 v131, 0x2150, v34
	v_add_u32_e32 v133, 0x2158, v34
	v_add_u32_e32 v137, 0x41c0, v34
	ds_read2_b32 v[131:132], v131 offset1:1
	ds_read2_b32 v[133:134], v133 offset1:1
	;; [unrolled: 1-line block ×3, first 2 shown]
	s_waitcnt lgkmcnt(3)
	v_dot4_i32_i8 v1, v1, v124, v141
	v_dot4_i32_i8 v1, v2, v128, v1
	s_waitcnt lgkmcnt(2)
	v_dot4_i32_i8 v1, v131, v125, v1
	v_dot4_i32_i8 v1, v132, v129, v1
	;; [unrolled: 3-line block ×3, first 2 shown]
	v_cvt_f32_i32_e32 v1, v1
	v_mul_f32_e32 v2, v3, v159
	v_fmac_f32_e32 v11, v2, v147
	v_mul_f32_e32 v2, v3, v157
	v_fmac_f32_e32 v112, v2, v1
	s_waitcnt lgkmcnt(0)
	v_dot4_i32_i8 v1, v137, v123, 0
	v_dot4_i32_i8 v141, v138, v127, v1
	v_add_u32_e32 v1, 0x41c8, v34
	ds_read2_b32 v[1:2], v1 offset1:1
	v_add_u32_e32 v131, 0x41d0, v34
	v_add_u32_e32 v133, 0x41d8, v34
	v_add_u32_e32 v137, 0x6240, v34
	ds_read2_b32 v[131:132], v131 offset1:1
	ds_read2_b32 v[133:134], v133 offset1:1
	;; [unrolled: 1-line block ×3, first 2 shown]
	s_waitcnt lgkmcnt(3)
	v_dot4_i32_i8 v1, v1, v124, v141
	v_dot4_i32_i8 v1, v2, v128, v1
	s_waitcnt lgkmcnt(2)
	v_dot4_i32_i8 v1, v131, v125, v1
	v_dot4_i32_i8 v1, v132, v129, v1
	;; [unrolled: 3-line block ×3, first 2 shown]
	v_cvt_f32_i32_e32 v142, v1
	s_waitcnt lgkmcnt(0)
	v_dot4_i32_i8 v1, v137, v123, 0
	v_dot4_i32_i8 v123, v138, v127, v1
	v_add_u32_e32 v1, 0x6248, v34
	ds_read2_b32 v[1:2], v1 offset1:1
	v_add_u32_e32 v127, 0x6250, v34
	v_add_u32_e32 v133, 0x6258, v34
	;; [unrolled: 1-line block ×3, first 2 shown]
	ds_read2_b32 v[131:132], v127 offset1:1
	ds_read2_b32 v[133:134], v133 offset1:1
	;; [unrolled: 1-line block ×3, first 2 shown]
	s_waitcnt lgkmcnt(3)
	v_dot4_i32_i8 v1, v1, v124, v123
	v_dot4_i32_i8 v1, v2, v128, v1
	s_waitcnt lgkmcnt(2)
	v_dot4_i32_i8 v1, v131, v125, v1
	v_dot4_i32_i8 v1, v132, v129, v1
	;; [unrolled: 3-line block ×3, first 2 shown]
	v_cvt_f32_i32_e32 v1, v1
	ds_read_b128 v[123:126], v30 offset:96
	ds_read_b128 v[127:130], v30 offset:112
	v_mul_f32_e32 v2, v3, v155
	v_mul_f32_e32 v141, v3, v161
	v_fmac_f32_e32 v9, v2, v1
	s_waitcnt lgkmcnt(1)
	v_dot4_i32_i8 v1, v135, v123, 0
	s_waitcnt lgkmcnt(0)
	v_dot4_i32_i8 v1, v136, v127, v1
	v_dot4_i32_i8 v1, v139, v124, v1
	;; [unrolled: 1-line block ×7, first 2 shown]
	v_cvt_f32_i32_e32 v3, v1
	v_dot4_i32_i8 v1, v137, v123, 0
	v_dot4_i32_i8 v137, v138, v127, v1
	v_add_u32_e32 v1, 0x2168, v34
	ds_read2_b32 v[1:2], v1 offset1:1
	v_add_u32_e32 v131, 0x2170, v34
	v_add_u32_e32 v133, 0x2178, v34
	;; [unrolled: 1-line block ×3, first 2 shown]
	ds_read2_b32 v[131:132], v131 offset1:1
	ds_read2_b32 v[133:134], v133 offset1:1
	;; [unrolled: 1-line block ×3, first 2 shown]
	s_waitcnt lgkmcnt(3)
	v_dot4_i32_i8 v1, v1, v124, v137
	v_dot4_i32_i8 v1, v2, v128, v1
	s_waitcnt lgkmcnt(2)
	v_dot4_i32_i8 v1, v131, v125, v1
	v_dot4_i32_i8 v1, v132, v129, v1
	;; [unrolled: 3-line block ×3, first 2 shown]
	v_cvt_f32_i32_e32 v1, v1
	v_mul_f32_e32 v2, v4, v160
	v_fmac_f32_e32 v11, v2, v3
	v_mul_f32_e32 v2, v4, v158
	v_fmac_f32_e32 v112, v2, v1
	s_waitcnt lgkmcnt(0)
	v_dot4_i32_i8 v1, v135, v123, 0
	v_dot4_i32_i8 v3, v136, v127, v1
	v_add_u32_e32 v1, 0x41e8, v34
	ds_read2_b32 v[1:2], v1 offset1:1
	v_add_u32_e32 v131, 0x41f0, v34
	v_add_u32_e32 v133, 0x41f8, v34
	;; [unrolled: 1-line block ×3, first 2 shown]
	ds_read2_b32 v[131:132], v131 offset1:1
	ds_read2_b32 v[133:134], v133 offset1:1
	;; [unrolled: 1-line block ×3, first 2 shown]
	s_waitcnt lgkmcnt(3)
	v_dot4_i32_i8 v1, v1, v124, v3
	v_dot4_i32_i8 v1, v2, v128, v1
	s_waitcnt lgkmcnt(2)
	v_dot4_i32_i8 v1, v131, v125, v1
	v_dot4_i32_i8 v1, v132, v129, v1
	s_waitcnt lgkmcnt(1)
	v_dot4_i32_i8 v1, v133, v126, v1
	v_dot4_i32_i8 v1, v134, v130, v1
	v_cvt_f32_i32_e32 v3, v1
	s_waitcnt lgkmcnt(0)
	v_dot4_i32_i8 v1, v135, v123, 0
	v_dot4_i32_i8 v123, v136, v127, v1
	v_add_u32_e32 v1, 0x6268, v34
	ds_read2_b32 v[1:2], v1 offset1:1
	v_add_u32_e32 v127, 0x6270, v34
	ds_read2_b32 v[131:132], v127 offset1:1
	;; [unrolled: 2-line block ×3, first 2 shown]
	s_waitcnt lgkmcnt(2)
	v_dot4_i32_i8 v1, v1, v124, v123
	v_dot4_i32_i8 v1, v2, v128, v1
	s_waitcnt lgkmcnt(1)
	v_dot4_i32_i8 v1, v131, v125, v1
	v_dot4_i32_i8 v1, v132, v129, v1
	;; [unrolled: 3-line block ×3, first 2 shown]
	v_cvt_f32_i32_e32 v1, v1
	v_fmac_f32_e32 v107, v141, v142
	v_mul_f32_e32 v2, v4, v162
	v_fmac_f32_e32 v107, v2, v3
	v_mul_f32_e32 v2, v4, v156
	v_fmac_f32_e32 v9, v2, v1
	s_barrier
.LBB181_5:                              ;   in Loop: Header=BB181_6 Depth=1
	v_add_co_u32_e32 v7, vcc, 0x120, v7
	v_addc_co_u32_e32 v8, vcc, 0, v8, vcc
	v_add_co_u32_e32 v43, vcc, 0xb0, v43
	v_addc_co_u32_e32 v44, vcc, 0, v44, vcc
	;; [unrolled: 2-line block ×36, first 2 shown]
	s_add_i32 s22, s22, 8
	s_addk_i32 s18, 0x100
	v_add_co_u32_e32 v115, vcc, 0xb0, v115
	s_cmp_ge_i32 s22, s21
	v_addc_co_u32_e32 v116, vcc, 0, v116, vcc
	s_cbranch_scc1 .LBB181_17
.LBB181_6:                              ; =>This Inner Loop Header: Depth=1
	v_add_co_u32_e32 v1, vcc, s14, v43
	v_addc_co_u32_e32 v2, vcc, v44, v121, vcc
	global_load_dword v123, v[1:2], off
	v_add_co_u32_e32 v1, vcc, s14, v45
	v_addc_co_u32_e32 v2, vcc, v46, v121, vcc
	global_load_dword v124, v[1:2], off offset:2
	v_add_co_u32_e32 v1, vcc, s14, v47
	v_addc_co_u32_e32 v2, vcc, v48, v121, vcc
	v_add_co_u32_e32 v3, vcc, s14, v49
	v_addc_co_u32_e32 v4, vcc, v50, v121, vcc
	global_load_dword v125, v[3:4], off
	global_load_dword v126, v[1:2], off
	v_add_co_u32_e32 v1, vcc, s14, v51
	v_addc_co_u32_e32 v2, vcc, v52, v121, vcc
	v_add_co_u32_e32 v3, vcc, s14, v53
	v_addc_co_u32_e32 v4, vcc, v54, v121, vcc
	global_load_dword v127, v[1:2], off
	global_load_dword v128, v[3:4], off
	s_add_i32 s4, s18, 0xffffff80
	s_cmp_lt_i32 s4, s15
	s_waitcnt vmcnt(5)
	v_and_b32_e32 v2, 0xf0f0f0f, v123
	v_lshrrev_b32_e32 v3, 4, v123
	v_and_b32_e32 v3, 0xf0f0f0f, v3
	s_waitcnt vmcnt(4)
	v_ashrrev_i32_e32 v1, v12, v124
	v_lshlrev_b32_e32 v124, 4, v1
	v_lshlrev_b32_e32 v129, 18, v1
	;; [unrolled: 1-line block ×3, first 2 shown]
	v_lshrrev_b32_e32 v131, 12, v1
	v_lshrrev_b32_e32 v132, 5, v1
	v_lshlrev_b32_e32 v133, 2, v1
	v_and_b32_e32 v124, 16, v124
	s_waitcnt vmcnt(3)
	v_ashrrev_i32_e32 v123, v12, v125
	v_lshlrev_b32_e32 v125, 11, v1
	v_lshlrev_b32_e32 v1, 9, v1
	v_and_b32_e32 v125, 0x1000, v125
	v_and_b32_e32 v129, 0x100000, v129
	;; [unrolled: 1-line block ×7, first 2 shown]
	v_or3_b32 v124, v124, v2, v125
	v_or3_b32 v2, v2, v129, v130
	;; [unrolled: 1-line block ×4, first 2 shown]
	v_and_b32_e32 v129, 0x1f00, v124
	v_lshlrev_b16_e32 v124, 8, v124
	v_and_b32_sdwa v130, v2, s19 dst_sel:DWORD dst_unused:UNUSED_PAD src0_sel:WORD_1 src1_sel:DWORD
	v_lshlrev_b16_sdwa v2, v122, v2 dst_sel:DWORD dst_unused:UNUSED_PAD src0_sel:DWORD src1_sel:WORD_1
	v_and_b32_e32 v132, 0x1f00, v125
	v_lshlrev_b16_e32 v125, 8, v125
	v_and_b32_sdwa v131, v1, s19 dst_sel:DWORD dst_unused:UNUSED_PAD src0_sel:WORD_1 src1_sel:DWORD
	v_lshlrev_b16_sdwa v1, v122, v1 dst_sel:DWORD dst_unused:UNUSED_PAD src0_sel:DWORD src1_sel:WORD_1
	v_add_u16_e32 v129, 0xf000, v129
	v_add_u16_e32 v124, 0xf000, v124
	;; [unrolled: 1-line block ×5, first 2 shown]
	v_lshlrev_b32_e32 v134, 4, v123
	v_lshlrev_b32_e32 v135, 11, v123
	;; [unrolled: 1-line block ×4, first 2 shown]
	v_add_u16_e32 v131, 0xf000, v131
	v_add_u16_e32 v1, 0xf000, v1
	v_perm_b32 v124, v124, v129, s23
	v_perm_b32 v2, v2, v130, s23
	v_or_b32_sdwa v125, v132, v125 dst_sel:DWORD dst_unused:UNUSED_PAD src0_sel:DWORD src1_sel:BYTE_1
	s_waitcnt vmcnt(2)
	v_and_b32_e32 v4, 0xf0f0f0f, v126
	v_and_b32_e32 v134, 16, v134
	;; [unrolled: 1-line block ×5, first 2 shown]
	v_perm_b32 v1, v1, v131, s23
	v_lshl_or_b32 v2, v2, 16, v124
	v_add_u16_e32 v124, 0xf000, v125
	v_or3_b32 v3, v134, v4, v135
	v_or3_b32 v4, v4, v136, v137
	v_lshl_or_b32 v1, v1, 16, v124
	v_and_b32_e32 v133, 0x1f00, v3
	ds_write2_b32 v13, v2, v1 offset1:1
	v_lshlrev_b16_e32 v1, 8, v3
	v_and_b32_sdwa v2, v4, s19 dst_sel:DWORD dst_unused:UNUSED_PAD src0_sel:WORD_1 src1_sel:DWORD
	v_lshlrev_b16_sdwa v3, v122, v4 dst_sel:DWORD dst_unused:UNUSED_PAD src0_sel:DWORD src1_sel:WORD_1
	v_add_u16_e32 v133, 0xf000, v133
	v_add_u16_e32 v1, 0xf000, v1
	;; [unrolled: 1-line block ×4, first 2 shown]
	v_perm_b32 v1, v1, v133, s23
	v_perm_b32 v2, v3, v2, s23
	v_lshl_or_b32 v124, v2, 16, v1
	v_lshrrev_b32_e32 v1, 4, v126
	v_and_b32_e32 v125, 0xf0f0f0f, v1
	v_add_co_u32_e32 v1, vcc, s14, v55
	v_addc_co_u32_e32 v2, vcc, v56, v121, vcc
	v_add_co_u32_e32 v3, vcc, s14, v57
	v_addc_co_u32_e32 v4, vcc, v58, v121, vcc
	v_lshrrev_b32_e32 v126, 12, v123
	global_load_dword v129, v[3:4], off
	global_load_dword v130, v[1:2], off
	v_lshrrev_b32_e32 v2, 5, v123
	v_and_b32_e32 v1, 16, v126
	v_and_b32_e32 v2, 0x1000, v2
	v_or3_b32 v1, v1, v125, v2
	v_lshlrev_b32_e32 v2, 2, v123
	v_lshlrev_b32_e32 v3, 9, v123
	v_and_b32_e32 v2, 0x100000, v2
	v_and_b32_e32 v3, 0x10000000, v3
	v_or3_b32 v2, v125, v2, v3
	v_and_b32_sdwa v3, v2, s19 dst_sel:DWORD dst_unused:UNUSED_PAD src0_sel:WORD_1 src1_sel:DWORD
	v_lshlrev_b16_sdwa v2, v122, v2 dst_sel:DWORD dst_unused:UNUSED_PAD src0_sel:DWORD src1_sel:WORD_1
	v_add_u16_e32 v3, 0xf000, v3
	v_add_u16_e32 v2, 0xf000, v2
	v_perm_b32 v2, v2, v3, s23
	v_and_b32_e32 v3, 0x1f00, v1
	v_lshlrev_b16_e32 v1, 8, v1
	v_add_u16_e32 v1, 0xf000, v1
	v_or_b32_sdwa v1, v3, v1 dst_sel:DWORD dst_unused:UNUSED_PAD src0_sel:DWORD src1_sel:BYTE_1
	v_add_u16_e32 v1, 0xf000, v1
	s_waitcnt vmcnt(2)
	v_ashrrev_i32_e32 v123, v12, v128
	v_lshl_or_b32 v1, v2, 16, v1
	v_lshlrev_b32_e32 v2, 4, v123
	v_lshlrev_b32_e32 v3, 11, v123
	ds_write2_b32 v14, v124, v1 offset1:1
	v_and_b32_e32 v1, 0xf0f0f0f, v127
	v_and_b32_e32 v2, 16, v2
	;; [unrolled: 1-line block ×3, first 2 shown]
	v_or3_b32 v2, v2, v1, v3
	v_lshlrev_b32_e32 v3, 18, v123
	v_lshlrev_b32_e32 v4, 25, v123
	v_and_b32_e32 v3, 0x100000, v3
	v_and_b32_e32 v4, 0x10000000, v4
	v_or3_b32 v1, v1, v3, v4
	v_and_b32_e32 v3, 0x1f00, v2
	v_lshlrev_b16_e32 v2, 8, v2
	v_add_u16_e32 v3, 0xf000, v3
	v_add_u16_e32 v2, 0xf000, v2
	v_perm_b32 v2, v2, v3, s23
	v_and_b32_sdwa v3, v1, s19 dst_sel:DWORD dst_unused:UNUSED_PAD src0_sel:WORD_1 src1_sel:DWORD
	v_lshlrev_b16_sdwa v1, v122, v1 dst_sel:DWORD dst_unused:UNUSED_PAD src0_sel:DWORD src1_sel:WORD_1
	v_add_u16_e32 v3, 0xf000, v3
	v_add_u16_e32 v1, 0xf000, v1
	v_perm_b32 v1, v1, v3, s23
	v_lshl_or_b32 v124, v1, 16, v2
	v_lshrrev_b32_e32 v1, 4, v127
	v_and_b32_e32 v125, 0xf0f0f0f, v1
	v_add_co_u32_e32 v1, vcc, s14, v59
	v_addc_co_u32_e32 v2, vcc, v60, v121, vcc
	v_add_co_u32_e32 v3, vcc, s14, v61
	v_addc_co_u32_e32 v4, vcc, v62, v121, vcc
	global_load_dword v127, v[3:4], off
	global_load_dword v128, v[1:2], off
	v_lshrrev_b32_e32 v126, 12, v123
	v_lshrrev_b32_e32 v2, 5, v123
	v_and_b32_e32 v1, 16, v126
	v_and_b32_e32 v2, 0x1000, v2
	v_or3_b32 v1, v1, v125, v2
	v_lshlrev_b32_e32 v2, 2, v123
	v_lshlrev_b32_e32 v3, 9, v123
	v_and_b32_e32 v2, 0x100000, v2
	v_and_b32_e32 v3, 0x10000000, v3
	v_or3_b32 v2, v125, v2, v3
	v_and_b32_sdwa v3, v2, s19 dst_sel:DWORD dst_unused:UNUSED_PAD src0_sel:WORD_1 src1_sel:DWORD
	v_lshlrev_b16_sdwa v2, v122, v2 dst_sel:DWORD dst_unused:UNUSED_PAD src0_sel:DWORD src1_sel:WORD_1
	v_add_u16_e32 v3, 0xf000, v3
	v_add_u16_e32 v2, 0xf000, v2
	v_perm_b32 v2, v2, v3, s23
	v_and_b32_e32 v3, 0x1f00, v1
	v_lshlrev_b16_e32 v1, 8, v1
	v_add_u16_e32 v1, 0xf000, v1
	v_or_b32_sdwa v1, v3, v1 dst_sel:DWORD dst_unused:UNUSED_PAD src0_sel:DWORD src1_sel:BYTE_1
	v_add_u16_e32 v1, 0xf000, v1
	v_lshl_or_b32 v1, v2, 16, v1
	ds_write2_b32 v15, v124, v1 offset1:1
	s_waitcnt vmcnt(3)
	v_ashrrev_i32_e32 v123, v12, v129
	v_lshlrev_b32_e32 v2, 4, v123
	v_lshlrev_b32_e32 v3, 11, v123
	s_waitcnt vmcnt(2)
	v_and_b32_e32 v1, 0xf0f0f0f, v130
	v_and_b32_e32 v2, 16, v2
	;; [unrolled: 1-line block ×3, first 2 shown]
	v_or3_b32 v2, v2, v1, v3
	v_lshlrev_b32_e32 v3, 18, v123
	v_lshlrev_b32_e32 v4, 25, v123
	v_and_b32_e32 v3, 0x100000, v3
	v_and_b32_e32 v4, 0x10000000, v4
	v_or3_b32 v1, v1, v3, v4
	v_and_b32_e32 v3, 0x1f00, v2
	v_lshlrev_b16_e32 v2, 8, v2
	v_add_u16_e32 v3, 0xf000, v3
	v_add_u16_e32 v2, 0xf000, v2
	v_perm_b32 v2, v2, v3, s23
	v_and_b32_sdwa v3, v1, s19 dst_sel:DWORD dst_unused:UNUSED_PAD src0_sel:WORD_1 src1_sel:DWORD
	v_lshlrev_b16_sdwa v1, v122, v1 dst_sel:DWORD dst_unused:UNUSED_PAD src0_sel:DWORD src1_sel:WORD_1
	v_add_u16_e32 v3, 0xf000, v3
	v_add_u16_e32 v1, 0xf000, v1
	v_perm_b32 v1, v1, v3, s23
	v_lshl_or_b32 v124, v1, 16, v2
	v_lshrrev_b32_e32 v1, 4, v130
	v_and_b32_e32 v125, 0xf0f0f0f, v1
	v_add_co_u32_e32 v1, vcc, s14, v63
	v_addc_co_u32_e32 v2, vcc, v64, v121, vcc
	v_add_co_u32_e32 v3, vcc, s14, v65
	v_addc_co_u32_e32 v4, vcc, v66, v121, vcc
	v_lshrrev_b32_e32 v126, 12, v123
	global_load_dword v129, v[3:4], off
	global_load_dword v130, v[1:2], off
	v_lshrrev_b32_e32 v2, 5, v123
	v_and_b32_e32 v1, 16, v126
	v_and_b32_e32 v2, 0x1000, v2
	v_or3_b32 v1, v1, v125, v2
	v_lshlrev_b32_e32 v2, 2, v123
	v_lshlrev_b32_e32 v3, 9, v123
	v_and_b32_e32 v2, 0x100000, v2
	v_and_b32_e32 v3, 0x10000000, v3
	v_or3_b32 v2, v125, v2, v3
	v_and_b32_sdwa v3, v2, s19 dst_sel:DWORD dst_unused:UNUSED_PAD src0_sel:WORD_1 src1_sel:DWORD
	v_lshlrev_b16_sdwa v2, v122, v2 dst_sel:DWORD dst_unused:UNUSED_PAD src0_sel:DWORD src1_sel:WORD_1
	v_add_u16_e32 v3, 0xf000, v3
	v_add_u16_e32 v2, 0xf000, v2
	v_perm_b32 v2, v2, v3, s23
	v_and_b32_e32 v3, 0x1f00, v1
	v_lshlrev_b16_e32 v1, 8, v1
	v_add_u16_e32 v1, 0xf000, v1
	v_or_b32_sdwa v1, v3, v1 dst_sel:DWORD dst_unused:UNUSED_PAD src0_sel:DWORD src1_sel:BYTE_1
	v_add_u16_e32 v1, 0xf000, v1
	v_lshl_or_b32 v1, v2, 16, v1
	s_waitcnt vmcnt(3)
	v_ashrrev_i32_e32 v123, v12, v127
	v_lshlrev_b32_e32 v2, 4, v123
	v_lshlrev_b32_e32 v3, 11, v123
	ds_write2_b32 v16, v124, v1 offset1:1
	s_waitcnt vmcnt(2)
	v_and_b32_e32 v1, 0xf0f0f0f, v128
	v_and_b32_e32 v2, 16, v2
	;; [unrolled: 1-line block ×3, first 2 shown]
	v_or3_b32 v2, v2, v1, v3
	v_lshlrev_b32_e32 v3, 18, v123
	v_lshlrev_b32_e32 v4, 25, v123
	v_and_b32_e32 v3, 0x100000, v3
	v_and_b32_e32 v4, 0x10000000, v4
	v_or3_b32 v1, v1, v3, v4
	v_and_b32_e32 v3, 0x1f00, v2
	v_lshlrev_b16_e32 v2, 8, v2
	v_add_u16_e32 v3, 0xf000, v3
	v_add_u16_e32 v2, 0xf000, v2
	v_perm_b32 v2, v2, v3, s23
	v_and_b32_sdwa v3, v1, s19 dst_sel:DWORD dst_unused:UNUSED_PAD src0_sel:WORD_1 src1_sel:DWORD
	v_lshlrev_b16_sdwa v1, v122, v1 dst_sel:DWORD dst_unused:UNUSED_PAD src0_sel:DWORD src1_sel:WORD_1
	v_add_u16_e32 v3, 0xf000, v3
	v_add_u16_e32 v1, 0xf000, v1
	v_perm_b32 v1, v1, v3, s23
	v_lshl_or_b32 v124, v1, 16, v2
	v_lshrrev_b32_e32 v1, 4, v128
	v_and_b32_e32 v125, 0xf0f0f0f, v1
	v_add_co_u32_e32 v1, vcc, s14, v67
	v_addc_co_u32_e32 v2, vcc, v68, v121, vcc
	v_add_co_u32_e32 v3, vcc, s14, v69
	v_addc_co_u32_e32 v4, vcc, v70, v121, vcc
	global_load_dword v127, v[3:4], off
	global_load_dword v128, v[1:2], off
	v_lshrrev_b32_e32 v126, 12, v123
	v_lshrrev_b32_e32 v2, 5, v123
	v_and_b32_e32 v1, 16, v126
	v_and_b32_e32 v2, 0x1000, v2
	v_or3_b32 v1, v1, v125, v2
	v_lshlrev_b32_e32 v2, 2, v123
	v_lshlrev_b32_e32 v3, 9, v123
	v_and_b32_e32 v2, 0x100000, v2
	v_and_b32_e32 v3, 0x10000000, v3
	v_or3_b32 v2, v125, v2, v3
	v_and_b32_sdwa v3, v2, s19 dst_sel:DWORD dst_unused:UNUSED_PAD src0_sel:WORD_1 src1_sel:DWORD
	v_lshlrev_b16_sdwa v2, v122, v2 dst_sel:DWORD dst_unused:UNUSED_PAD src0_sel:DWORD src1_sel:WORD_1
	v_add_u16_e32 v3, 0xf000, v3
	v_add_u16_e32 v2, 0xf000, v2
	v_perm_b32 v2, v2, v3, s23
	v_and_b32_e32 v3, 0x1f00, v1
	v_lshlrev_b16_e32 v1, 8, v1
	v_add_u16_e32 v1, 0xf000, v1
	v_or_b32_sdwa v1, v3, v1 dst_sel:DWORD dst_unused:UNUSED_PAD src0_sel:DWORD src1_sel:BYTE_1
	v_add_u16_e32 v1, 0xf000, v1
	v_lshl_or_b32 v1, v2, 16, v1
	ds_write2_b32 v17, v124, v1 offset1:1
	s_waitcnt vmcnt(3)
	v_ashrrev_i32_e32 v123, v12, v129
	v_lshlrev_b32_e32 v2, 4, v123
	v_lshlrev_b32_e32 v3, 11, v123
	s_waitcnt vmcnt(2)
	v_and_b32_e32 v1, 0xf0f0f0f, v130
	v_and_b32_e32 v2, 16, v2
	;; [unrolled: 1-line block ×3, first 2 shown]
	v_or3_b32 v2, v2, v1, v3
	v_lshlrev_b32_e32 v3, 18, v123
	v_lshlrev_b32_e32 v4, 25, v123
	v_and_b32_e32 v3, 0x100000, v3
	v_and_b32_e32 v4, 0x10000000, v4
	v_or3_b32 v1, v1, v3, v4
	v_and_b32_e32 v3, 0x1f00, v2
	v_lshlrev_b16_e32 v2, 8, v2
	v_add_u16_e32 v3, 0xf000, v3
	v_add_u16_e32 v2, 0xf000, v2
	v_perm_b32 v2, v2, v3, s23
	v_and_b32_sdwa v3, v1, s19 dst_sel:DWORD dst_unused:UNUSED_PAD src0_sel:WORD_1 src1_sel:DWORD
	v_lshlrev_b16_sdwa v1, v122, v1 dst_sel:DWORD dst_unused:UNUSED_PAD src0_sel:DWORD src1_sel:WORD_1
	v_add_u16_e32 v3, 0xf000, v3
	v_add_u16_e32 v1, 0xf000, v1
	v_perm_b32 v1, v1, v3, s23
	v_lshl_or_b32 v124, v1, 16, v2
	v_lshrrev_b32_e32 v1, 4, v130
	v_and_b32_e32 v125, 0xf0f0f0f, v1
	v_add_co_u32_e32 v1, vcc, s14, v71
	v_addc_co_u32_e32 v2, vcc, v72, v121, vcc
	v_add_co_u32_e32 v3, vcc, s14, v73
	v_addc_co_u32_e32 v4, vcc, v74, v121, vcc
	v_lshrrev_b32_e32 v126, 12, v123
	global_load_dword v129, v[3:4], off
	global_load_dword v130, v[1:2], off
	v_lshrrev_b32_e32 v2, 5, v123
	v_and_b32_e32 v1, 16, v126
	v_and_b32_e32 v2, 0x1000, v2
	v_or3_b32 v1, v1, v125, v2
	v_lshlrev_b32_e32 v2, 2, v123
	v_lshlrev_b32_e32 v3, 9, v123
	v_and_b32_e32 v2, 0x100000, v2
	v_and_b32_e32 v3, 0x10000000, v3
	v_or3_b32 v2, v125, v2, v3
	v_and_b32_sdwa v3, v2, s19 dst_sel:DWORD dst_unused:UNUSED_PAD src0_sel:WORD_1 src1_sel:DWORD
	v_lshlrev_b16_sdwa v2, v122, v2 dst_sel:DWORD dst_unused:UNUSED_PAD src0_sel:DWORD src1_sel:WORD_1
	v_add_u16_e32 v3, 0xf000, v3
	v_add_u16_e32 v2, 0xf000, v2
	v_perm_b32 v2, v2, v3, s23
	v_and_b32_e32 v3, 0x1f00, v1
	v_lshlrev_b16_e32 v1, 8, v1
	v_add_u16_e32 v1, 0xf000, v1
	v_or_b32_sdwa v1, v3, v1 dst_sel:DWORD dst_unused:UNUSED_PAD src0_sel:DWORD src1_sel:BYTE_1
	v_add_u16_e32 v1, 0xf000, v1
	v_lshl_or_b32 v1, v2, 16, v1
	s_waitcnt vmcnt(3)
	v_ashrrev_i32_e32 v123, v12, v127
	v_lshlrev_b32_e32 v2, 4, v123
	v_lshlrev_b32_e32 v3, 11, v123
	ds_write2_b32 v18, v124, v1 offset1:1
	s_waitcnt vmcnt(2)
	v_and_b32_e32 v1, 0xf0f0f0f, v128
	v_and_b32_e32 v2, 16, v2
	;; [unrolled: 1-line block ×3, first 2 shown]
	v_or3_b32 v2, v2, v1, v3
	v_lshlrev_b32_e32 v3, 18, v123
	v_lshlrev_b32_e32 v4, 25, v123
	v_and_b32_e32 v3, 0x100000, v3
	v_and_b32_e32 v4, 0x10000000, v4
	v_or3_b32 v1, v1, v3, v4
	v_and_b32_e32 v3, 0x1f00, v2
	v_lshlrev_b16_e32 v2, 8, v2
	v_add_u16_e32 v3, 0xf000, v3
	v_add_u16_e32 v2, 0xf000, v2
	v_perm_b32 v2, v2, v3, s23
	v_and_b32_sdwa v3, v1, s19 dst_sel:DWORD dst_unused:UNUSED_PAD src0_sel:WORD_1 src1_sel:DWORD
	v_lshlrev_b16_sdwa v1, v122, v1 dst_sel:DWORD dst_unused:UNUSED_PAD src0_sel:DWORD src1_sel:WORD_1
	v_add_u16_e32 v3, 0xf000, v3
	v_add_u16_e32 v1, 0xf000, v1
	v_perm_b32 v1, v1, v3, s23
	v_lshl_or_b32 v124, v1, 16, v2
	v_lshrrev_b32_e32 v1, 4, v128
	v_and_b32_e32 v125, 0xf0f0f0f, v1
	v_add_co_u32_e32 v1, vcc, s14, v75
	v_addc_co_u32_e32 v2, vcc, v76, v121, vcc
	v_add_co_u32_e32 v3, vcc, s14, v77
	v_addc_co_u32_e32 v4, vcc, v78, v121, vcc
	global_load_dword v127, v[3:4], off
	global_load_dword v128, v[1:2], off
	v_lshrrev_b32_e32 v126, 12, v123
	v_lshrrev_b32_e32 v2, 5, v123
	v_and_b32_e32 v1, 16, v126
	v_and_b32_e32 v2, 0x1000, v2
	v_or3_b32 v1, v1, v125, v2
	v_lshlrev_b32_e32 v2, 2, v123
	v_lshlrev_b32_e32 v3, 9, v123
	v_and_b32_e32 v2, 0x100000, v2
	v_and_b32_e32 v3, 0x10000000, v3
	v_or3_b32 v2, v125, v2, v3
	v_and_b32_sdwa v3, v2, s19 dst_sel:DWORD dst_unused:UNUSED_PAD src0_sel:WORD_1 src1_sel:DWORD
	v_lshlrev_b16_sdwa v2, v122, v2 dst_sel:DWORD dst_unused:UNUSED_PAD src0_sel:DWORD src1_sel:WORD_1
	v_add_u16_e32 v3, 0xf000, v3
	v_add_u16_e32 v2, 0xf000, v2
	v_perm_b32 v2, v2, v3, s23
	v_and_b32_e32 v3, 0x1f00, v1
	v_lshlrev_b16_e32 v1, 8, v1
	v_add_u16_e32 v1, 0xf000, v1
	v_or_b32_sdwa v1, v3, v1 dst_sel:DWORD dst_unused:UNUSED_PAD src0_sel:DWORD src1_sel:BYTE_1
	v_add_u16_e32 v1, 0xf000, v1
	v_lshl_or_b32 v1, v2, 16, v1
	ds_write2_b32 v19, v124, v1 offset1:1
	s_waitcnt vmcnt(3)
	v_ashrrev_i32_e32 v123, v12, v129
	v_lshlrev_b32_e32 v2, 4, v123
	v_lshlrev_b32_e32 v3, 11, v123
	s_waitcnt vmcnt(2)
	v_and_b32_e32 v1, 0xf0f0f0f, v130
	v_and_b32_e32 v2, 16, v2
	;; [unrolled: 1-line block ×3, first 2 shown]
	v_or3_b32 v2, v2, v1, v3
	v_lshlrev_b32_e32 v3, 18, v123
	v_lshlrev_b32_e32 v4, 25, v123
	v_and_b32_e32 v3, 0x100000, v3
	v_and_b32_e32 v4, 0x10000000, v4
	v_or3_b32 v1, v1, v3, v4
	v_and_b32_e32 v3, 0x1f00, v2
	v_lshlrev_b16_e32 v2, 8, v2
	v_add_u16_e32 v3, 0xf000, v3
	v_add_u16_e32 v2, 0xf000, v2
	v_perm_b32 v2, v2, v3, s23
	v_and_b32_sdwa v3, v1, s19 dst_sel:DWORD dst_unused:UNUSED_PAD src0_sel:WORD_1 src1_sel:DWORD
	v_lshlrev_b16_sdwa v1, v122, v1 dst_sel:DWORD dst_unused:UNUSED_PAD src0_sel:DWORD src1_sel:WORD_1
	v_add_u16_e32 v3, 0xf000, v3
	v_add_u16_e32 v1, 0xf000, v1
	v_perm_b32 v1, v1, v3, s23
	v_lshl_or_b32 v124, v1, 16, v2
	v_lshrrev_b32_e32 v1, 4, v130
	v_and_b32_e32 v125, 0xf0f0f0f, v1
	v_add_co_u32_e32 v1, vcc, s14, v79
	v_addc_co_u32_e32 v2, vcc, v80, v121, vcc
	v_add_co_u32_e32 v3, vcc, s14, v81
	v_addc_co_u32_e32 v4, vcc, v82, v121, vcc
	v_lshrrev_b32_e32 v126, 12, v123
	global_load_dword v129, v[3:4], off
	global_load_dword v130, v[1:2], off
	v_lshrrev_b32_e32 v2, 5, v123
	v_and_b32_e32 v1, 16, v126
	v_and_b32_e32 v2, 0x1000, v2
	v_or3_b32 v1, v1, v125, v2
	v_lshlrev_b32_e32 v2, 2, v123
	v_lshlrev_b32_e32 v3, 9, v123
	v_and_b32_e32 v2, 0x100000, v2
	v_and_b32_e32 v3, 0x10000000, v3
	v_or3_b32 v2, v125, v2, v3
	v_and_b32_sdwa v3, v2, s19 dst_sel:DWORD dst_unused:UNUSED_PAD src0_sel:WORD_1 src1_sel:DWORD
	v_lshlrev_b16_sdwa v2, v122, v2 dst_sel:DWORD dst_unused:UNUSED_PAD src0_sel:DWORD src1_sel:WORD_1
	v_add_u16_e32 v3, 0xf000, v3
	v_add_u16_e32 v2, 0xf000, v2
	v_perm_b32 v2, v2, v3, s23
	v_and_b32_e32 v3, 0x1f00, v1
	v_lshlrev_b16_e32 v1, 8, v1
	v_add_u16_e32 v1, 0xf000, v1
	v_or_b32_sdwa v1, v3, v1 dst_sel:DWORD dst_unused:UNUSED_PAD src0_sel:DWORD src1_sel:BYTE_1
	v_add_u16_e32 v1, 0xf000, v1
	v_lshl_or_b32 v1, v2, 16, v1
	s_waitcnt vmcnt(3)
	v_ashrrev_i32_e32 v123, v12, v127
	v_lshlrev_b32_e32 v2, 4, v123
	v_lshlrev_b32_e32 v3, 11, v123
	ds_write2_b32 v20, v124, v1 offset1:1
	s_waitcnt vmcnt(2)
	v_and_b32_e32 v1, 0xf0f0f0f, v128
	v_and_b32_e32 v2, 16, v2
	;; [unrolled: 1-line block ×3, first 2 shown]
	v_or3_b32 v2, v2, v1, v3
	v_lshlrev_b32_e32 v3, 18, v123
	v_lshlrev_b32_e32 v4, 25, v123
	v_and_b32_e32 v3, 0x100000, v3
	v_and_b32_e32 v4, 0x10000000, v4
	v_or3_b32 v1, v1, v3, v4
	v_and_b32_e32 v3, 0x1f00, v2
	v_lshlrev_b16_e32 v2, 8, v2
	v_add_u16_e32 v3, 0xf000, v3
	v_add_u16_e32 v2, 0xf000, v2
	v_perm_b32 v2, v2, v3, s23
	v_and_b32_sdwa v3, v1, s19 dst_sel:DWORD dst_unused:UNUSED_PAD src0_sel:WORD_1 src1_sel:DWORD
	v_lshlrev_b16_sdwa v1, v122, v1 dst_sel:DWORD dst_unused:UNUSED_PAD src0_sel:DWORD src1_sel:WORD_1
	v_add_u16_e32 v3, 0xf000, v3
	v_add_u16_e32 v1, 0xf000, v1
	v_perm_b32 v1, v1, v3, s23
	v_lshl_or_b32 v124, v1, 16, v2
	v_lshrrev_b32_e32 v1, 4, v128
	v_and_b32_e32 v125, 0xf0f0f0f, v1
	v_add_co_u32_e32 v1, vcc, s14, v83
	v_addc_co_u32_e32 v2, vcc, v84, v121, vcc
	v_add_co_u32_e32 v3, vcc, s14, v85
	v_addc_co_u32_e32 v4, vcc, v86, v121, vcc
	global_load_dword v127, v[3:4], off
	global_load_dword v128, v[1:2], off
	v_lshrrev_b32_e32 v126, 12, v123
	v_lshrrev_b32_e32 v2, 5, v123
	v_and_b32_e32 v1, 16, v126
	v_and_b32_e32 v2, 0x1000, v2
	v_or3_b32 v1, v1, v125, v2
	v_lshlrev_b32_e32 v2, 2, v123
	v_lshlrev_b32_e32 v3, 9, v123
	v_and_b32_e32 v2, 0x100000, v2
	v_and_b32_e32 v3, 0x10000000, v3
	v_or3_b32 v2, v125, v2, v3
	v_and_b32_sdwa v3, v2, s19 dst_sel:DWORD dst_unused:UNUSED_PAD src0_sel:WORD_1 src1_sel:DWORD
	v_lshlrev_b16_sdwa v2, v122, v2 dst_sel:DWORD dst_unused:UNUSED_PAD src0_sel:DWORD src1_sel:WORD_1
	v_add_u16_e32 v3, 0xf000, v3
	v_add_u16_e32 v2, 0xf000, v2
	v_perm_b32 v2, v2, v3, s23
	v_and_b32_e32 v3, 0x1f00, v1
	v_lshlrev_b16_e32 v1, 8, v1
	v_add_u16_e32 v1, 0xf000, v1
	v_or_b32_sdwa v1, v3, v1 dst_sel:DWORD dst_unused:UNUSED_PAD src0_sel:DWORD src1_sel:BYTE_1
	v_add_u16_e32 v1, 0xf000, v1
	v_lshl_or_b32 v1, v2, 16, v1
	ds_write2_b32 v21, v124, v1 offset1:1
	s_waitcnt vmcnt(3)
	v_ashrrev_i32_e32 v123, v12, v129
	v_lshlrev_b32_e32 v2, 4, v123
	v_lshlrev_b32_e32 v3, 11, v123
	s_waitcnt vmcnt(2)
	v_and_b32_e32 v1, 0xf0f0f0f, v130
	v_and_b32_e32 v2, 16, v2
	;; [unrolled: 1-line block ×3, first 2 shown]
	v_or3_b32 v2, v2, v1, v3
	v_lshlrev_b32_e32 v3, 18, v123
	v_lshlrev_b32_e32 v4, 25, v123
	v_and_b32_e32 v3, 0x100000, v3
	v_and_b32_e32 v4, 0x10000000, v4
	v_or3_b32 v1, v1, v3, v4
	v_and_b32_e32 v3, 0x1f00, v2
	v_lshlrev_b16_e32 v2, 8, v2
	v_add_u16_e32 v3, 0xf000, v3
	v_add_u16_e32 v2, 0xf000, v2
	v_perm_b32 v2, v2, v3, s23
	v_and_b32_sdwa v3, v1, s19 dst_sel:DWORD dst_unused:UNUSED_PAD src0_sel:WORD_1 src1_sel:DWORD
	v_lshlrev_b16_sdwa v1, v122, v1 dst_sel:DWORD dst_unused:UNUSED_PAD src0_sel:DWORD src1_sel:WORD_1
	v_add_u16_e32 v3, 0xf000, v3
	v_add_u16_e32 v1, 0xf000, v1
	v_perm_b32 v1, v1, v3, s23
	v_lshl_or_b32 v124, v1, 16, v2
	v_lshrrev_b32_e32 v1, 4, v130
	v_and_b32_e32 v125, 0xf0f0f0f, v1
	v_add_co_u32_e32 v1, vcc, s14, v87
	v_addc_co_u32_e32 v2, vcc, v88, v121, vcc
	v_add_co_u32_e32 v3, vcc, s14, v89
	v_addc_co_u32_e32 v4, vcc, v90, v121, vcc
	v_lshrrev_b32_e32 v126, 12, v123
	global_load_dword v129, v[3:4], off
	global_load_dword v130, v[1:2], off
	v_lshrrev_b32_e32 v2, 5, v123
	v_and_b32_e32 v1, 16, v126
	v_and_b32_e32 v2, 0x1000, v2
	v_or3_b32 v1, v1, v125, v2
	v_lshlrev_b32_e32 v2, 2, v123
	v_lshlrev_b32_e32 v3, 9, v123
	v_and_b32_e32 v2, 0x100000, v2
	v_and_b32_e32 v3, 0x10000000, v3
	v_or3_b32 v2, v125, v2, v3
	v_and_b32_sdwa v3, v2, s19 dst_sel:DWORD dst_unused:UNUSED_PAD src0_sel:WORD_1 src1_sel:DWORD
	v_lshlrev_b16_sdwa v2, v122, v2 dst_sel:DWORD dst_unused:UNUSED_PAD src0_sel:DWORD src1_sel:WORD_1
	v_add_u16_e32 v3, 0xf000, v3
	v_add_u16_e32 v2, 0xf000, v2
	v_perm_b32 v2, v2, v3, s23
	v_and_b32_e32 v3, 0x1f00, v1
	v_lshlrev_b16_e32 v1, 8, v1
	v_add_u16_e32 v1, 0xf000, v1
	v_or_b32_sdwa v1, v3, v1 dst_sel:DWORD dst_unused:UNUSED_PAD src0_sel:DWORD src1_sel:BYTE_1
	v_add_u16_e32 v1, 0xf000, v1
	v_lshl_or_b32 v1, v2, 16, v1
	s_waitcnt vmcnt(3)
	v_ashrrev_i32_e32 v123, v12, v127
	v_lshlrev_b32_e32 v2, 4, v123
	v_lshlrev_b32_e32 v3, 11, v123
	ds_write2_b32 v22, v124, v1 offset1:1
	s_waitcnt vmcnt(2)
	v_and_b32_e32 v1, 0xf0f0f0f, v128
	v_and_b32_e32 v2, 16, v2
	;; [unrolled: 1-line block ×3, first 2 shown]
	v_or3_b32 v2, v2, v1, v3
	v_lshlrev_b32_e32 v3, 18, v123
	v_lshlrev_b32_e32 v4, 25, v123
	v_and_b32_e32 v3, 0x100000, v3
	v_and_b32_e32 v4, 0x10000000, v4
	v_or3_b32 v1, v1, v3, v4
	v_and_b32_e32 v3, 0x1f00, v2
	v_lshlrev_b16_e32 v2, 8, v2
	v_add_u16_e32 v3, 0xf000, v3
	v_add_u16_e32 v2, 0xf000, v2
	v_perm_b32 v2, v2, v3, s23
	v_and_b32_sdwa v3, v1, s19 dst_sel:DWORD dst_unused:UNUSED_PAD src0_sel:WORD_1 src1_sel:DWORD
	v_lshlrev_b16_sdwa v1, v122, v1 dst_sel:DWORD dst_unused:UNUSED_PAD src0_sel:DWORD src1_sel:WORD_1
	v_add_u16_e32 v3, 0xf000, v3
	v_add_u16_e32 v1, 0xf000, v1
	v_perm_b32 v1, v1, v3, s23
	v_lshl_or_b32 v124, v1, 16, v2
	v_lshrrev_b32_e32 v1, 4, v128
	v_and_b32_e32 v125, 0xf0f0f0f, v1
	v_add_co_u32_e32 v1, vcc, s14, v91
	v_addc_co_u32_e32 v2, vcc, v92, v121, vcc
	v_add_co_u32_e32 v3, vcc, s14, v93
	v_addc_co_u32_e32 v4, vcc, v94, v121, vcc
	global_load_dword v127, v[3:4], off
	global_load_dword v128, v[1:2], off
	v_lshrrev_b32_e32 v126, 12, v123
	v_lshrrev_b32_e32 v2, 5, v123
	v_and_b32_e32 v1, 16, v126
	v_and_b32_e32 v2, 0x1000, v2
	v_or3_b32 v1, v1, v125, v2
	v_lshlrev_b32_e32 v2, 2, v123
	v_lshlrev_b32_e32 v3, 9, v123
	v_and_b32_e32 v2, 0x100000, v2
	v_and_b32_e32 v3, 0x10000000, v3
	v_or3_b32 v2, v125, v2, v3
	v_and_b32_sdwa v3, v2, s19 dst_sel:DWORD dst_unused:UNUSED_PAD src0_sel:WORD_1 src1_sel:DWORD
	v_lshlrev_b16_sdwa v2, v122, v2 dst_sel:DWORD dst_unused:UNUSED_PAD src0_sel:DWORD src1_sel:WORD_1
	v_add_u16_e32 v3, 0xf000, v3
	v_add_u16_e32 v2, 0xf000, v2
	v_perm_b32 v2, v2, v3, s23
	v_and_b32_e32 v3, 0x1f00, v1
	v_lshlrev_b16_e32 v1, 8, v1
	v_add_u16_e32 v1, 0xf000, v1
	v_or_b32_sdwa v1, v3, v1 dst_sel:DWORD dst_unused:UNUSED_PAD src0_sel:DWORD src1_sel:BYTE_1
	v_add_u16_e32 v1, 0xf000, v1
	v_lshl_or_b32 v1, v2, 16, v1
	ds_write2_b32 v23, v124, v1 offset1:1
	s_waitcnt vmcnt(3)
	v_ashrrev_i32_e32 v123, v12, v129
	v_lshlrev_b32_e32 v2, 4, v123
	v_lshlrev_b32_e32 v3, 11, v123
	s_waitcnt vmcnt(2)
	v_and_b32_e32 v1, 0xf0f0f0f, v130
	v_and_b32_e32 v2, 16, v2
	;; [unrolled: 1-line block ×3, first 2 shown]
	v_or3_b32 v2, v2, v1, v3
	v_lshlrev_b32_e32 v3, 18, v123
	v_lshlrev_b32_e32 v4, 25, v123
	v_and_b32_e32 v3, 0x100000, v3
	v_and_b32_e32 v4, 0x10000000, v4
	v_or3_b32 v1, v1, v3, v4
	v_and_b32_e32 v3, 0x1f00, v2
	v_lshlrev_b16_e32 v2, 8, v2
	v_add_u16_e32 v3, 0xf000, v3
	v_add_u16_e32 v2, 0xf000, v2
	v_perm_b32 v2, v2, v3, s23
	v_and_b32_sdwa v3, v1, s19 dst_sel:DWORD dst_unused:UNUSED_PAD src0_sel:WORD_1 src1_sel:DWORD
	v_lshlrev_b16_sdwa v1, v122, v1 dst_sel:DWORD dst_unused:UNUSED_PAD src0_sel:DWORD src1_sel:WORD_1
	v_add_u16_e32 v3, 0xf000, v3
	v_add_u16_e32 v1, 0xf000, v1
	v_perm_b32 v1, v1, v3, s23
	v_lshl_or_b32 v124, v1, 16, v2
	v_lshrrev_b32_e32 v1, 4, v130
	v_and_b32_e32 v125, 0xf0f0f0f, v1
	v_add_co_u32_e32 v1, vcc, s14, v95
	v_addc_co_u32_e32 v2, vcc, v96, v121, vcc
	v_add_co_u32_e32 v3, vcc, s14, v97
	v_addc_co_u32_e32 v4, vcc, v98, v121, vcc
	v_lshrrev_b32_e32 v126, 12, v123
	global_load_dword v129, v[3:4], off
	global_load_dword v130, v[1:2], off
	v_lshrrev_b32_e32 v2, 5, v123
	v_and_b32_e32 v1, 16, v126
	v_and_b32_e32 v2, 0x1000, v2
	v_or3_b32 v1, v1, v125, v2
	v_lshlrev_b32_e32 v2, 2, v123
	v_lshlrev_b32_e32 v3, 9, v123
	v_and_b32_e32 v2, 0x100000, v2
	v_and_b32_e32 v3, 0x10000000, v3
	v_or3_b32 v2, v125, v2, v3
	v_and_b32_sdwa v3, v2, s19 dst_sel:DWORD dst_unused:UNUSED_PAD src0_sel:WORD_1 src1_sel:DWORD
	v_lshlrev_b16_sdwa v2, v122, v2 dst_sel:DWORD dst_unused:UNUSED_PAD src0_sel:DWORD src1_sel:WORD_1
	v_add_u16_e32 v3, 0xf000, v3
	v_add_u16_e32 v2, 0xf000, v2
	v_perm_b32 v2, v2, v3, s23
	v_and_b32_e32 v3, 0x1f00, v1
	v_lshlrev_b16_e32 v1, 8, v1
	v_add_u16_e32 v1, 0xf000, v1
	v_or_b32_sdwa v1, v3, v1 dst_sel:DWORD dst_unused:UNUSED_PAD src0_sel:DWORD src1_sel:BYTE_1
	v_add_u16_e32 v1, 0xf000, v1
	v_lshl_or_b32 v1, v2, 16, v1
	s_waitcnt vmcnt(3)
	v_ashrrev_i32_e32 v123, v12, v127
	v_lshlrev_b32_e32 v2, 4, v123
	v_lshlrev_b32_e32 v3, 11, v123
	ds_write2_b32 v24, v124, v1 offset1:1
	s_waitcnt vmcnt(2)
	v_and_b32_e32 v1, 0xf0f0f0f, v128
	v_and_b32_e32 v2, 16, v2
	;; [unrolled: 1-line block ×3, first 2 shown]
	v_or3_b32 v2, v2, v1, v3
	v_lshlrev_b32_e32 v3, 18, v123
	v_lshlrev_b32_e32 v4, 25, v123
	v_and_b32_e32 v3, 0x100000, v3
	v_and_b32_e32 v4, 0x10000000, v4
	v_or3_b32 v1, v1, v3, v4
	v_and_b32_e32 v3, 0x1f00, v2
	v_lshlrev_b16_e32 v2, 8, v2
	v_add_u16_e32 v3, 0xf000, v3
	v_add_u16_e32 v2, 0xf000, v2
	v_perm_b32 v2, v2, v3, s23
	v_and_b32_sdwa v3, v1, s19 dst_sel:DWORD dst_unused:UNUSED_PAD src0_sel:WORD_1 src1_sel:DWORD
	v_lshlrev_b16_sdwa v1, v122, v1 dst_sel:DWORD dst_unused:UNUSED_PAD src0_sel:DWORD src1_sel:WORD_1
	v_add_u16_e32 v3, 0xf000, v3
	v_add_u16_e32 v1, 0xf000, v1
	v_perm_b32 v1, v1, v3, s23
	v_lshl_or_b32 v124, v1, 16, v2
	v_lshrrev_b32_e32 v1, 4, v128
	v_and_b32_e32 v125, 0xf0f0f0f, v1
	v_add_co_u32_e32 v1, vcc, s14, v99
	v_addc_co_u32_e32 v2, vcc, v100, v121, vcc
	v_add_co_u32_e32 v3, vcc, s14, v101
	v_addc_co_u32_e32 v4, vcc, v102, v121, vcc
	global_load_dword v127, v[3:4], off
	global_load_dword v128, v[1:2], off
	v_lshrrev_b32_e32 v126, 12, v123
	v_lshrrev_b32_e32 v2, 5, v123
	v_and_b32_e32 v1, 16, v126
	v_and_b32_e32 v2, 0x1000, v2
	v_or3_b32 v1, v1, v125, v2
	v_lshlrev_b32_e32 v2, 2, v123
	v_lshlrev_b32_e32 v3, 9, v123
	v_and_b32_e32 v2, 0x100000, v2
	v_and_b32_e32 v3, 0x10000000, v3
	v_or3_b32 v2, v125, v2, v3
	v_and_b32_sdwa v3, v2, s19 dst_sel:DWORD dst_unused:UNUSED_PAD src0_sel:WORD_1 src1_sel:DWORD
	v_lshlrev_b16_sdwa v2, v122, v2 dst_sel:DWORD dst_unused:UNUSED_PAD src0_sel:DWORD src1_sel:WORD_1
	v_add_u16_e32 v3, 0xf000, v3
	v_add_u16_e32 v2, 0xf000, v2
	v_perm_b32 v2, v2, v3, s23
	v_and_b32_e32 v3, 0x1f00, v1
	v_lshlrev_b16_e32 v1, 8, v1
	v_add_u16_e32 v1, 0xf000, v1
	v_or_b32_sdwa v1, v3, v1 dst_sel:DWORD dst_unused:UNUSED_PAD src0_sel:DWORD src1_sel:BYTE_1
	v_add_u16_e32 v1, 0xf000, v1
	v_lshl_or_b32 v1, v2, 16, v1
	ds_write2_b32 v25, v124, v1 offset1:1
	s_waitcnt vmcnt(3)
	v_ashrrev_i32_e32 v1, v12, v129
	v_lshlrev_b32_e32 v3, 4, v1
	v_lshlrev_b32_e32 v4, 11, v1
	s_waitcnt vmcnt(2)
	v_and_b32_e32 v2, 0xf0f0f0f, v130
	v_and_b32_e32 v3, 16, v3
	;; [unrolled: 1-line block ×3, first 2 shown]
	v_or3_b32 v3, v3, v2, v4
	v_lshlrev_b32_e32 v4, 18, v1
	v_lshlrev_b32_e32 v123, 25, v1
	v_and_b32_e32 v4, 0x100000, v4
	v_and_b32_e32 v123, 0x10000000, v123
	v_or3_b32 v2, v2, v4, v123
	v_and_b32_e32 v4, 0x1f00, v3
	v_lshlrev_b16_e32 v3, 8, v3
	v_add_u16_e32 v4, 0xf000, v4
	v_add_u16_e32 v3, 0xf000, v3
	v_perm_b32 v3, v3, v4, s23
	v_and_b32_sdwa v4, v2, s19 dst_sel:DWORD dst_unused:UNUSED_PAD src0_sel:WORD_1 src1_sel:DWORD
	v_lshlrev_b16_sdwa v2, v122, v2 dst_sel:DWORD dst_unused:UNUSED_PAD src0_sel:DWORD src1_sel:WORD_1
	v_add_u16_e32 v4, 0xf000, v4
	v_add_u16_e32 v2, 0xf000, v2
	v_perm_b32 v2, v2, v4, s23
	v_lshl_or_b32 v123, v2, 16, v3
	v_lshrrev_b32_e32 v2, 4, v130
	v_lshrrev_b32_e32 v3, 12, v1
	;; [unrolled: 1-line block ×3, first 2 shown]
	v_and_b32_e32 v2, 0xf0f0f0f, v2
	v_and_b32_e32 v3, 16, v3
	;; [unrolled: 1-line block ×3, first 2 shown]
	v_or3_b32 v124, v3, v2, v4
	v_lshlrev_b32_e32 v3, 2, v1
	v_lshlrev_b32_e32 v1, 9, v1
	v_and_b32_e32 v3, 0x100000, v3
	v_and_b32_e32 v1, 0x10000000, v1
	v_or3_b32 v125, v2, v3, v1
	v_add_co_u32_e32 v1, vcc, s14, v103
	v_addc_co_u32_e32 v2, vcc, v104, v121, vcc
	v_add_co_u32_e32 v3, vcc, s14, v105
	v_addc_co_u32_e32 v4, vcc, v106, v121, vcc
	v_and_b32_sdwa v126, v125, s19 dst_sel:DWORD dst_unused:UNUSED_PAD src0_sel:WORD_1 src1_sel:DWORD
	global_load_dword v3, v[3:4], off
	s_nop 0
	global_load_dword v4, v[1:2], off
	v_lshlrev_b16_sdwa v2, v122, v125 dst_sel:DWORD dst_unused:UNUSED_PAD src0_sel:DWORD src1_sel:WORD_1
	v_add_u16_e32 v1, 0xf000, v126
	v_add_u16_e32 v2, 0xf000, v2
	v_perm_b32 v1, v2, v1, s23
	v_and_b32_e32 v2, 0x1f00, v124
	v_lshlrev_b16_e32 v124, 8, v124
	v_add_u16_e32 v124, 0xf000, v124
	v_or_b32_sdwa v2, v2, v124 dst_sel:DWORD dst_unused:UNUSED_PAD src0_sel:DWORD src1_sel:BYTE_1
	v_add_u16_e32 v2, 0xf000, v2
	v_lshl_or_b32 v1, v1, 16, v2
	ds_write2_b32 v26, v123, v1 offset1:1
	s_waitcnt vmcnt(3)
	v_ashrrev_i32_e32 v123, v12, v127
	v_lshlrev_b32_e32 v2, 4, v123
	v_lshlrev_b32_e32 v124, 11, v123
	s_waitcnt vmcnt(2)
	v_and_b32_e32 v1, 0xf0f0f0f, v128
	v_and_b32_e32 v2, 16, v2
	;; [unrolled: 1-line block ×3, first 2 shown]
	v_or3_b32 v2, v2, v1, v124
	v_lshlrev_b32_e32 v124, 18, v123
	v_lshlrev_b32_e32 v125, 25, v123
	v_and_b32_e32 v124, 0x100000, v124
	v_and_b32_e32 v125, 0x10000000, v125
	v_or3_b32 v1, v1, v124, v125
	v_and_b32_e32 v124, 0x1f00, v2
	v_lshlrev_b16_e32 v2, 8, v2
	v_add_u16_e32 v124, 0xf000, v124
	v_add_u16_e32 v2, 0xf000, v2
	v_perm_b32 v124, v2, v124, s23
	v_and_b32_sdwa v2, v1, s19 dst_sel:DWORD dst_unused:UNUSED_PAD src0_sel:WORD_1 src1_sel:DWORD
	v_lshlrev_b16_sdwa v126, v122, v1 dst_sel:DWORD dst_unused:UNUSED_PAD src0_sel:DWORD src1_sel:WORD_1
	v_add_co_u32_e32 v1, vcc, s14, v108
	v_add_u16_e32 v125, 0xf000, v2
	v_addc_co_u32_e32 v2, vcc, v109, v121, vcc
	global_load_ushort v127, v[1:2], off
	v_add_co_u32_e32 v1, vcc, s14, v110
	v_addc_co_u32_e32 v2, vcc, v111, v121, vcc
	global_load_ushort v129, v[1:2], off
	v_add_co_u32_e32 v1, vcc, s14, v113
	v_addc_co_u32_e32 v2, vcc, v114, v121, vcc
	global_load_ushort v130, v[1:2], off
	v_add_co_u32_e32 v1, vcc, s14, v115
	v_addc_co_u32_e32 v2, vcc, v116, v121, vcc
	global_load_ushort v1, v[1:2], off
	v_add_u16_e32 v2, 0xf000, v126
	v_perm_b32 v2, v2, v125, s23
	v_lshl_or_b32 v2, v2, 16, v124
	v_lshrrev_b32_e32 v124, 4, v128
	v_lshrrev_b32_e32 v125, 12, v123
	;; [unrolled: 1-line block ×3, first 2 shown]
	v_and_b32_e32 v124, 0xf0f0f0f, v124
	v_and_b32_e32 v125, 16, v125
	;; [unrolled: 1-line block ×3, first 2 shown]
	v_or3_b32 v125, v125, v124, v126
	v_lshlrev_b32_e32 v126, 2, v123
	v_lshlrev_b32_e32 v123, 9, v123
	v_and_b32_e32 v126, 0x100000, v126
	v_and_b32_e32 v123, 0x10000000, v123
	v_or3_b32 v123, v124, v126, v123
	v_and_b32_sdwa v124, v123, s19 dst_sel:DWORD dst_unused:UNUSED_PAD src0_sel:WORD_1 src1_sel:DWORD
	v_lshlrev_b16_sdwa v123, v122, v123 dst_sel:DWORD dst_unused:UNUSED_PAD src0_sel:DWORD src1_sel:WORD_1
	v_add_u16_e32 v124, 0xf000, v124
	v_add_u16_e32 v123, 0xf000, v123
	v_perm_b32 v123, v123, v124, s23
	v_and_b32_e32 v124, 0x1f00, v125
	v_lshlrev_b16_e32 v125, 8, v125
	v_add_u16_e32 v125, 0xf000, v125
	v_or_b32_sdwa v124, v124, v125 dst_sel:DWORD dst_unused:UNUSED_PAD src0_sel:DWORD src1_sel:BYTE_1
	v_add_u16_e32 v124, 0xf000, v124
	v_lshl_or_b32 v123, v123, 16, v124
	ds_write2_b32 v27, v2, v123 offset1:1
	s_waitcnt vmcnt(5)
	v_ashrrev_i32_e32 v2, v12, v3
	v_lshlrev_b32_e32 v123, 4, v2
	v_lshlrev_b32_e32 v124, 11, v2
	s_waitcnt vmcnt(4)
	v_and_b32_e32 v3, 0xf0f0f0f, v4
	v_and_b32_e32 v123, 16, v123
	;; [unrolled: 1-line block ×3, first 2 shown]
	v_or3_b32 v123, v123, v3, v124
	v_lshlrev_b32_e32 v124, 18, v2
	v_lshlrev_b32_e32 v125, 25, v2
	v_and_b32_e32 v124, 0x100000, v124
	v_and_b32_e32 v125, 0x10000000, v125
	v_or3_b32 v3, v3, v124, v125
	v_and_b32_e32 v124, 0x1f00, v123
	v_lshlrev_b16_e32 v123, 8, v123
	v_add_u16_e32 v124, 0xf000, v124
	v_add_u16_e32 v123, 0xf000, v123
	v_perm_b32 v123, v123, v124, s23
	v_and_b32_sdwa v124, v3, s19 dst_sel:DWORD dst_unused:UNUSED_PAD src0_sel:WORD_1 src1_sel:DWORD
	v_lshlrev_b16_sdwa v3, v122, v3 dst_sel:DWORD dst_unused:UNUSED_PAD src0_sel:DWORD src1_sel:WORD_1
	v_add_u16_e32 v124, 0xf000, v124
	v_add_u16_e32 v3, 0xf000, v3
	v_perm_b32 v3, v3, v124, s23
	v_lshl_or_b32 v3, v3, 16, v123
	v_lshrrev_b32_e32 v4, 4, v4
	v_lshrrev_b32_e32 v123, 12, v2
	v_lshrrev_b32_e32 v124, 5, v2
	v_and_b32_e32 v4, 0xf0f0f0f, v4
	v_and_b32_e32 v123, 16, v123
	;; [unrolled: 1-line block ×3, first 2 shown]
	v_or3_b32 v123, v123, v4, v124
	v_lshlrev_b32_e32 v124, 2, v2
	v_lshlrev_b32_e32 v2, 9, v2
	v_and_b32_e32 v124, 0x100000, v124
	v_and_b32_e32 v2, 0x10000000, v2
	v_or3_b32 v2, v4, v124, v2
	v_and_b32_sdwa v4, v2, s19 dst_sel:DWORD dst_unused:UNUSED_PAD src0_sel:WORD_1 src1_sel:DWORD
	v_lshlrev_b16_sdwa v2, v122, v2 dst_sel:DWORD dst_unused:UNUSED_PAD src0_sel:DWORD src1_sel:WORD_1
	v_add_u16_e32 v4, 0xf000, v4
	v_add_u16_e32 v2, 0xf000, v2
	v_perm_b32 v2, v2, v4, s23
	v_and_b32_e32 v4, 0x1f00, v123
	v_lshlrev_b16_e32 v123, 8, v123
	v_add_u16_e32 v123, 0xf000, v123
	v_or_b32_sdwa v4, v4, v123 dst_sel:DWORD dst_unused:UNUSED_PAD src0_sel:DWORD src1_sel:BYTE_1
	v_add_u16_e32 v4, 0xf000, v4
	v_lshl_or_b32 v2, v2, 16, v4
	s_waitcnt vmcnt(3)
	v_cvt_f32_f16_e32 v4, v127
	ds_write2_b32 v28, v3, v2 offset1:1
	s_waitcnt vmcnt(1)
	v_cvt_f32_f16_e32 v2, v130
	v_cvt_f32_f16_e32 v123, v129
	ds_write_b32 v117, v4
	ds_write_b32 v118, v123
	s_waitcnt vmcnt(0)
	v_cvt_f32_f16_e32 v1, v1
	ds_write_b32 v119, v2
	ds_write_b32 v120, v1
	s_cbranch_scc0 .LBB181_5
; %bb.7:                                ;   in Loop: Header=BB181_6 Depth=1
	v_add_u32_e32 v1, s22, v29
	v_cmp_gt_i32_e32 vcc, s9, v1
	s_and_b64 s[24:25], s[2:3], vcc
	s_and_saveexec_b64 s[4:5], s[24:25]
	s_cbranch_execz .LBB181_9
; %bb.8:                                ;   in Loop: Header=BB181_6 Depth=1
	v_add_u32_e32 v1, s22, v41
	v_mad_i64_i32 v[1:2], s[24:25], v1, 36, v[5:6]
	global_load_dword v1, v[1:2], off offset:4
	s_waitcnt vmcnt(0)
	ds_write_b32 v31, v1
.LBB181_9:                              ;   in Loop: Header=BB181_6 Depth=1
	s_or_b64 exec, exec, s[4:5]
	v_add_u32_e32 v123, s22, v0
	v_cmp_gt_i32_e32 vcc, s9, v123
	s_and_b64 s[24:25], s[16:17], vcc
	s_and_saveexec_b64 s[4:5], s[24:25]
	s_cbranch_execz .LBB181_11
; %bb.10:                               ;   in Loop: Header=BB181_6 Depth=1
	v_add_u32_e32 v1, s22, v42
	v_mad_i64_i32 v[1:2], s[24:25], v1, 36, s[6:7]
	global_load_dword v1, v[1:2], off
	s_waitcnt vmcnt(0)
	v_cvt_f32_f16_e32 v1, v1
	ds_write_b32 v33, v1
.LBB181_11:                             ;   in Loop: Header=BB181_6 Depth=1
	s_or_b64 exec, exec, s[4:5]
	s_waitcnt lgkmcnt(0)
	s_barrier
	ds_read_b128 v[1:4], v32
	ds_read2_b32 v[140:141], v34 offset1:1
	ds_read_b128 v[124:127], v30
	ds_read_b128 v[128:131], v30 offset:16
	ds_read_b128 v[132:135], v30 offset:32
	;; [unrolled: 1-line block ×3, first 2 shown]
	ds_read2_b32 v[142:143], v35 offset1:1
	ds_read2_b32 v[144:145], v34 offset0:2 offset1:3
	s_waitcnt lgkmcnt(5)
	v_dot4_i32_i8 v140, v140, v124, 0
	s_waitcnt lgkmcnt(4)
	v_dot4_i32_i8 v150, v141, v128, v140
	ds_read2_b32 v[140:141], v34 offset0:4 offset1:5
	ds_read2_b32 v[146:147], v34 offset0:6 offset1:7
	;; [unrolled: 1-line block ×3, first 2 shown]
	s_waitcnt lgkmcnt(4)
	v_mul_f32_e32 v142, v1, v142
	s_waitcnt lgkmcnt(3)
	v_dot4_i32_i8 v144, v144, v125, v150
	v_dot4_i32_i8 v144, v145, v129, v144
	s_waitcnt lgkmcnt(2)
	v_dot4_i32_i8 v140, v140, v126, v144
	v_dot4_i32_i8 v140, v141, v130, v140
	;; [unrolled: 3-line block ×3, first 2 shown]
	v_add_u32_e32 v150, 0x2080, v34
	v_cvt_f32_i32_e32 v152, v140
	ds_read2_b32 v[140:141], v34 offset0:26 offset1:27
	ds_read2_b32 v[144:145], v34 offset0:28 offset1:29
	;; [unrolled: 1-line block ×3, first 2 shown]
	ds_read2_b32 v[150:151], v150 offset1:1
	v_add_u32_e32 v158, 0x2090, v34
	v_fmac_f32_e32 v11, v142, v152
	ds_read2_b32 v[152:153], v36 offset1:1
	ds_read2_b32 v[154:155], v38 offset1:1
	ds_read2_b32 v[156:157], v38 offset0:2 offset1:3
	v_add_u32_e32 v160, 0x2098, v34
	s_waitcnt lgkmcnt(3)
	v_dot4_i32_i8 v142, v150, v124, 0
	v_add_u32_e32 v150, 0x2088, v34
	v_dot4_i32_i8 v142, v151, v128, v142
	ds_read2_b32 v[150:151], v150 offset1:1
	v_add_u32_e32 v162, 0x4100, v34
	ds_read2_b32 v[158:159], v158 offset1:1
	ds_read2_b32 v[160:161], v160 offset1:1
	;; [unrolled: 1-line block ×3, first 2 shown]
	s_waitcnt lgkmcnt(6)
	v_mul_f32_e32 v152, v1, v152
	v_add_u32_e32 v166, 0x4118, v34
	s_waitcnt lgkmcnt(3)
	v_dot4_i32_i8 v142, v150, v125, v142
	v_dot4_i32_i8 v142, v151, v129, v142
	s_waitcnt lgkmcnt(2)
	v_dot4_i32_i8 v142, v158, v126, v142
	v_dot4_i32_i8 v142, v159, v130, v142
	s_waitcnt lgkmcnt(1)
	v_dot4_i32_i8 v142, v160, v127, v142
	v_dot4_i32_i8 v142, v161, v131, v142
	v_cvt_f32_i32_e32 v142, v142
	ds_read2_b32 v[150:151], v37 offset1:1
	ds_read2_b32 v[158:159], v36 offset0:2 offset1:3
	ds_read2_b32 v[160:161], v35 offset0:2 offset1:3
	v_add_u32_e32 v168, 0x6180, v34
	s_cmp_ge_i32 s18, s15
	v_fmac_f32_e32 v112, v152, v142
	s_waitcnt lgkmcnt(3)
	v_dot4_i32_i8 v142, v162, v124, 0
	v_add_u32_e32 v152, 0x4108, v34
	v_dot4_i32_i8 v142, v163, v128, v142
	ds_read2_b32 v[162:163], v152 offset1:1
	v_add_u32_e32 v152, 0x4110, v34
	ds_read2_b32 v[164:165], v152 offset1:1
	ds_read2_b32 v[166:167], v166 offset1:1
	;; [unrolled: 1-line block ×3, first 2 shown]
	v_add_u32_e32 v152, 0x6198, v34
	s_waitcnt lgkmcnt(6)
	v_mul_f32_e32 v150, v1, v150
	s_waitcnt lgkmcnt(3)
	v_dot4_i32_i8 v142, v162, v125, v142
	v_dot4_i32_i8 v142, v163, v129, v142
	s_waitcnt lgkmcnt(0)
	v_dot4_i32_i8 v124, v168, v124, 0
	v_dot4_i32_i8 v124, v169, v128, v124
	v_add_u32_e32 v128, 0x6188, v34
	ds_read2_b32 v[162:163], v128 offset1:1
	v_dot4_i32_i8 v142, v164, v126, v142
	v_dot4_i32_i8 v142, v165, v130, v142
	;; [unrolled: 1-line block ×3, first 2 shown]
	v_add_u32_e32 v128, 0x6190, v34
	v_add_u32_e32 v168, 0x20a0, v34
	v_dot4_i32_i8 v142, v167, v131, v142
	ds_read2_b32 v[164:165], v128 offset1:1
	ds_read2_b32 v[166:167], v152 offset1:1
	;; [unrolled: 1-line block ×3, first 2 shown]
	s_waitcnt lgkmcnt(3)
	v_dot4_i32_i8 v124, v162, v125, v124
	v_dot4_i32_i8 v124, v163, v129, v124
	s_waitcnt lgkmcnt(2)
	v_dot4_i32_i8 v124, v164, v126, v124
	v_dot4_i32_i8 v124, v165, v130, v124
	;; [unrolled: 3-line block ×3, first 2 shown]
	v_cvt_f32_i32_e32 v124, v124
	v_mul_f32_e32 v1, v1, v154
	ds_read2_b32 v[162:163], v37 offset0:2 offset1:3
	v_cvt_f32_i32_e32 v142, v142
	v_fmac_f32_e32 v9, v1, v124
	ds_read2_b32 v[124:125], v34 offset0:10 offset1:11
	v_dot4_i32_i8 v1, v148, v132, 0
	v_dot4_i32_i8 v1, v149, v136, v1
	ds_read2_b32 v[126:127], v34 offset0:12 offset1:13
	ds_read2_b32 v[128:129], v34 offset0:14 offset1:15
	;; [unrolled: 1-line block ×3, first 2 shown]
	v_fmac_f32_e32 v107, v150, v142
	s_waitcnt lgkmcnt(3)
	v_dot4_i32_i8 v1, v124, v133, v1
	v_dot4_i32_i8 v124, v168, v132, 0
	;; [unrolled: 1-line block ×3, first 2 shown]
	v_add_u32_e32 v124, 0x20a8, v34
	v_dot4_i32_i8 v1, v125, v137, v1
	ds_read2_b32 v[124:125], v124 offset1:1
	s_waitcnt lgkmcnt(3)
	v_dot4_i32_i8 v1, v126, v134, v1
	v_dot4_i32_i8 v1, v127, v138, v1
	s_waitcnt lgkmcnt(2)
	v_dot4_i32_i8 v1, v128, v135, v1
	v_add_u32_e32 v126, 0x20b0, v34
	v_add_u32_e32 v128, 0x20b8, v34
	;; [unrolled: 1-line block ×3, first 2 shown]
	v_dot4_i32_i8 v1, v129, v139, v1
	ds_read2_b32 v[126:127], v126 offset1:1
	ds_read2_b32 v[128:129], v128 offset1:1
	;; [unrolled: 1-line block ×3, first 2 shown]
	s_waitcnt lgkmcnt(3)
	v_dot4_i32_i8 v124, v124, v133, v142
	v_dot4_i32_i8 v124, v125, v137, v124
	s_waitcnt lgkmcnt(2)
	v_dot4_i32_i8 v124, v126, v134, v124
	v_dot4_i32_i8 v124, v127, v138, v124
	s_waitcnt lgkmcnt(1)
	v_dot4_i32_i8 v124, v128, v135, v124
	v_cvt_f32_i32_e32 v1, v1
	v_dot4_i32_i8 v124, v129, v139, v124
	v_cvt_f32_i32_e32 v124, v124
	v_mul_f32_e32 v125, v2, v143
	v_fmac_f32_e32 v11, v125, v1
	v_mul_f32_e32 v1, v2, v153
	v_fmac_f32_e32 v112, v1, v124
	s_waitcnt lgkmcnt(0)
	v_dot4_i32_i8 v1, v130, v132, 0
	v_add_u32_e32 v124, 0x4128, v34
	v_add_u32_e32 v126, 0x4130, v34
	v_add_u32_e32 v128, 0x4138, v34
	v_add_u32_e32 v130, 0x61a0, v34
	v_dot4_i32_i8 v1, v131, v136, v1
	ds_read2_b32 v[124:125], v124 offset1:1
	ds_read2_b32 v[126:127], v126 offset1:1
	;; [unrolled: 1-line block ×4, first 2 shown]
	v_mul_f32_e32 v150, v2, v151
	s_waitcnt lgkmcnt(3)
	v_dot4_i32_i8 v1, v124, v133, v1
	s_waitcnt lgkmcnt(0)
	v_dot4_i32_i8 v124, v130, v132, 0
	v_dot4_i32_i8 v130, v131, v136, v124
	v_add_u32_e32 v124, 0x61a8, v34
	v_dot4_i32_i8 v1, v125, v137, v1
	ds_read2_b32 v[124:125], v124 offset1:1
	v_dot4_i32_i8 v1, v126, v134, v1
	v_dot4_i32_i8 v1, v127, v138, v1
	;; [unrolled: 1-line block ×3, first 2 shown]
	v_add_u32_e32 v126, 0x61b0, v34
	v_add_u32_e32 v128, 0x61b8, v34
	v_dot4_i32_i8 v1, v129, v139, v1
	v_add_u32_e32 v131, 0x20c0, v34
	ds_read2_b32 v[126:127], v126 offset1:1
	ds_read2_b32 v[128:129], v128 offset1:1
	;; [unrolled: 1-line block ×3, first 2 shown]
	s_waitcnt lgkmcnt(3)
	v_dot4_i32_i8 v124, v124, v133, v130
	v_dot4_i32_i8 v124, v125, v137, v124
	s_waitcnt lgkmcnt(2)
	v_dot4_i32_i8 v124, v126, v134, v124
	v_dot4_i32_i8 v124, v127, v138, v124
	s_waitcnt lgkmcnt(1)
	v_dot4_i32_i8 v124, v128, v135, v124
	v_cvt_f32_i32_e32 v1, v1
	v_dot4_i32_i8 v124, v129, v139, v124
	v_cvt_f32_i32_e32 v132, v124
	ds_read_b128 v[124:127], v30 offset:64
	ds_read_b128 v[128:131], v30 offset:80
	v_fmac_f32_e32 v107, v150, v1
	v_mul_f32_e32 v1, v2, v155
	v_fmac_f32_e32 v9, v1, v132
	ds_read2_b32 v[1:2], v34 offset0:18 offset1:19
	s_waitcnt lgkmcnt(2)
	v_dot4_i32_i8 v132, v148, v124, 0
	s_waitcnt lgkmcnt(1)
	v_dot4_i32_i8 v138, v149, v128, v132
	ds_read2_b32 v[132:133], v34 offset0:20 offset1:21
	ds_read2_b32 v[134:135], v34 offset0:22 offset1:23
	;; [unrolled: 1-line block ×3, first 2 shown]
	s_waitcnt lgkmcnt(3)
	v_dot4_i32_i8 v1, v1, v125, v138
	v_dot4_i32_i8 v1, v2, v129, v1
	s_waitcnt lgkmcnt(2)
	v_dot4_i32_i8 v1, v132, v126, v1
	v_dot4_i32_i8 v1, v133, v130, v1
	;; [unrolled: 3-line block ×3, first 2 shown]
	v_cvt_f32_i32_e32 v148, v1
	v_dot4_i32_i8 v1, v142, v124, 0
	v_dot4_i32_i8 v142, v143, v128, v1
	v_add_u32_e32 v1, 0x20c8, v34
	ds_read2_b32 v[1:2], v1 offset1:1
	v_add_u32_e32 v132, 0x20d0, v34
	v_add_u32_e32 v134, 0x20d8, v34
	v_add_u32_e32 v138, 0x4140, v34
	ds_read2_b32 v[132:133], v132 offset1:1
	ds_read2_b32 v[134:135], v134 offset1:1
	;; [unrolled: 1-line block ×3, first 2 shown]
	s_waitcnt lgkmcnt(3)
	v_dot4_i32_i8 v1, v1, v125, v142
	v_dot4_i32_i8 v1, v2, v129, v1
	s_waitcnt lgkmcnt(2)
	v_dot4_i32_i8 v1, v132, v126, v1
	v_dot4_i32_i8 v1, v133, v130, v1
	;; [unrolled: 3-line block ×3, first 2 shown]
	v_cvt_f32_i32_e32 v1, v1
	v_mul_f32_e32 v2, v3, v160
	v_fmac_f32_e32 v11, v2, v148
	v_mul_f32_e32 v2, v3, v158
	v_fmac_f32_e32 v112, v2, v1
	s_waitcnt lgkmcnt(0)
	v_dot4_i32_i8 v1, v138, v124, 0
	v_dot4_i32_i8 v142, v139, v128, v1
	v_add_u32_e32 v1, 0x4148, v34
	ds_read2_b32 v[1:2], v1 offset1:1
	v_add_u32_e32 v132, 0x4150, v34
	v_add_u32_e32 v134, 0x4158, v34
	;; [unrolled: 1-line block ×3, first 2 shown]
	ds_read2_b32 v[132:133], v132 offset1:1
	ds_read2_b32 v[134:135], v134 offset1:1
	;; [unrolled: 1-line block ×3, first 2 shown]
	s_waitcnt lgkmcnt(3)
	v_dot4_i32_i8 v1, v1, v125, v142
	v_dot4_i32_i8 v1, v2, v129, v1
	s_waitcnt lgkmcnt(2)
	v_dot4_i32_i8 v1, v132, v126, v1
	v_dot4_i32_i8 v1, v133, v130, v1
	;; [unrolled: 3-line block ×3, first 2 shown]
	v_cvt_f32_i32_e32 v143, v1
	s_waitcnt lgkmcnt(0)
	v_dot4_i32_i8 v1, v138, v124, 0
	v_dot4_i32_i8 v124, v139, v128, v1
	v_add_u32_e32 v1, 0x61c8, v34
	ds_read2_b32 v[1:2], v1 offset1:1
	v_add_u32_e32 v128, 0x61d0, v34
	v_add_u32_e32 v134, 0x61d8, v34
	;; [unrolled: 1-line block ×3, first 2 shown]
	ds_read2_b32 v[132:133], v128 offset1:1
	ds_read2_b32 v[134:135], v134 offset1:1
	;; [unrolled: 1-line block ×3, first 2 shown]
	s_waitcnt lgkmcnt(3)
	v_dot4_i32_i8 v1, v1, v125, v124
	v_dot4_i32_i8 v1, v2, v129, v1
	s_waitcnt lgkmcnt(2)
	v_dot4_i32_i8 v1, v132, v126, v1
	v_dot4_i32_i8 v1, v133, v130, v1
	;; [unrolled: 3-line block ×3, first 2 shown]
	v_cvt_f32_i32_e32 v1, v1
	ds_read_b128 v[124:127], v30 offset:96
	ds_read_b128 v[128:131], v30 offset:112
	v_mul_f32_e32 v2, v3, v156
	v_mul_f32_e32 v142, v3, v162
	v_fmac_f32_e32 v9, v2, v1
	s_waitcnt lgkmcnt(1)
	v_dot4_i32_i8 v1, v136, v124, 0
	s_waitcnt lgkmcnt(0)
	v_dot4_i32_i8 v1, v137, v128, v1
	v_dot4_i32_i8 v1, v140, v125, v1
	v_dot4_i32_i8 v1, v141, v129, v1
	v_dot4_i32_i8 v1, v144, v126, v1
	v_dot4_i32_i8 v1, v145, v130, v1
	v_dot4_i32_i8 v1, v146, v127, v1
	v_dot4_i32_i8 v1, v147, v131, v1
	v_cvt_f32_i32_e32 v3, v1
	v_dot4_i32_i8 v1, v138, v124, 0
	v_dot4_i32_i8 v138, v139, v128, v1
	v_add_u32_e32 v1, 0x20e8, v34
	ds_read2_b32 v[1:2], v1 offset1:1
	v_add_u32_e32 v132, 0x20f0, v34
	v_add_u32_e32 v134, 0x20f8, v34
	v_add_u32_e32 v136, 0x4160, v34
	ds_read2_b32 v[132:133], v132 offset1:1
	ds_read2_b32 v[134:135], v134 offset1:1
	;; [unrolled: 1-line block ×3, first 2 shown]
	s_waitcnt lgkmcnt(3)
	v_dot4_i32_i8 v1, v1, v125, v138
	v_dot4_i32_i8 v1, v2, v129, v1
	s_waitcnt lgkmcnt(2)
	v_dot4_i32_i8 v1, v132, v126, v1
	v_dot4_i32_i8 v1, v133, v130, v1
	;; [unrolled: 3-line block ×3, first 2 shown]
	v_cvt_f32_i32_e32 v1, v1
	v_mul_f32_e32 v2, v4, v161
	v_fmac_f32_e32 v11, v2, v3
	v_mul_f32_e32 v2, v4, v159
	v_fmac_f32_e32 v112, v2, v1
	s_waitcnt lgkmcnt(0)
	v_dot4_i32_i8 v1, v136, v124, 0
	v_dot4_i32_i8 v3, v137, v128, v1
	v_add_u32_e32 v1, 0x4168, v34
	ds_read2_b32 v[1:2], v1 offset1:1
	v_add_u32_e32 v132, 0x4170, v34
	v_add_u32_e32 v134, 0x4178, v34
	;; [unrolled: 1-line block ×3, first 2 shown]
	ds_read2_b32 v[132:133], v132 offset1:1
	ds_read2_b32 v[134:135], v134 offset1:1
	;; [unrolled: 1-line block ×3, first 2 shown]
	s_waitcnt lgkmcnt(3)
	v_dot4_i32_i8 v1, v1, v125, v3
	v_dot4_i32_i8 v1, v2, v129, v1
	s_waitcnt lgkmcnt(2)
	v_dot4_i32_i8 v1, v132, v126, v1
	v_dot4_i32_i8 v1, v133, v130, v1
	;; [unrolled: 3-line block ×3, first 2 shown]
	v_cvt_f32_i32_e32 v3, v1
	s_waitcnt lgkmcnt(0)
	v_dot4_i32_i8 v1, v136, v124, 0
	v_dot4_i32_i8 v124, v137, v128, v1
	v_add_u32_e32 v1, 0x61e8, v34
	ds_read2_b32 v[1:2], v1 offset1:1
	v_add_u32_e32 v128, 0x61f0, v34
	ds_read2_b32 v[132:133], v128 offset1:1
	;; [unrolled: 2-line block ×3, first 2 shown]
	s_waitcnt lgkmcnt(2)
	v_dot4_i32_i8 v1, v1, v125, v124
	v_dot4_i32_i8 v1, v2, v129, v1
	s_waitcnt lgkmcnt(1)
	v_dot4_i32_i8 v1, v132, v126, v1
	v_dot4_i32_i8 v1, v133, v130, v1
	;; [unrolled: 3-line block ×3, first 2 shown]
	v_cvt_f32_i32_e32 v1, v1
	v_fmac_f32_e32 v107, v142, v143
	v_mul_f32_e32 v2, v4, v163
	v_fmac_f32_e32 v107, v2, v3
	v_mul_f32_e32 v2, v4, v157
	v_fmac_f32_e32 v9, v2, v1
	s_barrier
	s_cbranch_scc1 .LBB181_5
; %bb.12:                               ;   in Loop: Header=BB181_6 Depth=1
	v_add_u32_e32 v1, s22, v39
	v_cmp_gt_i32_e32 vcc, s9, v1
	s_and_b64 s[24:25], s[2:3], vcc
	s_and_saveexec_b64 s[4:5], s[24:25]
	s_cbranch_execz .LBB181_14
; %bb.13:                               ;   in Loop: Header=BB181_6 Depth=1
	v_add_u32_e32 v1, s22, v40
	v_mad_i64_i32 v[1:2], s[24:25], v1, 36, v[5:6]
	global_load_dword v1, v[1:2], off offset:4
	s_waitcnt vmcnt(0)
	ds_write_b32 v31, v1
.LBB181_14:                             ;   in Loop: Header=BB181_6 Depth=1
	s_or_b64 exec, exec, s[4:5]
	s_and_saveexec_b64 s[4:5], s[0:1]
	s_cbranch_execz .LBB181_4
; %bb.15:                               ;   in Loop: Header=BB181_6 Depth=1
	v_add_u32_e32 v1, 4, v123
	v_cmp_gt_i32_e32 vcc, s9, v1
	s_and_b64 s[24:25], s[2:3], vcc
	s_and_b64 exec, exec, s[24:25]
	s_cbranch_execz .LBB181_4
; %bb.16:                               ;   in Loop: Header=BB181_6 Depth=1
	global_load_dword v1, v[7:8], off
	s_waitcnt vmcnt(0)
	v_cvt_f32_f16_e32 v1, v1
	ds_write_b32 v33, v1
	s_branch .LBB181_4
.LBB181_17:
	s_mul_i32 s0, s11, s8
	s_waitcnt vmcnt(0)
	v_cmp_gt_i32_e32 vcc, s0, v10
	s_and_saveexec_b64 s[0:1], vcc
	s_cbranch_execz .LBB181_26
; %bb.18:
	v_mul_lo_u32 v1, v10, s10
	v_add_u32_e32 v0, s20, v0
	v_cmp_gt_u32_e32 vcc, s10, v0
	s_and_saveexec_b64 s[0:1], vcc
	s_cbranch_execz .LBB181_20
; %bb.19:
	v_add_u32_e32 v2, v1, v0
	v_mov_b32_e32 v3, 0
	v_lshlrev_b64 v[2:3], 2, v[2:3]
	v_mov_b32_e32 v4, s13
	v_add_co_u32_e32 v2, vcc, s12, v2
	v_addc_co_u32_e32 v3, vcc, v4, v3, vcc
	global_store_dword v[2:3], v11, off
.LBB181_20:
	s_or_b64 exec, exec, s[0:1]
	v_add_u32_e32 v2, 32, v0
	v_cmp_gt_u32_e32 vcc, s10, v2
	s_and_saveexec_b64 s[0:1], vcc
	s_cbranch_execz .LBB181_22
; %bb.21:
	v_add_u32_e32 v2, v1, v2
	v_mov_b32_e32 v3, 0
	v_lshlrev_b64 v[2:3], 2, v[2:3]
	v_mov_b32_e32 v4, s13
	v_add_co_u32_e32 v2, vcc, s12, v2
	v_addc_co_u32_e32 v3, vcc, v4, v3, vcc
	global_store_dword v[2:3], v112, off
.LBB181_22:
	s_or_b64 exec, exec, s[0:1]
	;; [unrolled: 14-line block ×3, first 2 shown]
	v_add_u32_e32 v0, 0x60, v0
	v_cmp_gt_u32_e32 vcc, s10, v0
	s_and_b64 exec, exec, vcc
	s_cbranch_execz .LBB181_26
; %bb.25:
	v_add_u32_e32 v0, v1, v0
	v_mov_b32_e32 v1, 0
	v_lshlrev_b64 v[0:1], 2, v[0:1]
	v_mov_b32_e32 v2, s13
	v_add_co_u32_e32 v0, vcc, s12, v0
	v_addc_co_u32_e32 v1, vcc, v2, v1, vcc
	global_store_dword v[0:1], v9, off
.LBB181_26:
	s_endpgm
	.section	.rodata,"a",@progbits
	.p2align	6, 0x0
	.amdhsa_kernel _ZL8moe_q5_0IfLb0EEvPKvS1_PT_PKiS5_S5_iiiiiii
		.amdhsa_group_segment_fixed_size 38656
		.amdhsa_private_segment_fixed_size 0
		.amdhsa_kernarg_size 76
		.amdhsa_user_sgpr_count 6
		.amdhsa_user_sgpr_private_segment_buffer 1
		.amdhsa_user_sgpr_dispatch_ptr 0
		.amdhsa_user_sgpr_queue_ptr 0
		.amdhsa_user_sgpr_kernarg_segment_ptr 1
		.amdhsa_user_sgpr_dispatch_id 0
		.amdhsa_user_sgpr_flat_scratch_init 0
		.amdhsa_user_sgpr_private_segment_size 0
		.amdhsa_uses_dynamic_stack 0
		.amdhsa_system_sgpr_private_segment_wavefront_offset 0
		.amdhsa_system_sgpr_workgroup_id_x 1
		.amdhsa_system_sgpr_workgroup_id_y 1
		.amdhsa_system_sgpr_workgroup_id_z 0
		.amdhsa_system_sgpr_workgroup_info 0
		.amdhsa_system_vgpr_workitem_id 1
		.amdhsa_next_free_vgpr 170
		.amdhsa_next_free_sgpr 98
		.amdhsa_reserve_vcc 1
		.amdhsa_reserve_flat_scratch 0
		.amdhsa_float_round_mode_32 0
		.amdhsa_float_round_mode_16_64 0
		.amdhsa_float_denorm_mode_32 3
		.amdhsa_float_denorm_mode_16_64 3
		.amdhsa_dx10_clamp 1
		.amdhsa_ieee_mode 1
		.amdhsa_fp16_overflow 0
		.amdhsa_exception_fp_ieee_invalid_op 0
		.amdhsa_exception_fp_denorm_src 0
		.amdhsa_exception_fp_ieee_div_zero 0
		.amdhsa_exception_fp_ieee_overflow 0
		.amdhsa_exception_fp_ieee_underflow 0
		.amdhsa_exception_fp_ieee_inexact 0
		.amdhsa_exception_int_div_zero 0
	.end_amdhsa_kernel
	.section	.text._ZL8moe_q5_0IfLb0EEvPKvS1_PT_PKiS5_S5_iiiiiii,"axG",@progbits,_ZL8moe_q5_0IfLb0EEvPKvS1_PT_PKiS5_S5_iiiiiii,comdat
.Lfunc_end181:
	.size	_ZL8moe_q5_0IfLb0EEvPKvS1_PT_PKiS5_S5_iiiiiii, .Lfunc_end181-_ZL8moe_q5_0IfLb0EEvPKvS1_PT_PKiS5_S5_iiiiiii
                                        ; -- End function
	.set _ZL8moe_q5_0IfLb0EEvPKvS1_PT_PKiS5_S5_iiiiiii.num_vgpr, 170
	.set _ZL8moe_q5_0IfLb0EEvPKvS1_PT_PKiS5_S5_iiiiiii.num_agpr, 0
	.set _ZL8moe_q5_0IfLb0EEvPKvS1_PT_PKiS5_S5_iiiiiii.numbered_sgpr, 28
	.set _ZL8moe_q5_0IfLb0EEvPKvS1_PT_PKiS5_S5_iiiiiii.num_named_barrier, 0
	.set _ZL8moe_q5_0IfLb0EEvPKvS1_PT_PKiS5_S5_iiiiiii.private_seg_size, 0
	.set _ZL8moe_q5_0IfLb0EEvPKvS1_PT_PKiS5_S5_iiiiiii.uses_vcc, 1
	.set _ZL8moe_q5_0IfLb0EEvPKvS1_PT_PKiS5_S5_iiiiiii.uses_flat_scratch, 0
	.set _ZL8moe_q5_0IfLb0EEvPKvS1_PT_PKiS5_S5_iiiiiii.has_dyn_sized_stack, 0
	.set _ZL8moe_q5_0IfLb0EEvPKvS1_PT_PKiS5_S5_iiiiiii.has_recursion, 0
	.set _ZL8moe_q5_0IfLb0EEvPKvS1_PT_PKiS5_S5_iiiiiii.has_indirect_call, 0
	.section	.AMDGPU.csdata,"",@progbits
; Kernel info:
; codeLenInByte = 13960
; TotalNumSgprs: 32
; NumVgprs: 170
; ScratchSize: 0
; MemoryBound: 0
; FloatMode: 240
; IeeeMode: 1
; LDSByteSize: 38656 bytes/workgroup (compile time only)
; SGPRBlocks: 12
; VGPRBlocks: 42
; NumSGPRsForWavesPerEU: 102
; NumVGPRsForWavesPerEU: 170
; Occupancy: 1
; WaveLimiterHint : 1
; COMPUTE_PGM_RSRC2:SCRATCH_EN: 0
; COMPUTE_PGM_RSRC2:USER_SGPR: 6
; COMPUTE_PGM_RSRC2:TRAP_HANDLER: 0
; COMPUTE_PGM_RSRC2:TGID_X_EN: 1
; COMPUTE_PGM_RSRC2:TGID_Y_EN: 1
; COMPUTE_PGM_RSRC2:TGID_Z_EN: 0
; COMPUTE_PGM_RSRC2:TIDIG_COMP_CNT: 1
	.section	.text._ZL8moe_q5_0IfLb1EEvPKvS1_PT_PKiS5_S5_iiiiiii,"axG",@progbits,_ZL8moe_q5_0IfLb1EEvPKvS1_PT_PKiS5_S5_iiiiiii,comdat
	.globl	_ZL8moe_q5_0IfLb1EEvPKvS1_PT_PKiS5_S5_iiiiiii ; -- Begin function _ZL8moe_q5_0IfLb1EEvPKvS1_PT_PKiS5_S5_iiiiiii
	.p2align	8
	.type	_ZL8moe_q5_0IfLb1EEvPKvS1_PT_PKiS5_S5_iiiiiii,@function
_ZL8moe_q5_0IfLb1EEvPKvS1_PT_PKiS5_S5_iiiiiii: ; @_ZL8moe_q5_0IfLb1EEvPKvS1_PT_PKiS5_S5_iiiiiii
; %bb.0:
	s_load_dwordx4 s[0:3], s[4:5], 0x18
	s_mov_b32 s8, s7
	s_mov_b32 s9, 0
	s_lshl_b64 s[10:11], s[8:9], 2
	s_waitcnt lgkmcnt(0)
	s_add_u32 s2, s2, s10
	s_addc_u32 s3, s3, s11
	s_load_dword s2, s[2:3], 0x0
	s_waitcnt lgkmcnt(0)
	s_cmpk_gt_u32 s2, 0xff
	s_cbranch_scc1 .LBB182_26
; %bb.1:
	s_load_dwordx2 s[10:11], s[4:5], 0x28
	s_lshl_b32 s3, s8, 3
	s_waitcnt lgkmcnt(0)
	s_load_dword s7, s[10:11], 0x0
	s_waitcnt lgkmcnt(0)
	s_cmp_gt_u32 s3, s7
	s_cbranch_scc1 .LBB182_26
; %bb.2:
	v_add_u32_e32 v24, s3, v1
	v_mov_b32_e32 v25, 0
	v_lshlrev_b64 v[2:3], 2, v[24:25]
	v_mov_b32_e32 v4, s1
	v_add_co_u32_e32 v2, vcc, s0, v2
	v_addc_co_u32_e32 v3, vcc, v4, v3, vcc
	global_load_dword v26, v[2:3], off
	s_load_dwordx8 s[8:15], s[4:5], 0x30
	s_load_dwordx2 s[16:17], s[4:5], 0x10
	s_waitcnt lgkmcnt(0)
	s_lshl_b32 s15, s6, 7
	v_mov_b32_e32 v107, v25
	v_mov_b32_e32 v112, v25
	s_cmp_lt_i32 s9, 32
	v_mov_b32_e32 v27, v25
	s_cbranch_scc1 .LBB182_17
; %bb.3:
	s_ashr_i32 s0, s9, 31
	s_lshr_b32 s0, s0, 27
	s_add_i32 s0, s9, s0
	s_ashr_i32 s22, s0, 5
	s_ashr_i32 s0, s12, 31
	s_lshr_b32 s0, s0, 27
	s_add_i32 s0, s12, s0
	s_ashr_i32 s12, s0, 5
	s_not_b32 s0, s15
	s_mul_i32 s8, s2, s8
	s_add_i32 s2, s10, s0
	v_min_i32_e32 v3, s2, v1
	v_lshlrev_b32_e32 v2, 3, v0
	s_movk_i32 s3, 0x104
	v_mul_lo_u32 v43, v3, s22
	v_mad_u64_u32 v[5:6], s[0:1], v3, s3, v[2:3]
	v_add_u32_e32 v3, 8, v1
	v_min_i32_e32 v3, s2, v3
	v_mul_lo_u32 v47, v3, s22
	v_mad_u64_u32 v[6:7], s[0:1], v3, s3, v[2:3]
	v_add_u32_e32 v3, 16, v1
	v_min_i32_e32 v3, s2, v3
	;; [unrolled: 4-line block ×15, first 2 shown]
	v_mad_u64_u32 v[20:21], s[0:1], v3, s3, v[2:3]
	v_lshrrev_b32_e32 v29, 3, v0
	v_lshl_add_u32 v21, v1, 2, v29
	v_add_u32_e32 v4, 32, v21
	v_min_i32_e32 v24, s2, v4
	v_ashrrev_i32_e32 v4, 31, v24
	v_lshrrev_b32_e32 v4, 30, v4
	v_mul_lo_u32 v111, v24, s22
	v_add_u32_e32 v4, v24, v4
	v_lshlrev_b32_e32 v25, 5, v24
	v_add_u32_e32 v24, 64, v21
	v_min_i32_e32 v24, s2, v24
	v_mul_lo_u32 v105, v3, s22
	v_min_i32_e32 v3, s2, v21
	v_ashrrev_i32_e32 v30, 31, v24
	v_add_u32_e32 v21, 0x60, v21
	v_lshrrev_b32_e32 v30, 30, v30
	v_min_i32_e32 v21, s2, v21
	v_mul_lo_u32 v113, v24, s22
	v_add_u32_e32 v30, v24, v30
	v_lshlrev_b32_e32 v112, 5, v24
	v_ashrrev_i32_e32 v24, 31, v21
	v_lshrrev_b32_e32 v24, 30, v24
	v_and_b32_e32 v110, 7, v0
	v_add_u32_e32 v24, v21, v24
	v_lshlrev_b32_e32 v23, 2, v110
	s_mov_b32 s3, 0x8200
	v_and_b32_e32 v24, -4, v24
	v_and_b32_e32 v30, -4, v30
	v_add3_u32 v120, v24, v23, s3
	v_mov_b32_e32 v24, 0x9280
	v_add3_u32 v107, v30, v23, s3
	v_mul_lo_u32 v115, v21, s22
	v_lshlrev_b32_e32 v121, 5, v21
	v_and_b32_e32 v21, 31, v0
	v_lshl_add_u32 v30, v1, 7, v24
	v_lshl_or_b32 v31, v21, 2, v30
	v_mov_b32_e32 v21, 0x9680
	s_abs_i32 s2, s14
	v_lshl_add_u32 v32, v1, 4, v21
	v_cvt_f32_u32_e32 v21, s2
	v_ashrrev_i32_e32 v2, 31, v3
	v_lshrrev_b32_e32 v2, 30, v2
	v_add_u32_e32 v2, v3, v2
	v_rcp_iflag_f32_e32 v21, v21
	v_lshlrev_b32_e32 v22, 2, v0
	v_and_b32_e32 v2, -4, v2
	v_and_b32_e32 v4, -4, v4
	v_mul_f32_e32 v21, 0x4f7ffffe, v21
	v_cvt_u32_f32_e32 v21, v21
	v_and_b32_e32 v28, 12, v22
	v_add3_u32 v2, v2, v23, s3
	v_add3_u32 v4, v4, v23, s3
	v_and_b32_e32 v23, 28, v22
	v_add_u32_e32 v33, v32, v22
	v_and_b32_e32 v1, 0xfc, v0
	v_lshlrev_b32_e32 v22, 5, v0
	s_sub_i32 s10, 0, s2
	v_add3_u32 v35, v22, v1, s3
	v_add_u32_e32 v1, 32, v0
	v_mul_lo_u32 v38, s10, v21
	v_and_b32_e32 v22, 0x1fc, v1
	v_lshlrev_b32_e32 v24, 5, v1
	v_add3_u32 v36, v24, v22, s3
	v_add_u32_e32 v22, 64, v0
	v_and_b32_e32 v24, 0x1fc, v22
	v_lshlrev_b32_e32 v22, 5, v22
	v_add3_u32 v37, v22, v24, s3
	v_mul_hi_u32 v24, v21, v38
	s_waitcnt vmcnt(0)
	v_sub_u32_e32 v39, 0, v26
	v_max_i32_e32 v40, v26, v39
	v_lshrrev_b32_e32 v39, 3, v1
	v_add_u32_e32 v21, v21, v24
	v_mul_hi_u32 v21, v40, v21
	v_add_u32_e32 v22, 0x60, v0
	v_and_b32_e32 v38, 0x1fc, v22
	v_lshlrev_b32_e32 v22, 5, v22
	v_mul_lo_u32 v1, v21, s2
	v_add_u32_e32 v24, 1, v21
	v_add3_u32 v38, v22, v38, s3
	v_xor_b32_e32 v22, s14, v26
	v_sub_u32_e32 v1, v40, v1
	v_cmp_le_u32_e32 vcc, s2, v1
	v_cndmask_b32_e32 v21, v21, v24, vcc
	v_subrev_u32_e32 v24, s2, v1
	v_cndmask_b32_e32 v1, v1, v24, vcc
	v_add_u32_e32 v24, 1, v21
	v_cmp_le_u32_e32 vcc, s2, v1
	s_load_dwordx4 s[4:7], s[4:5], 0x0
	v_ashrrev_i32_e32 v22, 31, v22
	v_cndmask_b32_e32 v1, v21, v24, vcc
	v_xor_b32_e32 v1, v1, v22
	v_sub_u32_e32 v1, v1, v22
	v_cmp_gt_i32_e64 s[2:3], s11, v1
	v_mul_lo_u32 v1, v1, s12
	s_mul_i32 s20, s22, s15
	v_lshrrev_b32_e32 v42, 2, v0
	s_waitcnt lgkmcnt(0)
	v_mov_b32_e32 v22, s7
	v_add_co_u32_e32 v21, vcc, s6, v23
	s_mul_hi_i32 s21, s20, 22
	s_mul_i32 s20, s20, 22
	v_addc_co_u32_e32 v22, vcc, 0, v22, vcc
	v_mad_u64_u32 v[101:102], s[24:25], v42, 22, s[20:21]
	v_ashrrev_i32_e32 v23, 31, v1
	v_add_co_u32_e32 v24, vcc, v1, v0
	v_addc_co_u32_e32 v44, vcc, 0, v23, vcc
	v_mad_u64_u32 v[23:24], s[24:25], v24, 36, s[6:7]
	v_mad_i64_i32 v[45:46], s[24:25], v43, 22, v[101:102]
	s_movk_i32 s26, 0x90
	v_mad_i32_i24 v24, v44, 36, v24
	v_add_co_u32_e32 v23, vcc, s26, v23
	v_addc_co_u32_e32 v24, vcc, 0, v24, vcc
	v_add_u32_e32 v40, v39, v1
	v_add_u32_e32 v41, v29, v1
	;; [unrolled: 1-line block ×3, first 2 shown]
	v_add_co_u32_e32 v1, vcc, v45, v28
	v_addc_co_u32_e32 v43, vcc, 0, v46, vcc
	v_mov_b32_e32 v44, s5
	v_add_co_u32_e32 v1, vcc, s4, v1
	v_addc_co_u32_e32 v44, vcc, v44, v43, vcc
	v_add_co_u32_e32 v43, vcc, 6, v1
	v_mad_i64_i32 v[49:50], s[24:25], v47, 22, v[101:102]
	v_addc_co_u32_e32 v44, vcc, 0, v44, vcc
	v_mov_b32_e32 v1, s5
	v_add_co_u32_e32 v45, vcc, s4, v45
	v_addc_co_u32_e32 v46, vcc, v1, v46, vcc
	v_add_co_u32_e32 v1, vcc, v49, v28
	v_addc_co_u32_e32 v47, vcc, 0, v50, vcc
	v_mov_b32_e32 v48, s5
	v_add_co_u32_e32 v1, vcc, s4, v1
	v_addc_co_u32_e32 v48, vcc, v48, v47, vcc
	v_add_co_u32_e32 v47, vcc, 6, v1
	v_addc_co_u32_e32 v48, vcc, 0, v48, vcc
	v_mov_b32_e32 v1, s5
	v_add_co_u32_e32 v49, vcc, s4, v49
	v_mad_i64_i32 v[53:54], s[24:25], v51, 22, v[101:102]
	v_addc_co_u32_e32 v1, vcc, v1, v50, vcc
	v_add_co_u32_e32 v49, vcc, 2, v49
	v_addc_co_u32_e32 v50, vcc, 0, v1, vcc
	v_add_co_u32_e32 v1, vcc, v53, v28
	v_addc_co_u32_e32 v51, vcc, 0, v54, vcc
	v_mov_b32_e32 v52, s5
	v_add_co_u32_e32 v1, vcc, s4, v1
	v_addc_co_u32_e32 v52, vcc, v52, v51, vcc
	v_add_co_u32_e32 v51, vcc, 6, v1
	v_addc_co_u32_e32 v52, vcc, 0, v52, vcc
	v_mov_b32_e32 v1, s5
	v_add_co_u32_e32 v53, vcc, s4, v53
	v_mad_i64_i32 v[57:58], s[24:25], v55, 22, v[101:102]
	v_addc_co_u32_e32 v1, vcc, v1, v54, vcc
	;; [unrolled: 13-line block ×14, first 2 shown]
	v_add_co_u32_e32 v101, vcc, 2, v103
	v_addc_co_u32_e32 v102, vcc, 0, v1, vcc
	v_add_co_u32_e32 v1, vcc, v105, v28
	v_addc_co_u32_e32 v103, vcc, 0, v106, vcc
	v_mul_lo_u32 v108, v3, s22
	v_mov_b32_e32 v104, s5
	v_add_co_u32_e32 v1, vcc, s4, v1
	v_addc_co_u32_e32 v104, vcc, v104, v103, vcc
	v_add_co_u32_e32 v103, vcc, 6, v1
	v_addc_co_u32_e32 v104, vcc, 0, v104, vcc
	v_mov_b32_e32 v1, s5
	v_add_co_u32_e32 v105, vcc, s4, v105
	v_mad_i64_i32 v[108:109], s[24:25], v108, 22, 0
	v_addc_co_u32_e32 v1, vcc, v1, v106, vcc
	v_add_co_u32_e32 v105, vcc, 2, v105
	v_addc_co_u32_e32 v106, vcc, 0, v1, vcc
	v_mov_b32_e32 v1, s21
	v_add_co_u32_e32 v108, vcc, s20, v108
	v_addc_co_u32_e32 v1, vcc, v1, v109, vcc
	v_mul_u32_u24_e32 v118, 22, v110
	v_mul_hi_u32_u24_e32 v117, 22, v110
	v_add_co_u32_e32 v108, vcc, v108, v118
	v_mad_i64_i32 v[110:111], s[24:25], v111, 22, 0
	v_addc_co_u32_e32 v1, vcc, v1, v117, vcc
	v_mov_b32_e32 v109, s5
	v_add_co_u32_e32 v108, vcc, s4, v108
	v_addc_co_u32_e32 v109, vcc, v109, v1, vcc
	v_mov_b32_e32 v1, s21
	v_add_co_u32_e32 v110, vcc, s20, v110
	v_addc_co_u32_e32 v1, vcc, v1, v111, vcc
	v_add_co_u32_e32 v110, vcc, v110, v118
	v_mad_i64_i32 v[113:114], s[24:25], v113, 22, 0
	v_addc_co_u32_e32 v1, vcc, v1, v117, vcc
	v_mov_b32_e32 v111, s5
	v_add_co_u32_e32 v110, vcc, s4, v110
	v_addc_co_u32_e32 v111, vcc, v111, v1, vcc
	v_mov_b32_e32 v1, s21
	v_add_co_u32_e32 v113, vcc, s20, v113
	v_addc_co_u32_e32 v1, vcc, v1, v114, vcc
	;; [unrolled: 9-line block ×3, first 2 shown]
	v_add_co_u32_e32 v115, vcc, v115, v118
	v_addc_co_u32_e32 v1, vcc, v1, v117, vcc
	v_lshlrev_b32_e32 v3, 5, v3
	v_cmp_gt_u32_e64 s[0:1], 4, v0
	v_mov_b32_e32 v116, s5
	v_add_co_u32_e32 v115, vcc, s4, v115
	s_ashr_i32 s23, s8, 31
	v_mov_b32_e32 v27, 0
	v_mul_u32_u24_e32 v34, 0x104, v0
	s_mov_b32 s10, 0
	s_and_b64 s[18:19], s[0:1], s[2:3]
	v_addc_co_u32_e32 v116, vcc, v116, v1, vcc
	s_movk_i32 s20, 0x80
	s_movk_i32 s21, 0x1f00
	s_mov_b32 s24, 0xc0c0105
	v_add_u32_e32 v117, v2, v3
	v_add_u32_e32 v118, v4, v25
	;; [unrolled: 1-line block ×4, first 2 shown]
	v_mov_b32_e32 v121, 8
	v_mov_b32_e32 v112, 0
	;; [unrolled: 1-line block ×4, first 2 shown]
	s_branch .LBB182_6
.LBB182_4:                              ;   in Loop: Header=BB182_6 Depth=1
	s_or_b64 exec, exec, s[4:5]
	s_waitcnt lgkmcnt(0)
	s_barrier
	ds_read_b128 v[1:4], v32
	ds_read2_b32 v[138:139], v34 offset0:32 offset1:33
	ds_read_b128 v[122:125], v30
	ds_read_b128 v[126:129], v30 offset:16
	ds_read_b128 v[130:133], v30 offset:32
	;; [unrolled: 1-line block ×3, first 2 shown]
	ds_read2_b32 v[140:141], v35 offset0:4 offset1:5
	ds_read2_b32 v[142:143], v34 offset0:34 offset1:35
	s_waitcnt lgkmcnt(5)
	v_dot4_i32_i8 v138, v138, v122, 0
	s_waitcnt lgkmcnt(4)
	v_dot4_i32_i8 v148, v139, v126, v138
	ds_read2_b32 v[138:139], v34 offset0:36 offset1:37
	ds_read2_b32 v[144:145], v34 offset0:38 offset1:39
	;; [unrolled: 1-line block ×3, first 2 shown]
	s_waitcnt lgkmcnt(4)
	v_mul_f32_e32 v140, v1, v140
	s_waitcnt lgkmcnt(3)
	v_dot4_i32_i8 v142, v142, v123, v148
	v_dot4_i32_i8 v142, v143, v127, v142
	s_waitcnt lgkmcnt(2)
	v_dot4_i32_i8 v138, v138, v124, v142
	v_dot4_i32_i8 v138, v139, v128, v138
	;; [unrolled: 3-line block ×3, first 2 shown]
	v_add_u32_e32 v148, 0x2100, v34
	v_cvt_f32_i32_e32 v150, v138
	ds_read2_b32 v[138:139], v34 offset0:58 offset1:59
	ds_read2_b32 v[142:143], v34 offset0:60 offset1:61
	;; [unrolled: 1-line block ×3, first 2 shown]
	ds_read2_b32 v[148:149], v148 offset1:1
	v_add_u32_e32 v156, 0x2110, v34
	v_fmac_f32_e32 v27, v140, v150
	ds_read2_b32 v[150:151], v36 offset0:4 offset1:5
	ds_read2_b32 v[152:153], v38 offset0:4 offset1:5
	;; [unrolled: 1-line block ×3, first 2 shown]
	v_add_u32_e32 v158, 0x2118, v34
	s_waitcnt lgkmcnt(3)
	v_dot4_i32_i8 v140, v148, v122, 0
	v_add_u32_e32 v148, 0x2108, v34
	v_dot4_i32_i8 v140, v149, v126, v140
	ds_read2_b32 v[148:149], v148 offset1:1
	v_add_u32_e32 v160, 0x4180, v34
	ds_read2_b32 v[156:157], v156 offset1:1
	ds_read2_b32 v[158:159], v158 offset1:1
	;; [unrolled: 1-line block ×3, first 2 shown]
	s_waitcnt lgkmcnt(6)
	v_mul_f32_e32 v150, v1, v150
	v_add_u32_e32 v164, 0x4198, v34
	s_waitcnt lgkmcnt(3)
	v_dot4_i32_i8 v140, v148, v123, v140
	v_dot4_i32_i8 v140, v149, v127, v140
	s_waitcnt lgkmcnt(2)
	v_dot4_i32_i8 v140, v156, v124, v140
	v_dot4_i32_i8 v140, v157, v128, v140
	;; [unrolled: 3-line block ×3, first 2 shown]
	v_cvt_f32_i32_e32 v140, v140
	ds_read2_b32 v[148:149], v37 offset0:4 offset1:5
	ds_read2_b32 v[156:157], v36 offset0:6 offset1:7
	;; [unrolled: 1-line block ×3, first 2 shown]
	v_add_u32_e32 v166, 0x6200, v34
	v_fmac_f32_e32 v112, v150, v140
	s_waitcnt lgkmcnt(3)
	v_dot4_i32_i8 v140, v160, v122, 0
	v_add_u32_e32 v150, 0x4188, v34
	v_dot4_i32_i8 v140, v161, v126, v140
	ds_read2_b32 v[160:161], v150 offset1:1
	v_add_u32_e32 v150, 0x4190, v34
	ds_read2_b32 v[162:163], v150 offset1:1
	ds_read2_b32 v[164:165], v164 offset1:1
	;; [unrolled: 1-line block ×3, first 2 shown]
	v_add_u32_e32 v150, 0x6218, v34
	s_waitcnt lgkmcnt(6)
	v_mul_f32_e32 v148, v1, v148
	s_waitcnt lgkmcnt(3)
	v_dot4_i32_i8 v140, v160, v123, v140
	v_dot4_i32_i8 v140, v161, v127, v140
	s_waitcnt lgkmcnt(0)
	v_dot4_i32_i8 v122, v166, v122, 0
	v_dot4_i32_i8 v122, v167, v126, v122
	v_add_u32_e32 v126, 0x6208, v34
	ds_read2_b32 v[160:161], v126 offset1:1
	v_dot4_i32_i8 v140, v162, v124, v140
	v_dot4_i32_i8 v140, v163, v128, v140
	;; [unrolled: 1-line block ×3, first 2 shown]
	v_add_u32_e32 v126, 0x6210, v34
	v_add_u32_e32 v166, 0x2120, v34
	v_dot4_i32_i8 v140, v165, v129, v140
	ds_read2_b32 v[162:163], v126 offset1:1
	ds_read2_b32 v[164:165], v150 offset1:1
	;; [unrolled: 1-line block ×3, first 2 shown]
	s_waitcnt lgkmcnt(3)
	v_dot4_i32_i8 v122, v160, v123, v122
	v_dot4_i32_i8 v122, v161, v127, v122
	s_waitcnt lgkmcnt(2)
	v_dot4_i32_i8 v122, v162, v124, v122
	v_dot4_i32_i8 v122, v163, v128, v122
	;; [unrolled: 3-line block ×3, first 2 shown]
	v_cvt_f32_i32_e32 v122, v122
	v_mul_f32_e32 v1, v1, v152
	ds_read2_b32 v[160:161], v37 offset0:6 offset1:7
	v_cvt_f32_i32_e32 v140, v140
	v_fmac_f32_e32 v25, v1, v122
	ds_read2_b32 v[122:123], v34 offset0:42 offset1:43
	v_dot4_i32_i8 v1, v146, v130, 0
	v_dot4_i32_i8 v1, v147, v134, v1
	ds_read2_b32 v[124:125], v34 offset0:44 offset1:45
	ds_read2_b32 v[126:127], v34 offset0:46 offset1:47
	;; [unrolled: 1-line block ×3, first 2 shown]
	v_fmac_f32_e32 v107, v148, v140
	s_waitcnt lgkmcnt(3)
	v_dot4_i32_i8 v1, v122, v131, v1
	v_dot4_i32_i8 v122, v166, v130, 0
	;; [unrolled: 1-line block ×3, first 2 shown]
	v_add_u32_e32 v122, 0x2128, v34
	v_dot4_i32_i8 v1, v123, v135, v1
	ds_read2_b32 v[122:123], v122 offset1:1
	s_waitcnt lgkmcnt(3)
	v_dot4_i32_i8 v1, v124, v132, v1
	v_dot4_i32_i8 v1, v125, v136, v1
	s_waitcnt lgkmcnt(2)
	v_dot4_i32_i8 v1, v126, v133, v1
	v_add_u32_e32 v124, 0x2130, v34
	v_add_u32_e32 v126, 0x2138, v34
	;; [unrolled: 1-line block ×3, first 2 shown]
	v_dot4_i32_i8 v1, v127, v137, v1
	ds_read2_b32 v[124:125], v124 offset1:1
	ds_read2_b32 v[126:127], v126 offset1:1
	ds_read2_b32 v[128:129], v128 offset1:1
	s_waitcnt lgkmcnt(3)
	v_dot4_i32_i8 v122, v122, v131, v140
	v_dot4_i32_i8 v122, v123, v135, v122
	s_waitcnt lgkmcnt(2)
	v_dot4_i32_i8 v122, v124, v132, v122
	v_dot4_i32_i8 v122, v125, v136, v122
	s_waitcnt lgkmcnt(1)
	v_dot4_i32_i8 v122, v126, v133, v122
	v_cvt_f32_i32_e32 v1, v1
	v_dot4_i32_i8 v122, v127, v137, v122
	v_cvt_f32_i32_e32 v122, v122
	v_mul_f32_e32 v123, v2, v141
	v_fmac_f32_e32 v27, v123, v1
	v_mul_f32_e32 v1, v2, v151
	v_fmac_f32_e32 v112, v1, v122
	s_waitcnt lgkmcnt(0)
	v_dot4_i32_i8 v1, v128, v130, 0
	v_add_u32_e32 v122, 0x41a8, v34
	v_add_u32_e32 v124, 0x41b0, v34
	;; [unrolled: 1-line block ×4, first 2 shown]
	v_dot4_i32_i8 v1, v129, v134, v1
	ds_read2_b32 v[122:123], v122 offset1:1
	ds_read2_b32 v[124:125], v124 offset1:1
	;; [unrolled: 1-line block ×4, first 2 shown]
	v_mul_f32_e32 v148, v2, v149
	s_waitcnt lgkmcnt(3)
	v_dot4_i32_i8 v1, v122, v131, v1
	s_waitcnt lgkmcnt(0)
	v_dot4_i32_i8 v122, v128, v130, 0
	v_dot4_i32_i8 v128, v129, v134, v122
	v_add_u32_e32 v122, 0x6228, v34
	v_dot4_i32_i8 v1, v123, v135, v1
	ds_read2_b32 v[122:123], v122 offset1:1
	v_dot4_i32_i8 v1, v124, v132, v1
	v_dot4_i32_i8 v1, v125, v136, v1
	;; [unrolled: 1-line block ×3, first 2 shown]
	v_add_u32_e32 v124, 0x6230, v34
	v_add_u32_e32 v126, 0x6238, v34
	v_dot4_i32_i8 v1, v127, v137, v1
	v_add_u32_e32 v129, 0x2140, v34
	ds_read2_b32 v[124:125], v124 offset1:1
	ds_read2_b32 v[126:127], v126 offset1:1
	;; [unrolled: 1-line block ×3, first 2 shown]
	s_waitcnt lgkmcnt(3)
	v_dot4_i32_i8 v122, v122, v131, v128
	v_dot4_i32_i8 v122, v123, v135, v122
	s_waitcnt lgkmcnt(2)
	v_dot4_i32_i8 v122, v124, v132, v122
	v_dot4_i32_i8 v122, v125, v136, v122
	s_waitcnt lgkmcnt(1)
	v_dot4_i32_i8 v122, v126, v133, v122
	v_cvt_f32_i32_e32 v1, v1
	v_dot4_i32_i8 v122, v127, v137, v122
	v_cvt_f32_i32_e32 v130, v122
	ds_read_b128 v[122:125], v30 offset:64
	ds_read_b128 v[126:129], v30 offset:80
	v_fmac_f32_e32 v107, v148, v1
	v_mul_f32_e32 v1, v2, v153
	v_fmac_f32_e32 v25, v1, v130
	ds_read2_b32 v[1:2], v34 offset0:50 offset1:51
	s_waitcnt lgkmcnt(2)
	v_dot4_i32_i8 v130, v146, v122, 0
	s_waitcnt lgkmcnt(1)
	v_dot4_i32_i8 v136, v147, v126, v130
	ds_read2_b32 v[130:131], v34 offset0:52 offset1:53
	ds_read2_b32 v[132:133], v34 offset0:54 offset1:55
	;; [unrolled: 1-line block ×3, first 2 shown]
	s_waitcnt lgkmcnt(3)
	v_dot4_i32_i8 v1, v1, v123, v136
	v_dot4_i32_i8 v1, v2, v127, v1
	s_waitcnt lgkmcnt(2)
	v_dot4_i32_i8 v1, v130, v124, v1
	v_dot4_i32_i8 v1, v131, v128, v1
	;; [unrolled: 3-line block ×3, first 2 shown]
	v_cvt_f32_i32_e32 v146, v1
	v_dot4_i32_i8 v1, v140, v122, 0
	v_dot4_i32_i8 v140, v141, v126, v1
	v_add_u32_e32 v1, 0x2148, v34
	ds_read2_b32 v[1:2], v1 offset1:1
	v_add_u32_e32 v130, 0x2150, v34
	v_add_u32_e32 v132, 0x2158, v34
	;; [unrolled: 1-line block ×3, first 2 shown]
	ds_read2_b32 v[130:131], v130 offset1:1
	ds_read2_b32 v[132:133], v132 offset1:1
	ds_read2_b32 v[136:137], v136 offset1:1
	s_waitcnt lgkmcnt(3)
	v_dot4_i32_i8 v1, v1, v123, v140
	v_dot4_i32_i8 v1, v2, v127, v1
	s_waitcnt lgkmcnt(2)
	v_dot4_i32_i8 v1, v130, v124, v1
	v_dot4_i32_i8 v1, v131, v128, v1
	;; [unrolled: 3-line block ×3, first 2 shown]
	v_cvt_f32_i32_e32 v1, v1
	v_mul_f32_e32 v2, v3, v158
	v_fmac_f32_e32 v27, v2, v146
	v_mul_f32_e32 v2, v3, v156
	v_fmac_f32_e32 v112, v2, v1
	s_waitcnt lgkmcnt(0)
	v_dot4_i32_i8 v1, v136, v122, 0
	v_dot4_i32_i8 v140, v137, v126, v1
	v_add_u32_e32 v1, 0x41c8, v34
	ds_read2_b32 v[1:2], v1 offset1:1
	v_add_u32_e32 v130, 0x41d0, v34
	v_add_u32_e32 v132, 0x41d8, v34
	;; [unrolled: 1-line block ×3, first 2 shown]
	ds_read2_b32 v[130:131], v130 offset1:1
	ds_read2_b32 v[132:133], v132 offset1:1
	;; [unrolled: 1-line block ×3, first 2 shown]
	s_waitcnt lgkmcnt(3)
	v_dot4_i32_i8 v1, v1, v123, v140
	v_dot4_i32_i8 v1, v2, v127, v1
	s_waitcnt lgkmcnt(2)
	v_dot4_i32_i8 v1, v130, v124, v1
	v_dot4_i32_i8 v1, v131, v128, v1
	;; [unrolled: 3-line block ×3, first 2 shown]
	v_cvt_f32_i32_e32 v141, v1
	s_waitcnt lgkmcnt(0)
	v_dot4_i32_i8 v1, v136, v122, 0
	v_dot4_i32_i8 v122, v137, v126, v1
	v_add_u32_e32 v1, 0x6248, v34
	ds_read2_b32 v[1:2], v1 offset1:1
	v_add_u32_e32 v126, 0x6250, v34
	v_add_u32_e32 v132, 0x6258, v34
	;; [unrolled: 1-line block ×3, first 2 shown]
	ds_read2_b32 v[130:131], v126 offset1:1
	ds_read2_b32 v[132:133], v132 offset1:1
	;; [unrolled: 1-line block ×3, first 2 shown]
	s_waitcnt lgkmcnt(3)
	v_dot4_i32_i8 v1, v1, v123, v122
	v_dot4_i32_i8 v1, v2, v127, v1
	s_waitcnt lgkmcnt(2)
	v_dot4_i32_i8 v1, v130, v124, v1
	v_dot4_i32_i8 v1, v131, v128, v1
	;; [unrolled: 3-line block ×3, first 2 shown]
	v_cvt_f32_i32_e32 v1, v1
	ds_read_b128 v[122:125], v30 offset:96
	ds_read_b128 v[126:129], v30 offset:112
	v_mul_f32_e32 v2, v3, v154
	v_mul_f32_e32 v140, v3, v160
	v_fmac_f32_e32 v25, v2, v1
	s_waitcnt lgkmcnt(1)
	v_dot4_i32_i8 v1, v134, v122, 0
	s_waitcnt lgkmcnt(0)
	v_dot4_i32_i8 v1, v135, v126, v1
	v_dot4_i32_i8 v1, v138, v123, v1
	;; [unrolled: 1-line block ×7, first 2 shown]
	v_cvt_f32_i32_e32 v3, v1
	v_dot4_i32_i8 v1, v136, v122, 0
	v_dot4_i32_i8 v136, v137, v126, v1
	v_add_u32_e32 v1, 0x2168, v34
	ds_read2_b32 v[1:2], v1 offset1:1
	v_add_u32_e32 v130, 0x2170, v34
	v_add_u32_e32 v132, 0x2178, v34
	;; [unrolled: 1-line block ×3, first 2 shown]
	ds_read2_b32 v[130:131], v130 offset1:1
	ds_read2_b32 v[132:133], v132 offset1:1
	;; [unrolled: 1-line block ×3, first 2 shown]
	s_waitcnt lgkmcnt(3)
	v_dot4_i32_i8 v1, v1, v123, v136
	v_dot4_i32_i8 v1, v2, v127, v1
	s_waitcnt lgkmcnt(2)
	v_dot4_i32_i8 v1, v130, v124, v1
	v_dot4_i32_i8 v1, v131, v128, v1
	;; [unrolled: 3-line block ×3, first 2 shown]
	v_cvt_f32_i32_e32 v1, v1
	v_mul_f32_e32 v2, v4, v159
	v_fmac_f32_e32 v27, v2, v3
	v_mul_f32_e32 v2, v4, v157
	v_fmac_f32_e32 v112, v2, v1
	s_waitcnt lgkmcnt(0)
	v_dot4_i32_i8 v1, v134, v122, 0
	v_dot4_i32_i8 v3, v135, v126, v1
	v_add_u32_e32 v1, 0x41e8, v34
	ds_read2_b32 v[1:2], v1 offset1:1
	v_add_u32_e32 v130, 0x41f0, v34
	v_add_u32_e32 v132, 0x41f8, v34
	v_add_u32_e32 v134, 0x6260, v34
	ds_read2_b32 v[130:131], v130 offset1:1
	ds_read2_b32 v[132:133], v132 offset1:1
	;; [unrolled: 1-line block ×3, first 2 shown]
	s_waitcnt lgkmcnt(3)
	v_dot4_i32_i8 v1, v1, v123, v3
	v_dot4_i32_i8 v1, v2, v127, v1
	s_waitcnt lgkmcnt(2)
	v_dot4_i32_i8 v1, v130, v124, v1
	v_dot4_i32_i8 v1, v131, v128, v1
	;; [unrolled: 3-line block ×3, first 2 shown]
	v_cvt_f32_i32_e32 v3, v1
	s_waitcnt lgkmcnt(0)
	v_dot4_i32_i8 v1, v134, v122, 0
	v_dot4_i32_i8 v122, v135, v126, v1
	v_add_u32_e32 v1, 0x6268, v34
	ds_read2_b32 v[1:2], v1 offset1:1
	v_add_u32_e32 v126, 0x6270, v34
	ds_read2_b32 v[130:131], v126 offset1:1
	;; [unrolled: 2-line block ×3, first 2 shown]
	s_waitcnt lgkmcnt(2)
	v_dot4_i32_i8 v1, v1, v123, v122
	v_dot4_i32_i8 v1, v2, v127, v1
	s_waitcnt lgkmcnt(1)
	v_dot4_i32_i8 v1, v130, v124, v1
	v_dot4_i32_i8 v1, v131, v128, v1
	;; [unrolled: 3-line block ×3, first 2 shown]
	v_cvt_f32_i32_e32 v1, v1
	v_fmac_f32_e32 v107, v140, v141
	v_mul_f32_e32 v2, v4, v161
	v_fmac_f32_e32 v107, v2, v3
	v_mul_f32_e32 v2, v4, v155
	v_fmac_f32_e32 v25, v2, v1
	s_barrier
.LBB182_5:                              ;   in Loop: Header=BB182_6 Depth=1
	v_add_co_u32_e32 v23, vcc, 0x120, v23
	v_addc_co_u32_e32 v24, vcc, 0, v24, vcc
	v_add_co_u32_e32 v43, vcc, 0xb0, v43
	v_addc_co_u32_e32 v44, vcc, 0, v44, vcc
	;; [unrolled: 2-line block ×36, first 2 shown]
	s_add_i32 s10, s10, 8
	s_addk_i32 s20, 0x100
	v_add_co_u32_e32 v115, vcc, 0xb0, v115
	s_cmp_ge_i32 s10, s22
	v_addc_co_u32_e32 v116, vcc, 0, v116, vcc
	s_cbranch_scc1 .LBB182_17
.LBB182_6:                              ; =>This Inner Loop Header: Depth=1
	v_mov_b32_e32 v1, s23
	v_add_co_u32_e32 v2, vcc, s8, v43
	v_addc_co_u32_e32 v3, vcc, v44, v1, vcc
	global_load_dword v4, v[2:3], off
	v_add_co_u32_e32 v2, vcc, s8, v45
	v_addc_co_u32_e32 v3, vcc, v46, v1, vcc
	global_load_dword v124, v[2:3], off offset:2
	v_add_co_u32_e32 v2, vcc, s8, v47
	v_addc_co_u32_e32 v3, vcc, v48, v1, vcc
	v_add_co_u32_e32 v122, vcc, s8, v49
	v_addc_co_u32_e32 v123, vcc, v50, v1, vcc
	global_load_dword v125, v[122:123], off
	global_load_dword v126, v[2:3], off
	v_add_co_u32_e32 v2, vcc, s8, v51
	v_addc_co_u32_e32 v3, vcc, v52, v1, vcc
	v_add_co_u32_e32 v122, vcc, s8, v53
	v_addc_co_u32_e32 v123, vcc, v54, v1, vcc
	global_load_dword v127, v[2:3], off
	global_load_dword v128, v[122:123], off
	s_add_i32 s4, s20, 0xffffff80
	s_cmp_lt_i32 s4, s9
	s_waitcnt vmcnt(5)
	v_and_b32_e32 v3, 0xf0f0f0f, v4
	v_lshrrev_b32_e32 v4, 4, v4
	v_and_b32_e32 v4, 0xf0f0f0f, v4
	s_waitcnt vmcnt(4)
	v_ashrrev_i32_e32 v2, v28, v124
	v_lshlrev_b32_e32 v123, 4, v2
	v_lshlrev_b32_e32 v129, 18, v2
	;; [unrolled: 1-line block ×3, first 2 shown]
	v_lshrrev_b32_e32 v131, 12, v2
	v_lshrrev_b32_e32 v132, 5, v2
	v_lshlrev_b32_e32 v133, 2, v2
	v_and_b32_e32 v123, 16, v123
	s_waitcnt vmcnt(3)
	v_ashrrev_i32_e32 v124, v28, v125
	v_lshlrev_b32_e32 v125, 11, v2
	v_lshlrev_b32_e32 v2, 9, v2
	v_and_b32_e32 v125, 0x1000, v125
	v_and_b32_e32 v129, 0x100000, v129
	;; [unrolled: 1-line block ×7, first 2 shown]
	v_or3_b32 v123, v123, v3, v125
	v_or3_b32 v3, v3, v129, v130
	;; [unrolled: 1-line block ×4, first 2 shown]
	v_and_b32_e32 v129, 0x1f00, v123
	v_lshlrev_b16_e32 v123, 8, v123
	v_and_b32_sdwa v130, v3, s21 dst_sel:DWORD dst_unused:UNUSED_PAD src0_sel:WORD_1 src1_sel:DWORD
	v_lshlrev_b16_sdwa v3, v121, v3 dst_sel:DWORD dst_unused:UNUSED_PAD src0_sel:DWORD src1_sel:WORD_1
	v_and_b32_e32 v132, 0x1f00, v125
	v_lshlrev_b16_e32 v125, 8, v125
	v_and_b32_sdwa v131, v2, s21 dst_sel:DWORD dst_unused:UNUSED_PAD src0_sel:WORD_1 src1_sel:DWORD
	v_lshlrev_b16_sdwa v2, v121, v2 dst_sel:DWORD dst_unused:UNUSED_PAD src0_sel:DWORD src1_sel:WORD_1
	v_add_u16_e32 v129, 0xf000, v129
	v_add_u16_e32 v123, 0xf000, v123
	;; [unrolled: 1-line block ×5, first 2 shown]
	v_lshlrev_b32_e32 v134, 4, v124
	v_lshlrev_b32_e32 v135, 11, v124
	;; [unrolled: 1-line block ×4, first 2 shown]
	v_add_u16_e32 v131, 0xf000, v131
	v_add_u16_e32 v2, 0xf000, v2
	v_perm_b32 v123, v123, v129, s24
	v_perm_b32 v3, v3, v130, s24
	v_or_b32_sdwa v125, v132, v125 dst_sel:DWORD dst_unused:UNUSED_PAD src0_sel:DWORD src1_sel:BYTE_1
	s_waitcnt vmcnt(2)
	v_and_b32_e32 v122, 0xf0f0f0f, v126
	v_and_b32_e32 v134, 16, v134
	;; [unrolled: 1-line block ×5, first 2 shown]
	v_perm_b32 v2, v2, v131, s24
	v_lshl_or_b32 v3, v3, 16, v123
	v_add_u16_e32 v123, 0xf000, v125
	v_or3_b32 v4, v134, v122, v135
	v_or3_b32 v122, v122, v136, v137
	v_lshl_or_b32 v2, v2, 16, v123
	v_and_b32_e32 v133, 0x1f00, v4
	ds_write2_b32 v5, v3, v2 offset1:1
	v_lshlrev_b16_e32 v2, 8, v4
	v_and_b32_sdwa v3, v122, s21 dst_sel:DWORD dst_unused:UNUSED_PAD src0_sel:WORD_1 src1_sel:DWORD
	v_lshlrev_b16_sdwa v4, v121, v122 dst_sel:DWORD dst_unused:UNUSED_PAD src0_sel:DWORD src1_sel:WORD_1
	v_add_u16_e32 v133, 0xf000, v133
	v_add_u16_e32 v2, 0xf000, v2
	;; [unrolled: 1-line block ×4, first 2 shown]
	v_perm_b32 v2, v2, v133, s24
	v_perm_b32 v3, v4, v3, s24
	v_lshl_or_b32 v4, v3, 16, v2
	v_lshrrev_b32_e32 v2, 4, v126
	v_and_b32_e32 v125, 0xf0f0f0f, v2
	v_add_co_u32_e32 v2, vcc, s8, v55
	v_addc_co_u32_e32 v3, vcc, v56, v1, vcc
	v_add_co_u32_e32 v122, vcc, s8, v57
	v_addc_co_u32_e32 v123, vcc, v58, v1, vcc
	v_lshrrev_b32_e32 v126, 12, v124
	global_load_dword v129, v[122:123], off
	global_load_dword v130, v[2:3], off
	v_lshrrev_b32_e32 v3, 5, v124
	v_and_b32_e32 v2, 16, v126
	v_and_b32_e32 v3, 0x1000, v3
	v_or3_b32 v2, v2, v125, v3
	v_lshlrev_b32_e32 v3, 2, v124
	v_lshlrev_b32_e32 v122, 9, v124
	v_and_b32_e32 v3, 0x100000, v3
	v_and_b32_e32 v122, 0x10000000, v122
	v_or3_b32 v3, v125, v3, v122
	v_and_b32_sdwa v122, v3, s21 dst_sel:DWORD dst_unused:UNUSED_PAD src0_sel:WORD_1 src1_sel:DWORD
	v_lshlrev_b16_sdwa v3, v121, v3 dst_sel:DWORD dst_unused:UNUSED_PAD src0_sel:DWORD src1_sel:WORD_1
	v_add_u16_e32 v122, 0xf000, v122
	v_add_u16_e32 v3, 0xf000, v3
	v_perm_b32 v3, v3, v122, s24
	v_and_b32_e32 v122, 0x1f00, v2
	v_lshlrev_b16_e32 v2, 8, v2
	v_add_u16_e32 v2, 0xf000, v2
	v_or_b32_sdwa v2, v122, v2 dst_sel:DWORD dst_unused:UNUSED_PAD src0_sel:DWORD src1_sel:BYTE_1
	v_add_u16_e32 v2, 0xf000, v2
	v_lshl_or_b32 v2, v3, 16, v2
	ds_write2_b32 v6, v4, v2 offset1:1
	s_waitcnt vmcnt(2)
	v_ashrrev_i32_e32 v4, v28, v128
	v_lshlrev_b32_e32 v3, 4, v4
	v_lshlrev_b32_e32 v122, 11, v4
	v_and_b32_e32 v2, 0xf0f0f0f, v127
	v_and_b32_e32 v3, 16, v3
	;; [unrolled: 1-line block ×3, first 2 shown]
	v_or3_b32 v3, v3, v2, v122
	v_lshlrev_b32_e32 v122, 18, v4
	v_lshlrev_b32_e32 v123, 25, v4
	v_and_b32_e32 v122, 0x100000, v122
	v_and_b32_e32 v123, 0x10000000, v123
	v_or3_b32 v2, v2, v122, v123
	v_and_b32_e32 v122, 0x1f00, v3
	v_lshlrev_b16_e32 v3, 8, v3
	v_add_u16_e32 v122, 0xf000, v122
	v_add_u16_e32 v3, 0xf000, v3
	v_perm_b32 v3, v3, v122, s24
	v_and_b32_sdwa v122, v2, s21 dst_sel:DWORD dst_unused:UNUSED_PAD src0_sel:WORD_1 src1_sel:DWORD
	v_lshlrev_b16_sdwa v2, v121, v2 dst_sel:DWORD dst_unused:UNUSED_PAD src0_sel:DWORD src1_sel:WORD_1
	v_add_u16_e32 v122, 0xf000, v122
	v_add_u16_e32 v2, 0xf000, v2
	v_perm_b32 v2, v2, v122, s24
	v_lshl_or_b32 v124, v2, 16, v3
	v_lshrrev_b32_e32 v2, 4, v127
	v_and_b32_e32 v125, 0xf0f0f0f, v2
	v_add_co_u32_e32 v2, vcc, s8, v59
	v_addc_co_u32_e32 v3, vcc, v60, v1, vcc
	v_add_co_u32_e32 v122, vcc, s8, v61
	v_addc_co_u32_e32 v123, vcc, v62, v1, vcc
	global_load_dword v127, v[122:123], off
	global_load_dword v128, v[2:3], off
	v_lshrrev_b32_e32 v126, 12, v4
	v_lshrrev_b32_e32 v3, 5, v4
	v_and_b32_e32 v2, 16, v126
	v_and_b32_e32 v3, 0x1000, v3
	v_or3_b32 v2, v2, v125, v3
	v_lshlrev_b32_e32 v3, 2, v4
	v_lshlrev_b32_e32 v4, 9, v4
	v_and_b32_e32 v3, 0x100000, v3
	v_and_b32_e32 v4, 0x10000000, v4
	v_or3_b32 v3, v125, v3, v4
	v_and_b32_sdwa v4, v3, s21 dst_sel:DWORD dst_unused:UNUSED_PAD src0_sel:WORD_1 src1_sel:DWORD
	v_lshlrev_b16_sdwa v3, v121, v3 dst_sel:DWORD dst_unused:UNUSED_PAD src0_sel:DWORD src1_sel:WORD_1
	v_add_u16_e32 v4, 0xf000, v4
	v_add_u16_e32 v3, 0xf000, v3
	v_perm_b32 v3, v3, v4, s24
	v_and_b32_e32 v4, 0x1f00, v2
	v_lshlrev_b16_e32 v2, 8, v2
	v_add_u16_e32 v2, 0xf000, v2
	v_or_b32_sdwa v2, v4, v2 dst_sel:DWORD dst_unused:UNUSED_PAD src0_sel:DWORD src1_sel:BYTE_1
	v_add_u16_e32 v2, 0xf000, v2
	v_lshl_or_b32 v2, v3, 16, v2
	ds_write2_b32 v7, v124, v2 offset1:1
	s_waitcnt vmcnt(3)
	v_ashrrev_i32_e32 v4, v28, v129
	v_lshlrev_b32_e32 v3, 4, v4
	v_lshlrev_b32_e32 v122, 11, v4
	s_waitcnt vmcnt(2)
	v_and_b32_e32 v2, 0xf0f0f0f, v130
	v_and_b32_e32 v3, 16, v3
	;; [unrolled: 1-line block ×3, first 2 shown]
	v_or3_b32 v3, v3, v2, v122
	v_lshlrev_b32_e32 v122, 18, v4
	v_lshlrev_b32_e32 v123, 25, v4
	v_and_b32_e32 v122, 0x100000, v122
	v_and_b32_e32 v123, 0x10000000, v123
	v_or3_b32 v2, v2, v122, v123
	v_and_b32_e32 v122, 0x1f00, v3
	v_lshlrev_b16_e32 v3, 8, v3
	v_add_u16_e32 v122, 0xf000, v122
	v_add_u16_e32 v3, 0xf000, v3
	v_perm_b32 v3, v3, v122, s24
	v_and_b32_sdwa v122, v2, s21 dst_sel:DWORD dst_unused:UNUSED_PAD src0_sel:WORD_1 src1_sel:DWORD
	v_lshlrev_b16_sdwa v2, v121, v2 dst_sel:DWORD dst_unused:UNUSED_PAD src0_sel:DWORD src1_sel:WORD_1
	v_add_u16_e32 v122, 0xf000, v122
	v_add_u16_e32 v2, 0xf000, v2
	v_perm_b32 v2, v2, v122, s24
	v_lshl_or_b32 v124, v2, 16, v3
	v_lshrrev_b32_e32 v2, 4, v130
	v_and_b32_e32 v125, 0xf0f0f0f, v2
	v_add_co_u32_e32 v2, vcc, s8, v63
	v_addc_co_u32_e32 v3, vcc, v64, v1, vcc
	v_add_co_u32_e32 v122, vcc, s8, v65
	v_addc_co_u32_e32 v123, vcc, v66, v1, vcc
	v_lshrrev_b32_e32 v126, 12, v4
	global_load_dword v129, v[122:123], off
	global_load_dword v130, v[2:3], off
	v_lshrrev_b32_e32 v3, 5, v4
	v_and_b32_e32 v2, 16, v126
	v_and_b32_e32 v3, 0x1000, v3
	v_or3_b32 v2, v2, v125, v3
	v_lshlrev_b32_e32 v3, 2, v4
	v_lshlrev_b32_e32 v4, 9, v4
	v_and_b32_e32 v3, 0x100000, v3
	v_and_b32_e32 v4, 0x10000000, v4
	v_or3_b32 v3, v125, v3, v4
	v_and_b32_sdwa v4, v3, s21 dst_sel:DWORD dst_unused:UNUSED_PAD src0_sel:WORD_1 src1_sel:DWORD
	v_lshlrev_b16_sdwa v3, v121, v3 dst_sel:DWORD dst_unused:UNUSED_PAD src0_sel:DWORD src1_sel:WORD_1
	v_add_u16_e32 v4, 0xf000, v4
	v_add_u16_e32 v3, 0xf000, v3
	v_perm_b32 v3, v3, v4, s24
	v_and_b32_e32 v4, 0x1f00, v2
	v_lshlrev_b16_e32 v2, 8, v2
	v_add_u16_e32 v2, 0xf000, v2
	v_or_b32_sdwa v2, v4, v2 dst_sel:DWORD dst_unused:UNUSED_PAD src0_sel:DWORD src1_sel:BYTE_1
	v_add_u16_e32 v2, 0xf000, v2
	v_lshl_or_b32 v2, v3, 16, v2
	s_waitcnt vmcnt(3)
	v_ashrrev_i32_e32 v4, v28, v127
	v_lshlrev_b32_e32 v3, 4, v4
	v_lshlrev_b32_e32 v122, 11, v4
	ds_write2_b32 v8, v124, v2 offset1:1
	s_waitcnt vmcnt(2)
	v_and_b32_e32 v2, 0xf0f0f0f, v128
	v_and_b32_e32 v3, 16, v3
	;; [unrolled: 1-line block ×3, first 2 shown]
	v_or3_b32 v3, v3, v2, v122
	v_lshlrev_b32_e32 v122, 18, v4
	v_lshlrev_b32_e32 v123, 25, v4
	v_and_b32_e32 v122, 0x100000, v122
	v_and_b32_e32 v123, 0x10000000, v123
	v_or3_b32 v2, v2, v122, v123
	v_and_b32_e32 v122, 0x1f00, v3
	v_lshlrev_b16_e32 v3, 8, v3
	v_add_u16_e32 v122, 0xf000, v122
	v_add_u16_e32 v3, 0xf000, v3
	v_perm_b32 v3, v3, v122, s24
	v_and_b32_sdwa v122, v2, s21 dst_sel:DWORD dst_unused:UNUSED_PAD src0_sel:WORD_1 src1_sel:DWORD
	v_lshlrev_b16_sdwa v2, v121, v2 dst_sel:DWORD dst_unused:UNUSED_PAD src0_sel:DWORD src1_sel:WORD_1
	v_add_u16_e32 v122, 0xf000, v122
	v_add_u16_e32 v2, 0xf000, v2
	v_perm_b32 v2, v2, v122, s24
	v_lshl_or_b32 v124, v2, 16, v3
	v_lshrrev_b32_e32 v2, 4, v128
	v_and_b32_e32 v125, 0xf0f0f0f, v2
	v_add_co_u32_e32 v2, vcc, s8, v67
	v_addc_co_u32_e32 v3, vcc, v68, v1, vcc
	v_add_co_u32_e32 v122, vcc, s8, v69
	v_addc_co_u32_e32 v123, vcc, v70, v1, vcc
	global_load_dword v127, v[122:123], off
	global_load_dword v128, v[2:3], off
	v_lshrrev_b32_e32 v126, 12, v4
	v_lshrrev_b32_e32 v3, 5, v4
	v_and_b32_e32 v2, 16, v126
	v_and_b32_e32 v3, 0x1000, v3
	v_or3_b32 v2, v2, v125, v3
	v_lshlrev_b32_e32 v3, 2, v4
	v_lshlrev_b32_e32 v4, 9, v4
	v_and_b32_e32 v3, 0x100000, v3
	v_and_b32_e32 v4, 0x10000000, v4
	v_or3_b32 v3, v125, v3, v4
	v_and_b32_sdwa v4, v3, s21 dst_sel:DWORD dst_unused:UNUSED_PAD src0_sel:WORD_1 src1_sel:DWORD
	v_lshlrev_b16_sdwa v3, v121, v3 dst_sel:DWORD dst_unused:UNUSED_PAD src0_sel:DWORD src1_sel:WORD_1
	v_add_u16_e32 v4, 0xf000, v4
	v_add_u16_e32 v3, 0xf000, v3
	v_perm_b32 v3, v3, v4, s24
	v_and_b32_e32 v4, 0x1f00, v2
	v_lshlrev_b16_e32 v2, 8, v2
	v_add_u16_e32 v2, 0xf000, v2
	v_or_b32_sdwa v2, v4, v2 dst_sel:DWORD dst_unused:UNUSED_PAD src0_sel:DWORD src1_sel:BYTE_1
	v_add_u16_e32 v2, 0xf000, v2
	v_lshl_or_b32 v2, v3, 16, v2
	ds_write2_b32 v9, v124, v2 offset1:1
	s_waitcnt vmcnt(3)
	v_ashrrev_i32_e32 v4, v28, v129
	v_lshlrev_b32_e32 v3, 4, v4
	v_lshlrev_b32_e32 v122, 11, v4
	s_waitcnt vmcnt(2)
	v_and_b32_e32 v2, 0xf0f0f0f, v130
	v_and_b32_e32 v3, 16, v3
	;; [unrolled: 1-line block ×3, first 2 shown]
	v_or3_b32 v3, v3, v2, v122
	v_lshlrev_b32_e32 v122, 18, v4
	v_lshlrev_b32_e32 v123, 25, v4
	v_and_b32_e32 v122, 0x100000, v122
	v_and_b32_e32 v123, 0x10000000, v123
	v_or3_b32 v2, v2, v122, v123
	v_and_b32_e32 v122, 0x1f00, v3
	v_lshlrev_b16_e32 v3, 8, v3
	v_add_u16_e32 v122, 0xf000, v122
	v_add_u16_e32 v3, 0xf000, v3
	v_perm_b32 v3, v3, v122, s24
	v_and_b32_sdwa v122, v2, s21 dst_sel:DWORD dst_unused:UNUSED_PAD src0_sel:WORD_1 src1_sel:DWORD
	v_lshlrev_b16_sdwa v2, v121, v2 dst_sel:DWORD dst_unused:UNUSED_PAD src0_sel:DWORD src1_sel:WORD_1
	v_add_u16_e32 v122, 0xf000, v122
	v_add_u16_e32 v2, 0xf000, v2
	v_perm_b32 v2, v2, v122, s24
	v_lshl_or_b32 v124, v2, 16, v3
	v_lshrrev_b32_e32 v2, 4, v130
	v_and_b32_e32 v125, 0xf0f0f0f, v2
	v_add_co_u32_e32 v2, vcc, s8, v71
	v_addc_co_u32_e32 v3, vcc, v72, v1, vcc
	v_add_co_u32_e32 v122, vcc, s8, v73
	v_addc_co_u32_e32 v123, vcc, v74, v1, vcc
	v_lshrrev_b32_e32 v126, 12, v4
	global_load_dword v129, v[122:123], off
	global_load_dword v130, v[2:3], off
	v_lshrrev_b32_e32 v3, 5, v4
	v_and_b32_e32 v2, 16, v126
	v_and_b32_e32 v3, 0x1000, v3
	v_or3_b32 v2, v2, v125, v3
	v_lshlrev_b32_e32 v3, 2, v4
	v_lshlrev_b32_e32 v4, 9, v4
	v_and_b32_e32 v3, 0x100000, v3
	v_and_b32_e32 v4, 0x10000000, v4
	v_or3_b32 v3, v125, v3, v4
	v_and_b32_sdwa v4, v3, s21 dst_sel:DWORD dst_unused:UNUSED_PAD src0_sel:WORD_1 src1_sel:DWORD
	v_lshlrev_b16_sdwa v3, v121, v3 dst_sel:DWORD dst_unused:UNUSED_PAD src0_sel:DWORD src1_sel:WORD_1
	v_add_u16_e32 v4, 0xf000, v4
	v_add_u16_e32 v3, 0xf000, v3
	v_perm_b32 v3, v3, v4, s24
	v_and_b32_e32 v4, 0x1f00, v2
	v_lshlrev_b16_e32 v2, 8, v2
	v_add_u16_e32 v2, 0xf000, v2
	v_or_b32_sdwa v2, v4, v2 dst_sel:DWORD dst_unused:UNUSED_PAD src0_sel:DWORD src1_sel:BYTE_1
	v_add_u16_e32 v2, 0xf000, v2
	v_lshl_or_b32 v2, v3, 16, v2
	s_waitcnt vmcnt(3)
	v_ashrrev_i32_e32 v4, v28, v127
	v_lshlrev_b32_e32 v3, 4, v4
	v_lshlrev_b32_e32 v122, 11, v4
	ds_write2_b32 v10, v124, v2 offset1:1
	s_waitcnt vmcnt(2)
	v_and_b32_e32 v2, 0xf0f0f0f, v128
	v_and_b32_e32 v3, 16, v3
	;; [unrolled: 1-line block ×3, first 2 shown]
	v_or3_b32 v3, v3, v2, v122
	v_lshlrev_b32_e32 v122, 18, v4
	v_lshlrev_b32_e32 v123, 25, v4
	v_and_b32_e32 v122, 0x100000, v122
	v_and_b32_e32 v123, 0x10000000, v123
	v_or3_b32 v2, v2, v122, v123
	v_and_b32_e32 v122, 0x1f00, v3
	v_lshlrev_b16_e32 v3, 8, v3
	v_add_u16_e32 v122, 0xf000, v122
	v_add_u16_e32 v3, 0xf000, v3
	v_perm_b32 v3, v3, v122, s24
	v_and_b32_sdwa v122, v2, s21 dst_sel:DWORD dst_unused:UNUSED_PAD src0_sel:WORD_1 src1_sel:DWORD
	v_lshlrev_b16_sdwa v2, v121, v2 dst_sel:DWORD dst_unused:UNUSED_PAD src0_sel:DWORD src1_sel:WORD_1
	v_add_u16_e32 v122, 0xf000, v122
	v_add_u16_e32 v2, 0xf000, v2
	v_perm_b32 v2, v2, v122, s24
	v_lshl_or_b32 v124, v2, 16, v3
	v_lshrrev_b32_e32 v2, 4, v128
	v_and_b32_e32 v125, 0xf0f0f0f, v2
	v_add_co_u32_e32 v2, vcc, s8, v75
	v_addc_co_u32_e32 v3, vcc, v76, v1, vcc
	v_add_co_u32_e32 v122, vcc, s8, v77
	v_addc_co_u32_e32 v123, vcc, v78, v1, vcc
	global_load_dword v127, v[122:123], off
	global_load_dword v128, v[2:3], off
	v_lshrrev_b32_e32 v126, 12, v4
	v_lshrrev_b32_e32 v3, 5, v4
	v_and_b32_e32 v2, 16, v126
	v_and_b32_e32 v3, 0x1000, v3
	v_or3_b32 v2, v2, v125, v3
	v_lshlrev_b32_e32 v3, 2, v4
	v_lshlrev_b32_e32 v4, 9, v4
	v_and_b32_e32 v3, 0x100000, v3
	v_and_b32_e32 v4, 0x10000000, v4
	v_or3_b32 v3, v125, v3, v4
	v_and_b32_sdwa v4, v3, s21 dst_sel:DWORD dst_unused:UNUSED_PAD src0_sel:WORD_1 src1_sel:DWORD
	v_lshlrev_b16_sdwa v3, v121, v3 dst_sel:DWORD dst_unused:UNUSED_PAD src0_sel:DWORD src1_sel:WORD_1
	v_add_u16_e32 v4, 0xf000, v4
	v_add_u16_e32 v3, 0xf000, v3
	v_perm_b32 v3, v3, v4, s24
	v_and_b32_e32 v4, 0x1f00, v2
	v_lshlrev_b16_e32 v2, 8, v2
	v_add_u16_e32 v2, 0xf000, v2
	v_or_b32_sdwa v2, v4, v2 dst_sel:DWORD dst_unused:UNUSED_PAD src0_sel:DWORD src1_sel:BYTE_1
	v_add_u16_e32 v2, 0xf000, v2
	v_lshl_or_b32 v2, v3, 16, v2
	ds_write2_b32 v11, v124, v2 offset1:1
	s_waitcnt vmcnt(3)
	v_ashrrev_i32_e32 v4, v28, v129
	v_lshlrev_b32_e32 v3, 4, v4
	v_lshlrev_b32_e32 v122, 11, v4
	s_waitcnt vmcnt(2)
	v_and_b32_e32 v2, 0xf0f0f0f, v130
	v_and_b32_e32 v3, 16, v3
	;; [unrolled: 1-line block ×3, first 2 shown]
	v_or3_b32 v3, v3, v2, v122
	v_lshlrev_b32_e32 v122, 18, v4
	v_lshlrev_b32_e32 v123, 25, v4
	v_and_b32_e32 v122, 0x100000, v122
	v_and_b32_e32 v123, 0x10000000, v123
	v_or3_b32 v2, v2, v122, v123
	v_and_b32_e32 v122, 0x1f00, v3
	v_lshlrev_b16_e32 v3, 8, v3
	v_add_u16_e32 v122, 0xf000, v122
	v_add_u16_e32 v3, 0xf000, v3
	v_perm_b32 v3, v3, v122, s24
	v_and_b32_sdwa v122, v2, s21 dst_sel:DWORD dst_unused:UNUSED_PAD src0_sel:WORD_1 src1_sel:DWORD
	v_lshlrev_b16_sdwa v2, v121, v2 dst_sel:DWORD dst_unused:UNUSED_PAD src0_sel:DWORD src1_sel:WORD_1
	v_add_u16_e32 v122, 0xf000, v122
	v_add_u16_e32 v2, 0xf000, v2
	v_perm_b32 v2, v2, v122, s24
	v_lshl_or_b32 v124, v2, 16, v3
	v_lshrrev_b32_e32 v2, 4, v130
	v_and_b32_e32 v125, 0xf0f0f0f, v2
	v_add_co_u32_e32 v2, vcc, s8, v79
	v_addc_co_u32_e32 v3, vcc, v80, v1, vcc
	v_add_co_u32_e32 v122, vcc, s8, v81
	v_addc_co_u32_e32 v123, vcc, v82, v1, vcc
	v_lshrrev_b32_e32 v126, 12, v4
	global_load_dword v129, v[122:123], off
	global_load_dword v130, v[2:3], off
	v_lshrrev_b32_e32 v3, 5, v4
	v_and_b32_e32 v2, 16, v126
	v_and_b32_e32 v3, 0x1000, v3
	v_or3_b32 v2, v2, v125, v3
	v_lshlrev_b32_e32 v3, 2, v4
	v_lshlrev_b32_e32 v4, 9, v4
	v_and_b32_e32 v3, 0x100000, v3
	v_and_b32_e32 v4, 0x10000000, v4
	v_or3_b32 v3, v125, v3, v4
	v_and_b32_sdwa v4, v3, s21 dst_sel:DWORD dst_unused:UNUSED_PAD src0_sel:WORD_1 src1_sel:DWORD
	v_lshlrev_b16_sdwa v3, v121, v3 dst_sel:DWORD dst_unused:UNUSED_PAD src0_sel:DWORD src1_sel:WORD_1
	v_add_u16_e32 v4, 0xf000, v4
	v_add_u16_e32 v3, 0xf000, v3
	v_perm_b32 v3, v3, v4, s24
	v_and_b32_e32 v4, 0x1f00, v2
	v_lshlrev_b16_e32 v2, 8, v2
	v_add_u16_e32 v2, 0xf000, v2
	v_or_b32_sdwa v2, v4, v2 dst_sel:DWORD dst_unused:UNUSED_PAD src0_sel:DWORD src1_sel:BYTE_1
	v_add_u16_e32 v2, 0xf000, v2
	v_lshl_or_b32 v2, v3, 16, v2
	s_waitcnt vmcnt(3)
	v_ashrrev_i32_e32 v4, v28, v127
	v_lshlrev_b32_e32 v3, 4, v4
	v_lshlrev_b32_e32 v122, 11, v4
	ds_write2_b32 v12, v124, v2 offset1:1
	s_waitcnt vmcnt(2)
	v_and_b32_e32 v2, 0xf0f0f0f, v128
	v_and_b32_e32 v3, 16, v3
	;; [unrolled: 1-line block ×3, first 2 shown]
	v_or3_b32 v3, v3, v2, v122
	v_lshlrev_b32_e32 v122, 18, v4
	v_lshlrev_b32_e32 v123, 25, v4
	v_and_b32_e32 v122, 0x100000, v122
	v_and_b32_e32 v123, 0x10000000, v123
	v_or3_b32 v2, v2, v122, v123
	v_and_b32_e32 v122, 0x1f00, v3
	v_lshlrev_b16_e32 v3, 8, v3
	v_add_u16_e32 v122, 0xf000, v122
	v_add_u16_e32 v3, 0xf000, v3
	v_perm_b32 v3, v3, v122, s24
	v_and_b32_sdwa v122, v2, s21 dst_sel:DWORD dst_unused:UNUSED_PAD src0_sel:WORD_1 src1_sel:DWORD
	v_lshlrev_b16_sdwa v2, v121, v2 dst_sel:DWORD dst_unused:UNUSED_PAD src0_sel:DWORD src1_sel:WORD_1
	v_add_u16_e32 v122, 0xf000, v122
	v_add_u16_e32 v2, 0xf000, v2
	v_perm_b32 v2, v2, v122, s24
	v_lshl_or_b32 v124, v2, 16, v3
	v_lshrrev_b32_e32 v2, 4, v128
	v_and_b32_e32 v125, 0xf0f0f0f, v2
	v_add_co_u32_e32 v2, vcc, s8, v83
	v_addc_co_u32_e32 v3, vcc, v84, v1, vcc
	v_add_co_u32_e32 v122, vcc, s8, v85
	v_addc_co_u32_e32 v123, vcc, v86, v1, vcc
	global_load_dword v127, v[122:123], off
	global_load_dword v128, v[2:3], off
	v_lshrrev_b32_e32 v126, 12, v4
	v_lshrrev_b32_e32 v3, 5, v4
	v_and_b32_e32 v2, 16, v126
	v_and_b32_e32 v3, 0x1000, v3
	v_or3_b32 v2, v2, v125, v3
	v_lshlrev_b32_e32 v3, 2, v4
	v_lshlrev_b32_e32 v4, 9, v4
	v_and_b32_e32 v3, 0x100000, v3
	v_and_b32_e32 v4, 0x10000000, v4
	v_or3_b32 v3, v125, v3, v4
	v_and_b32_sdwa v4, v3, s21 dst_sel:DWORD dst_unused:UNUSED_PAD src0_sel:WORD_1 src1_sel:DWORD
	v_lshlrev_b16_sdwa v3, v121, v3 dst_sel:DWORD dst_unused:UNUSED_PAD src0_sel:DWORD src1_sel:WORD_1
	v_add_u16_e32 v4, 0xf000, v4
	v_add_u16_e32 v3, 0xf000, v3
	v_perm_b32 v3, v3, v4, s24
	v_and_b32_e32 v4, 0x1f00, v2
	v_lshlrev_b16_e32 v2, 8, v2
	v_add_u16_e32 v2, 0xf000, v2
	v_or_b32_sdwa v2, v4, v2 dst_sel:DWORD dst_unused:UNUSED_PAD src0_sel:DWORD src1_sel:BYTE_1
	v_add_u16_e32 v2, 0xf000, v2
	v_lshl_or_b32 v2, v3, 16, v2
	ds_write2_b32 v13, v124, v2 offset1:1
	s_waitcnt vmcnt(3)
	v_ashrrev_i32_e32 v4, v28, v129
	v_lshlrev_b32_e32 v3, 4, v4
	v_lshlrev_b32_e32 v122, 11, v4
	s_waitcnt vmcnt(2)
	v_and_b32_e32 v2, 0xf0f0f0f, v130
	v_and_b32_e32 v3, 16, v3
	;; [unrolled: 1-line block ×3, first 2 shown]
	v_or3_b32 v3, v3, v2, v122
	v_lshlrev_b32_e32 v122, 18, v4
	v_lshlrev_b32_e32 v123, 25, v4
	v_and_b32_e32 v122, 0x100000, v122
	v_and_b32_e32 v123, 0x10000000, v123
	v_or3_b32 v2, v2, v122, v123
	v_and_b32_e32 v122, 0x1f00, v3
	v_lshlrev_b16_e32 v3, 8, v3
	v_add_u16_e32 v122, 0xf000, v122
	v_add_u16_e32 v3, 0xf000, v3
	v_perm_b32 v3, v3, v122, s24
	v_and_b32_sdwa v122, v2, s21 dst_sel:DWORD dst_unused:UNUSED_PAD src0_sel:WORD_1 src1_sel:DWORD
	v_lshlrev_b16_sdwa v2, v121, v2 dst_sel:DWORD dst_unused:UNUSED_PAD src0_sel:DWORD src1_sel:WORD_1
	v_add_u16_e32 v122, 0xf000, v122
	v_add_u16_e32 v2, 0xf000, v2
	v_perm_b32 v2, v2, v122, s24
	v_lshl_or_b32 v124, v2, 16, v3
	v_lshrrev_b32_e32 v2, 4, v130
	v_and_b32_e32 v125, 0xf0f0f0f, v2
	v_add_co_u32_e32 v2, vcc, s8, v87
	v_addc_co_u32_e32 v3, vcc, v88, v1, vcc
	v_add_co_u32_e32 v122, vcc, s8, v89
	v_addc_co_u32_e32 v123, vcc, v90, v1, vcc
	v_lshrrev_b32_e32 v126, 12, v4
	global_load_dword v129, v[122:123], off
	global_load_dword v130, v[2:3], off
	v_lshrrev_b32_e32 v3, 5, v4
	v_and_b32_e32 v2, 16, v126
	v_and_b32_e32 v3, 0x1000, v3
	v_or3_b32 v2, v2, v125, v3
	v_lshlrev_b32_e32 v3, 2, v4
	v_lshlrev_b32_e32 v4, 9, v4
	v_and_b32_e32 v3, 0x100000, v3
	v_and_b32_e32 v4, 0x10000000, v4
	v_or3_b32 v3, v125, v3, v4
	v_and_b32_sdwa v4, v3, s21 dst_sel:DWORD dst_unused:UNUSED_PAD src0_sel:WORD_1 src1_sel:DWORD
	v_lshlrev_b16_sdwa v3, v121, v3 dst_sel:DWORD dst_unused:UNUSED_PAD src0_sel:DWORD src1_sel:WORD_1
	v_add_u16_e32 v4, 0xf000, v4
	v_add_u16_e32 v3, 0xf000, v3
	v_perm_b32 v3, v3, v4, s24
	v_and_b32_e32 v4, 0x1f00, v2
	v_lshlrev_b16_e32 v2, 8, v2
	v_add_u16_e32 v2, 0xf000, v2
	v_or_b32_sdwa v2, v4, v2 dst_sel:DWORD dst_unused:UNUSED_PAD src0_sel:DWORD src1_sel:BYTE_1
	v_add_u16_e32 v2, 0xf000, v2
	v_lshl_or_b32 v2, v3, 16, v2
	s_waitcnt vmcnt(3)
	v_ashrrev_i32_e32 v4, v28, v127
	v_lshlrev_b32_e32 v3, 4, v4
	v_lshlrev_b32_e32 v122, 11, v4
	ds_write2_b32 v14, v124, v2 offset1:1
	s_waitcnt vmcnt(2)
	v_and_b32_e32 v2, 0xf0f0f0f, v128
	v_and_b32_e32 v3, 16, v3
	;; [unrolled: 1-line block ×3, first 2 shown]
	v_or3_b32 v3, v3, v2, v122
	v_lshlrev_b32_e32 v122, 18, v4
	v_lshlrev_b32_e32 v123, 25, v4
	v_and_b32_e32 v122, 0x100000, v122
	v_and_b32_e32 v123, 0x10000000, v123
	v_or3_b32 v2, v2, v122, v123
	v_and_b32_e32 v122, 0x1f00, v3
	v_lshlrev_b16_e32 v3, 8, v3
	v_add_u16_e32 v122, 0xf000, v122
	v_add_u16_e32 v3, 0xf000, v3
	v_perm_b32 v3, v3, v122, s24
	v_and_b32_sdwa v122, v2, s21 dst_sel:DWORD dst_unused:UNUSED_PAD src0_sel:WORD_1 src1_sel:DWORD
	v_lshlrev_b16_sdwa v2, v121, v2 dst_sel:DWORD dst_unused:UNUSED_PAD src0_sel:DWORD src1_sel:WORD_1
	v_add_u16_e32 v122, 0xf000, v122
	v_add_u16_e32 v2, 0xf000, v2
	v_perm_b32 v2, v2, v122, s24
	v_lshl_or_b32 v124, v2, 16, v3
	v_lshrrev_b32_e32 v2, 4, v128
	v_and_b32_e32 v125, 0xf0f0f0f, v2
	v_add_co_u32_e32 v2, vcc, s8, v91
	v_addc_co_u32_e32 v3, vcc, v92, v1, vcc
	v_add_co_u32_e32 v122, vcc, s8, v93
	v_addc_co_u32_e32 v123, vcc, v94, v1, vcc
	global_load_dword v127, v[122:123], off
	global_load_dword v128, v[2:3], off
	v_lshrrev_b32_e32 v126, 12, v4
	v_lshrrev_b32_e32 v3, 5, v4
	v_and_b32_e32 v2, 16, v126
	v_and_b32_e32 v3, 0x1000, v3
	v_or3_b32 v2, v2, v125, v3
	v_lshlrev_b32_e32 v3, 2, v4
	v_lshlrev_b32_e32 v4, 9, v4
	v_and_b32_e32 v3, 0x100000, v3
	v_and_b32_e32 v4, 0x10000000, v4
	v_or3_b32 v3, v125, v3, v4
	v_and_b32_sdwa v4, v3, s21 dst_sel:DWORD dst_unused:UNUSED_PAD src0_sel:WORD_1 src1_sel:DWORD
	v_lshlrev_b16_sdwa v3, v121, v3 dst_sel:DWORD dst_unused:UNUSED_PAD src0_sel:DWORD src1_sel:WORD_1
	v_add_u16_e32 v4, 0xf000, v4
	v_add_u16_e32 v3, 0xf000, v3
	v_perm_b32 v3, v3, v4, s24
	v_and_b32_e32 v4, 0x1f00, v2
	v_lshlrev_b16_e32 v2, 8, v2
	v_add_u16_e32 v2, 0xf000, v2
	v_or_b32_sdwa v2, v4, v2 dst_sel:DWORD dst_unused:UNUSED_PAD src0_sel:DWORD src1_sel:BYTE_1
	v_add_u16_e32 v2, 0xf000, v2
	v_lshl_or_b32 v2, v3, 16, v2
	ds_write2_b32 v15, v124, v2 offset1:1
	s_waitcnt vmcnt(3)
	v_ashrrev_i32_e32 v4, v28, v129
	v_lshlrev_b32_e32 v3, 4, v4
	v_lshlrev_b32_e32 v122, 11, v4
	s_waitcnt vmcnt(2)
	v_and_b32_e32 v2, 0xf0f0f0f, v130
	v_and_b32_e32 v3, 16, v3
	;; [unrolled: 1-line block ×3, first 2 shown]
	v_or3_b32 v3, v3, v2, v122
	v_lshlrev_b32_e32 v122, 18, v4
	v_lshlrev_b32_e32 v123, 25, v4
	v_and_b32_e32 v122, 0x100000, v122
	v_and_b32_e32 v123, 0x10000000, v123
	v_or3_b32 v2, v2, v122, v123
	v_and_b32_e32 v122, 0x1f00, v3
	v_lshlrev_b16_e32 v3, 8, v3
	v_add_u16_e32 v122, 0xf000, v122
	v_add_u16_e32 v3, 0xf000, v3
	v_perm_b32 v3, v3, v122, s24
	v_and_b32_sdwa v122, v2, s21 dst_sel:DWORD dst_unused:UNUSED_PAD src0_sel:WORD_1 src1_sel:DWORD
	v_lshlrev_b16_sdwa v2, v121, v2 dst_sel:DWORD dst_unused:UNUSED_PAD src0_sel:DWORD src1_sel:WORD_1
	v_add_u16_e32 v122, 0xf000, v122
	v_add_u16_e32 v2, 0xf000, v2
	v_perm_b32 v2, v2, v122, s24
	v_lshl_or_b32 v124, v2, 16, v3
	v_lshrrev_b32_e32 v2, 4, v130
	v_and_b32_e32 v125, 0xf0f0f0f, v2
	v_add_co_u32_e32 v2, vcc, s8, v95
	v_addc_co_u32_e32 v3, vcc, v96, v1, vcc
	v_add_co_u32_e32 v122, vcc, s8, v97
	v_addc_co_u32_e32 v123, vcc, v98, v1, vcc
	v_lshrrev_b32_e32 v126, 12, v4
	global_load_dword v129, v[122:123], off
	global_load_dword v130, v[2:3], off
	v_lshrrev_b32_e32 v3, 5, v4
	v_and_b32_e32 v2, 16, v126
	v_and_b32_e32 v3, 0x1000, v3
	v_or3_b32 v2, v2, v125, v3
	v_lshlrev_b32_e32 v3, 2, v4
	v_lshlrev_b32_e32 v4, 9, v4
	v_and_b32_e32 v3, 0x100000, v3
	v_and_b32_e32 v4, 0x10000000, v4
	v_or3_b32 v3, v125, v3, v4
	v_and_b32_sdwa v4, v3, s21 dst_sel:DWORD dst_unused:UNUSED_PAD src0_sel:WORD_1 src1_sel:DWORD
	v_lshlrev_b16_sdwa v3, v121, v3 dst_sel:DWORD dst_unused:UNUSED_PAD src0_sel:DWORD src1_sel:WORD_1
	v_add_u16_e32 v4, 0xf000, v4
	v_add_u16_e32 v3, 0xf000, v3
	v_perm_b32 v3, v3, v4, s24
	v_and_b32_e32 v4, 0x1f00, v2
	v_lshlrev_b16_e32 v2, 8, v2
	v_add_u16_e32 v2, 0xf000, v2
	v_or_b32_sdwa v2, v4, v2 dst_sel:DWORD dst_unused:UNUSED_PAD src0_sel:DWORD src1_sel:BYTE_1
	v_add_u16_e32 v2, 0xf000, v2
	v_lshl_or_b32 v2, v3, 16, v2
	s_waitcnt vmcnt(3)
	v_ashrrev_i32_e32 v4, v28, v127
	v_lshlrev_b32_e32 v3, 4, v4
	v_lshlrev_b32_e32 v122, 11, v4
	ds_write2_b32 v16, v124, v2 offset1:1
	s_waitcnt vmcnt(2)
	v_and_b32_e32 v2, 0xf0f0f0f, v128
	v_and_b32_e32 v3, 16, v3
	;; [unrolled: 1-line block ×3, first 2 shown]
	v_or3_b32 v3, v3, v2, v122
	v_lshlrev_b32_e32 v122, 18, v4
	v_lshlrev_b32_e32 v123, 25, v4
	v_and_b32_e32 v122, 0x100000, v122
	v_and_b32_e32 v123, 0x10000000, v123
	v_or3_b32 v2, v2, v122, v123
	v_and_b32_e32 v122, 0x1f00, v3
	v_lshlrev_b16_e32 v3, 8, v3
	v_add_u16_e32 v122, 0xf000, v122
	v_add_u16_e32 v3, 0xf000, v3
	v_perm_b32 v3, v3, v122, s24
	v_and_b32_sdwa v122, v2, s21 dst_sel:DWORD dst_unused:UNUSED_PAD src0_sel:WORD_1 src1_sel:DWORD
	v_lshlrev_b16_sdwa v2, v121, v2 dst_sel:DWORD dst_unused:UNUSED_PAD src0_sel:DWORD src1_sel:WORD_1
	v_add_u16_e32 v122, 0xf000, v122
	v_add_u16_e32 v2, 0xf000, v2
	v_perm_b32 v2, v2, v122, s24
	v_lshl_or_b32 v124, v2, 16, v3
	v_lshrrev_b32_e32 v2, 4, v128
	v_and_b32_e32 v125, 0xf0f0f0f, v2
	v_add_co_u32_e32 v2, vcc, s8, v99
	v_addc_co_u32_e32 v3, vcc, v100, v1, vcc
	v_add_co_u32_e32 v122, vcc, s8, v101
	v_addc_co_u32_e32 v123, vcc, v102, v1, vcc
	global_load_dword v127, v[122:123], off
	global_load_dword v128, v[2:3], off
	v_lshrrev_b32_e32 v126, 12, v4
	v_lshrrev_b32_e32 v3, 5, v4
	v_and_b32_e32 v2, 16, v126
	v_and_b32_e32 v3, 0x1000, v3
	v_or3_b32 v2, v2, v125, v3
	v_lshlrev_b32_e32 v3, 2, v4
	v_lshlrev_b32_e32 v4, 9, v4
	v_and_b32_e32 v3, 0x100000, v3
	v_and_b32_e32 v4, 0x10000000, v4
	v_or3_b32 v3, v125, v3, v4
	v_and_b32_sdwa v4, v3, s21 dst_sel:DWORD dst_unused:UNUSED_PAD src0_sel:WORD_1 src1_sel:DWORD
	v_lshlrev_b16_sdwa v3, v121, v3 dst_sel:DWORD dst_unused:UNUSED_PAD src0_sel:DWORD src1_sel:WORD_1
	v_add_u16_e32 v4, 0xf000, v4
	v_add_u16_e32 v3, 0xf000, v3
	v_perm_b32 v3, v3, v4, s24
	v_and_b32_e32 v4, 0x1f00, v2
	v_lshlrev_b16_e32 v2, 8, v2
	v_add_u16_e32 v2, 0xf000, v2
	v_or_b32_sdwa v2, v4, v2 dst_sel:DWORD dst_unused:UNUSED_PAD src0_sel:DWORD src1_sel:BYTE_1
	v_add_u16_e32 v2, 0xf000, v2
	v_lshl_or_b32 v2, v3, 16, v2
	ds_write2_b32 v17, v124, v2 offset1:1
	s_waitcnt vmcnt(3)
	v_ashrrev_i32_e32 v2, v28, v129
	v_lshlrev_b32_e32 v4, 4, v2
	v_lshlrev_b32_e32 v122, 11, v2
	s_waitcnt vmcnt(2)
	v_and_b32_e32 v3, 0xf0f0f0f, v130
	v_and_b32_e32 v4, 16, v4
	;; [unrolled: 1-line block ×3, first 2 shown]
	v_or3_b32 v4, v4, v3, v122
	v_lshlrev_b32_e32 v122, 18, v2
	v_lshlrev_b32_e32 v123, 25, v2
	v_and_b32_e32 v122, 0x100000, v122
	v_and_b32_e32 v123, 0x10000000, v123
	v_or3_b32 v3, v3, v122, v123
	v_and_b32_e32 v122, 0x1f00, v4
	v_lshlrev_b16_e32 v4, 8, v4
	v_add_u16_e32 v122, 0xf000, v122
	v_add_u16_e32 v4, 0xf000, v4
	v_perm_b32 v4, v4, v122, s24
	v_and_b32_sdwa v122, v3, s21 dst_sel:DWORD dst_unused:UNUSED_PAD src0_sel:WORD_1 src1_sel:DWORD
	v_lshlrev_b16_sdwa v3, v121, v3 dst_sel:DWORD dst_unused:UNUSED_PAD src0_sel:DWORD src1_sel:WORD_1
	v_add_u16_e32 v122, 0xf000, v122
	v_add_u16_e32 v3, 0xf000, v3
	v_perm_b32 v3, v3, v122, s24
	v_lshl_or_b32 v4, v3, 16, v4
	v_lshrrev_b32_e32 v3, 4, v130
	v_lshrrev_b32_e32 v122, 12, v2
	;; [unrolled: 1-line block ×3, first 2 shown]
	v_and_b32_e32 v3, 0xf0f0f0f, v3
	v_and_b32_e32 v122, 16, v122
	;; [unrolled: 1-line block ×3, first 2 shown]
	v_or3_b32 v124, v122, v3, v123
	v_lshlrev_b32_e32 v122, 2, v2
	v_lshlrev_b32_e32 v2, 9, v2
	v_and_b32_e32 v122, 0x100000, v122
	v_and_b32_e32 v2, 0x10000000, v2
	v_or3_b32 v125, v3, v122, v2
	v_add_co_u32_e32 v2, vcc, s8, v103
	v_addc_co_u32_e32 v3, vcc, v104, v1, vcc
	v_add_co_u32_e32 v122, vcc, s8, v105
	v_addc_co_u32_e32 v123, vcc, v106, v1, vcc
	v_and_b32_sdwa v126, v125, s21 dst_sel:DWORD dst_unused:UNUSED_PAD src0_sel:WORD_1 src1_sel:DWORD
	global_load_dword v122, v[122:123], off
	s_nop 0
	global_load_dword v123, v[2:3], off
	v_lshlrev_b16_sdwa v3, v121, v125 dst_sel:DWORD dst_unused:UNUSED_PAD src0_sel:DWORD src1_sel:WORD_1
	v_add_u16_e32 v2, 0xf000, v126
	v_add_u16_e32 v3, 0xf000, v3
	v_perm_b32 v2, v3, v2, s24
	v_and_b32_e32 v3, 0x1f00, v124
	v_lshlrev_b16_e32 v124, 8, v124
	v_add_u16_e32 v124, 0xf000, v124
	v_or_b32_sdwa v3, v3, v124 dst_sel:DWORD dst_unused:UNUSED_PAD src0_sel:DWORD src1_sel:BYTE_1
	v_add_u16_e32 v3, 0xf000, v3
	v_lshl_or_b32 v2, v2, 16, v3
	ds_write2_b32 v18, v4, v2 offset1:1
	s_waitcnt vmcnt(3)
	v_ashrrev_i32_e32 v4, v28, v127
	v_lshlrev_b32_e32 v3, 4, v4
	v_lshlrev_b32_e32 v124, 11, v4
	s_waitcnt vmcnt(2)
	v_and_b32_e32 v2, 0xf0f0f0f, v128
	v_and_b32_e32 v3, 16, v3
	v_and_b32_e32 v124, 0x1000, v124
	v_or3_b32 v3, v3, v2, v124
	v_lshlrev_b32_e32 v124, 18, v4
	v_lshlrev_b32_e32 v125, 25, v4
	v_and_b32_e32 v124, 0x100000, v124
	v_and_b32_e32 v125, 0x10000000, v125
	v_or3_b32 v2, v2, v124, v125
	v_and_b32_e32 v124, 0x1f00, v3
	v_lshlrev_b16_e32 v3, 8, v3
	v_add_u16_e32 v124, 0xf000, v124
	v_add_u16_e32 v3, 0xf000, v3
	v_perm_b32 v124, v3, v124, s24
	v_and_b32_sdwa v3, v2, s21 dst_sel:DWORD dst_unused:UNUSED_PAD src0_sel:WORD_1 src1_sel:DWORD
	v_lshlrev_b16_sdwa v126, v121, v2 dst_sel:DWORD dst_unused:UNUSED_PAD src0_sel:DWORD src1_sel:WORD_1
	v_add_co_u32_e32 v2, vcc, s8, v108
	v_add_u16_e32 v125, 0xf000, v3
	v_addc_co_u32_e32 v3, vcc, v109, v1, vcc
	global_load_ushort v127, v[2:3], off
	v_add_co_u32_e32 v2, vcc, s8, v110
	v_addc_co_u32_e32 v3, vcc, v111, v1, vcc
	global_load_ushort v129, v[2:3], off
	v_add_co_u32_e32 v2, vcc, s8, v113
	v_addc_co_u32_e32 v3, vcc, v114, v1, vcc
	global_load_ushort v130, v[2:3], off
	v_add_co_u32_e32 v2, vcc, s8, v115
	v_addc_co_u32_e32 v3, vcc, v116, v1, vcc
	global_load_ushort v1, v[2:3], off
	v_add_u16_e32 v2, 0xf000, v126
	v_perm_b32 v2, v2, v125, s24
	v_lshl_or_b32 v2, v2, 16, v124
	v_lshrrev_b32_e32 v3, 4, v128
	v_lshrrev_b32_e32 v124, 12, v4
	;; [unrolled: 1-line block ×3, first 2 shown]
	v_and_b32_e32 v3, 0xf0f0f0f, v3
	v_and_b32_e32 v124, 16, v124
	;; [unrolled: 1-line block ×3, first 2 shown]
	v_or3_b32 v124, v124, v3, v125
	v_lshlrev_b32_e32 v125, 2, v4
	v_lshlrev_b32_e32 v4, 9, v4
	v_and_b32_e32 v125, 0x100000, v125
	v_and_b32_e32 v4, 0x10000000, v4
	v_or3_b32 v3, v3, v125, v4
	v_and_b32_sdwa v4, v3, s21 dst_sel:DWORD dst_unused:UNUSED_PAD src0_sel:WORD_1 src1_sel:DWORD
	v_lshlrev_b16_sdwa v3, v121, v3 dst_sel:DWORD dst_unused:UNUSED_PAD src0_sel:DWORD src1_sel:WORD_1
	v_add_u16_e32 v4, 0xf000, v4
	v_add_u16_e32 v3, 0xf000, v3
	v_perm_b32 v3, v3, v4, s24
	v_and_b32_e32 v4, 0x1f00, v124
	v_lshlrev_b16_e32 v124, 8, v124
	v_add_u16_e32 v124, 0xf000, v124
	v_or_b32_sdwa v4, v4, v124 dst_sel:DWORD dst_unused:UNUSED_PAD src0_sel:DWORD src1_sel:BYTE_1
	v_add_u16_e32 v4, 0xf000, v4
	v_lshl_or_b32 v3, v3, 16, v4
	ds_write2_b32 v19, v2, v3 offset1:1
	s_waitcnt vmcnt(5)
	v_ashrrev_i32_e32 v2, v28, v122
	v_lshlrev_b32_e32 v4, 4, v2
	v_lshlrev_b32_e32 v122, 11, v2
	s_waitcnt vmcnt(4)
	v_and_b32_e32 v3, 0xf0f0f0f, v123
	v_and_b32_e32 v4, 16, v4
	;; [unrolled: 1-line block ×3, first 2 shown]
	v_or3_b32 v4, v4, v3, v122
	v_lshlrev_b32_e32 v122, 18, v2
	v_lshlrev_b32_e32 v124, 25, v2
	v_and_b32_e32 v122, 0x100000, v122
	v_and_b32_e32 v124, 0x10000000, v124
	v_or3_b32 v3, v3, v122, v124
	v_and_b32_e32 v122, 0x1f00, v4
	v_lshlrev_b16_e32 v4, 8, v4
	v_add_u16_e32 v122, 0xf000, v122
	v_add_u16_e32 v4, 0xf000, v4
	v_perm_b32 v4, v4, v122, s24
	v_and_b32_sdwa v122, v3, s21 dst_sel:DWORD dst_unused:UNUSED_PAD src0_sel:WORD_1 src1_sel:DWORD
	v_lshlrev_b16_sdwa v3, v121, v3 dst_sel:DWORD dst_unused:UNUSED_PAD src0_sel:DWORD src1_sel:WORD_1
	v_add_u16_e32 v122, 0xf000, v122
	v_add_u16_e32 v3, 0xf000, v3
	v_perm_b32 v3, v3, v122, s24
	v_lshl_or_b32 v3, v3, 16, v4
	v_lshrrev_b32_e32 v4, 4, v123
	v_lshrrev_b32_e32 v122, 12, v2
	;; [unrolled: 1-line block ×3, first 2 shown]
	v_and_b32_e32 v4, 0xf0f0f0f, v4
	v_and_b32_e32 v122, 16, v122
	;; [unrolled: 1-line block ×3, first 2 shown]
	v_or3_b32 v122, v122, v4, v123
	v_lshlrev_b32_e32 v123, 2, v2
	v_lshlrev_b32_e32 v2, 9, v2
	v_and_b32_e32 v123, 0x100000, v123
	v_and_b32_e32 v2, 0x10000000, v2
	v_or3_b32 v2, v4, v123, v2
	v_and_b32_sdwa v4, v2, s21 dst_sel:DWORD dst_unused:UNUSED_PAD src0_sel:WORD_1 src1_sel:DWORD
	v_lshlrev_b16_sdwa v2, v121, v2 dst_sel:DWORD dst_unused:UNUSED_PAD src0_sel:DWORD src1_sel:WORD_1
	v_add_u16_e32 v4, 0xf000, v4
	v_add_u16_e32 v2, 0xf000, v2
	v_perm_b32 v2, v2, v4, s24
	v_and_b32_e32 v4, 0x1f00, v122
	v_lshlrev_b16_e32 v122, 8, v122
	v_add_u16_e32 v122, 0xf000, v122
	v_or_b32_sdwa v4, v4, v122 dst_sel:DWORD dst_unused:UNUSED_PAD src0_sel:DWORD src1_sel:BYTE_1
	v_add_u16_e32 v4, 0xf000, v4
	v_lshl_or_b32 v2, v2, 16, v4
	s_waitcnt vmcnt(3)
	v_cvt_f32_f16_e32 v4, v127
	ds_write2_b32 v20, v3, v2 offset1:1
	s_waitcnt vmcnt(1)
	v_cvt_f32_f16_e32 v2, v130
	v_cvt_f32_f16_e32 v122, v129
	ds_write_b32 v117, v4
	ds_write_b32 v118, v122
	s_waitcnt vmcnt(0)
	v_cvt_f32_f16_e32 v1, v1
	ds_write_b32 v119, v2
	ds_write_b32 v120, v1
	s_cbranch_scc0 .LBB182_5
; %bb.7:                                ;   in Loop: Header=BB182_6 Depth=1
	v_add_u32_e32 v1, s10, v29
	v_cmp_gt_i32_e32 vcc, s12, v1
	s_and_b64 s[26:27], s[2:3], vcc
	s_and_saveexec_b64 s[4:5], s[26:27]
	s_cbranch_execz .LBB182_9
; %bb.8:                                ;   in Loop: Header=BB182_6 Depth=1
	v_add_u32_e32 v1, s10, v41
	v_mad_i64_i32 v[1:2], s[26:27], v1, 36, v[21:22]
	global_load_dword v1, v[1:2], off offset:4
	s_waitcnt vmcnt(0)
	ds_write_b32 v31, v1
.LBB182_9:                              ;   in Loop: Header=BB182_6 Depth=1
	s_or_b64 exec, exec, s[4:5]
	v_add_u32_e32 v122, s10, v0
	v_cmp_gt_i32_e32 vcc, s12, v122
	s_and_b64 s[26:27], s[18:19], vcc
	s_and_saveexec_b64 s[4:5], s[26:27]
	s_cbranch_execz .LBB182_11
; %bb.10:                               ;   in Loop: Header=BB182_6 Depth=1
	v_add_u32_e32 v1, s10, v42
	v_mad_i64_i32 v[1:2], s[26:27], v1, 36, s[6:7]
	global_load_dword v1, v[1:2], off
	s_waitcnt vmcnt(0)
	v_cvt_f32_f16_e32 v1, v1
	ds_write_b32 v33, v1
.LBB182_11:                             ;   in Loop: Header=BB182_6 Depth=1
	s_or_b64 exec, exec, s[4:5]
	s_waitcnt lgkmcnt(0)
	s_barrier
	ds_read_b128 v[1:4], v32
	ds_read2_b32 v[139:140], v34 offset1:1
	ds_read_b128 v[123:126], v30
	ds_read_b128 v[127:130], v30 offset:16
	ds_read_b128 v[131:134], v30 offset:32
	;; [unrolled: 1-line block ×3, first 2 shown]
	ds_read2_b32 v[141:142], v35 offset1:1
	ds_read2_b32 v[143:144], v34 offset0:2 offset1:3
	s_waitcnt lgkmcnt(5)
	v_dot4_i32_i8 v139, v139, v123, 0
	s_waitcnt lgkmcnt(4)
	v_dot4_i32_i8 v149, v140, v127, v139
	ds_read2_b32 v[139:140], v34 offset0:4 offset1:5
	ds_read2_b32 v[145:146], v34 offset0:6 offset1:7
	;; [unrolled: 1-line block ×3, first 2 shown]
	s_waitcnt lgkmcnt(4)
	v_mul_f32_e32 v141, v1, v141
	s_waitcnt lgkmcnt(3)
	v_dot4_i32_i8 v143, v143, v124, v149
	v_dot4_i32_i8 v143, v144, v128, v143
	s_waitcnt lgkmcnt(2)
	v_dot4_i32_i8 v139, v139, v125, v143
	v_dot4_i32_i8 v139, v140, v129, v139
	;; [unrolled: 3-line block ×3, first 2 shown]
	v_add_u32_e32 v149, 0x2080, v34
	v_cvt_f32_i32_e32 v151, v139
	ds_read2_b32 v[139:140], v34 offset0:26 offset1:27
	ds_read2_b32 v[143:144], v34 offset0:28 offset1:29
	;; [unrolled: 1-line block ×3, first 2 shown]
	ds_read2_b32 v[149:150], v149 offset1:1
	v_add_u32_e32 v157, 0x2090, v34
	v_fmac_f32_e32 v27, v141, v151
	ds_read2_b32 v[151:152], v36 offset1:1
	ds_read2_b32 v[153:154], v38 offset1:1
	ds_read2_b32 v[155:156], v38 offset0:2 offset1:3
	v_add_u32_e32 v159, 0x2098, v34
	s_waitcnt lgkmcnt(3)
	v_dot4_i32_i8 v141, v149, v123, 0
	v_add_u32_e32 v149, 0x2088, v34
	v_dot4_i32_i8 v141, v150, v127, v141
	ds_read2_b32 v[149:150], v149 offset1:1
	v_add_u32_e32 v161, 0x4100, v34
	ds_read2_b32 v[157:158], v157 offset1:1
	ds_read2_b32 v[159:160], v159 offset1:1
	;; [unrolled: 1-line block ×3, first 2 shown]
	s_waitcnt lgkmcnt(6)
	v_mul_f32_e32 v151, v1, v151
	v_add_u32_e32 v165, 0x4118, v34
	s_waitcnt lgkmcnt(3)
	v_dot4_i32_i8 v141, v149, v124, v141
	v_dot4_i32_i8 v141, v150, v128, v141
	s_waitcnt lgkmcnt(2)
	v_dot4_i32_i8 v141, v157, v125, v141
	v_dot4_i32_i8 v141, v158, v129, v141
	;; [unrolled: 3-line block ×3, first 2 shown]
	v_cvt_f32_i32_e32 v141, v141
	ds_read2_b32 v[149:150], v37 offset1:1
	ds_read2_b32 v[157:158], v36 offset0:2 offset1:3
	ds_read2_b32 v[159:160], v35 offset0:2 offset1:3
	v_add_u32_e32 v167, 0x6180, v34
	s_cmp_ge_i32 s20, s9
	v_fmac_f32_e32 v112, v151, v141
	s_waitcnt lgkmcnt(3)
	v_dot4_i32_i8 v141, v161, v123, 0
	v_add_u32_e32 v151, 0x4108, v34
	v_dot4_i32_i8 v141, v162, v127, v141
	ds_read2_b32 v[161:162], v151 offset1:1
	v_add_u32_e32 v151, 0x4110, v34
	ds_read2_b32 v[163:164], v151 offset1:1
	ds_read2_b32 v[165:166], v165 offset1:1
	;; [unrolled: 1-line block ×3, first 2 shown]
	v_add_u32_e32 v151, 0x6198, v34
	s_waitcnt lgkmcnt(6)
	v_mul_f32_e32 v149, v1, v149
	s_waitcnt lgkmcnt(3)
	v_dot4_i32_i8 v141, v161, v124, v141
	v_dot4_i32_i8 v141, v162, v128, v141
	s_waitcnt lgkmcnt(0)
	v_dot4_i32_i8 v123, v167, v123, 0
	v_dot4_i32_i8 v123, v168, v127, v123
	v_add_u32_e32 v127, 0x6188, v34
	ds_read2_b32 v[161:162], v127 offset1:1
	v_dot4_i32_i8 v141, v163, v125, v141
	v_dot4_i32_i8 v141, v164, v129, v141
	;; [unrolled: 1-line block ×3, first 2 shown]
	v_add_u32_e32 v127, 0x6190, v34
	v_add_u32_e32 v167, 0x20a0, v34
	v_dot4_i32_i8 v141, v166, v130, v141
	ds_read2_b32 v[163:164], v127 offset1:1
	ds_read2_b32 v[165:166], v151 offset1:1
	;; [unrolled: 1-line block ×3, first 2 shown]
	s_waitcnt lgkmcnt(3)
	v_dot4_i32_i8 v123, v161, v124, v123
	v_dot4_i32_i8 v123, v162, v128, v123
	s_waitcnt lgkmcnt(2)
	v_dot4_i32_i8 v123, v163, v125, v123
	v_dot4_i32_i8 v123, v164, v129, v123
	;; [unrolled: 3-line block ×3, first 2 shown]
	v_cvt_f32_i32_e32 v123, v123
	v_mul_f32_e32 v1, v1, v153
	ds_read2_b32 v[161:162], v37 offset0:2 offset1:3
	v_cvt_f32_i32_e32 v141, v141
	v_fmac_f32_e32 v25, v1, v123
	ds_read2_b32 v[123:124], v34 offset0:10 offset1:11
	v_dot4_i32_i8 v1, v147, v131, 0
	v_dot4_i32_i8 v1, v148, v135, v1
	ds_read2_b32 v[125:126], v34 offset0:12 offset1:13
	ds_read2_b32 v[127:128], v34 offset0:14 offset1:15
	;; [unrolled: 1-line block ×3, first 2 shown]
	v_fmac_f32_e32 v107, v149, v141
	s_waitcnt lgkmcnt(3)
	v_dot4_i32_i8 v1, v123, v132, v1
	v_dot4_i32_i8 v123, v167, v131, 0
	;; [unrolled: 1-line block ×3, first 2 shown]
	v_add_u32_e32 v123, 0x20a8, v34
	v_dot4_i32_i8 v1, v124, v136, v1
	ds_read2_b32 v[123:124], v123 offset1:1
	s_waitcnt lgkmcnt(3)
	v_dot4_i32_i8 v1, v125, v133, v1
	v_dot4_i32_i8 v1, v126, v137, v1
	s_waitcnt lgkmcnt(2)
	v_dot4_i32_i8 v1, v127, v134, v1
	v_add_u32_e32 v125, 0x20b0, v34
	v_add_u32_e32 v127, 0x20b8, v34
	;; [unrolled: 1-line block ×3, first 2 shown]
	v_dot4_i32_i8 v1, v128, v138, v1
	ds_read2_b32 v[125:126], v125 offset1:1
	ds_read2_b32 v[127:128], v127 offset1:1
	;; [unrolled: 1-line block ×3, first 2 shown]
	s_waitcnt lgkmcnt(3)
	v_dot4_i32_i8 v123, v123, v132, v141
	v_dot4_i32_i8 v123, v124, v136, v123
	s_waitcnt lgkmcnt(2)
	v_dot4_i32_i8 v123, v125, v133, v123
	v_dot4_i32_i8 v123, v126, v137, v123
	s_waitcnt lgkmcnt(1)
	v_dot4_i32_i8 v123, v127, v134, v123
	v_cvt_f32_i32_e32 v1, v1
	v_dot4_i32_i8 v123, v128, v138, v123
	v_cvt_f32_i32_e32 v123, v123
	v_mul_f32_e32 v124, v2, v142
	v_fmac_f32_e32 v27, v124, v1
	v_mul_f32_e32 v1, v2, v152
	v_fmac_f32_e32 v112, v1, v123
	s_waitcnt lgkmcnt(0)
	v_dot4_i32_i8 v1, v129, v131, 0
	v_add_u32_e32 v123, 0x4128, v34
	v_add_u32_e32 v125, 0x4130, v34
	;; [unrolled: 1-line block ×4, first 2 shown]
	v_dot4_i32_i8 v1, v130, v135, v1
	ds_read2_b32 v[123:124], v123 offset1:1
	ds_read2_b32 v[125:126], v125 offset1:1
	;; [unrolled: 1-line block ×4, first 2 shown]
	v_mul_f32_e32 v149, v2, v150
	s_waitcnt lgkmcnt(3)
	v_dot4_i32_i8 v1, v123, v132, v1
	s_waitcnt lgkmcnt(0)
	v_dot4_i32_i8 v123, v129, v131, 0
	v_dot4_i32_i8 v129, v130, v135, v123
	v_add_u32_e32 v123, 0x61a8, v34
	v_dot4_i32_i8 v1, v124, v136, v1
	ds_read2_b32 v[123:124], v123 offset1:1
	v_dot4_i32_i8 v1, v125, v133, v1
	v_dot4_i32_i8 v1, v126, v137, v1
	;; [unrolled: 1-line block ×3, first 2 shown]
	v_add_u32_e32 v125, 0x61b0, v34
	v_add_u32_e32 v127, 0x61b8, v34
	v_dot4_i32_i8 v1, v128, v138, v1
	v_add_u32_e32 v130, 0x20c0, v34
	ds_read2_b32 v[125:126], v125 offset1:1
	ds_read2_b32 v[127:128], v127 offset1:1
	;; [unrolled: 1-line block ×3, first 2 shown]
	s_waitcnt lgkmcnt(3)
	v_dot4_i32_i8 v123, v123, v132, v129
	v_dot4_i32_i8 v123, v124, v136, v123
	s_waitcnt lgkmcnt(2)
	v_dot4_i32_i8 v123, v125, v133, v123
	v_dot4_i32_i8 v123, v126, v137, v123
	s_waitcnt lgkmcnt(1)
	v_dot4_i32_i8 v123, v127, v134, v123
	v_cvt_f32_i32_e32 v1, v1
	v_dot4_i32_i8 v123, v128, v138, v123
	v_cvt_f32_i32_e32 v131, v123
	ds_read_b128 v[123:126], v30 offset:64
	ds_read_b128 v[127:130], v30 offset:80
	v_fmac_f32_e32 v107, v149, v1
	v_mul_f32_e32 v1, v2, v154
	v_fmac_f32_e32 v25, v1, v131
	ds_read2_b32 v[1:2], v34 offset0:18 offset1:19
	s_waitcnt lgkmcnt(2)
	v_dot4_i32_i8 v131, v147, v123, 0
	s_waitcnt lgkmcnt(1)
	v_dot4_i32_i8 v137, v148, v127, v131
	ds_read2_b32 v[131:132], v34 offset0:20 offset1:21
	ds_read2_b32 v[133:134], v34 offset0:22 offset1:23
	ds_read2_b32 v[135:136], v34 offset0:24 offset1:25
	s_waitcnt lgkmcnt(3)
	v_dot4_i32_i8 v1, v1, v124, v137
	v_dot4_i32_i8 v1, v2, v128, v1
	s_waitcnt lgkmcnt(2)
	v_dot4_i32_i8 v1, v131, v125, v1
	v_dot4_i32_i8 v1, v132, v129, v1
	;; [unrolled: 3-line block ×3, first 2 shown]
	v_cvt_f32_i32_e32 v147, v1
	v_dot4_i32_i8 v1, v141, v123, 0
	v_dot4_i32_i8 v141, v142, v127, v1
	v_add_u32_e32 v1, 0x20c8, v34
	ds_read2_b32 v[1:2], v1 offset1:1
	v_add_u32_e32 v131, 0x20d0, v34
	v_add_u32_e32 v133, 0x20d8, v34
	v_add_u32_e32 v137, 0x4140, v34
	ds_read2_b32 v[131:132], v131 offset1:1
	ds_read2_b32 v[133:134], v133 offset1:1
	;; [unrolled: 1-line block ×3, first 2 shown]
	s_waitcnt lgkmcnt(3)
	v_dot4_i32_i8 v1, v1, v124, v141
	v_dot4_i32_i8 v1, v2, v128, v1
	s_waitcnt lgkmcnt(2)
	v_dot4_i32_i8 v1, v131, v125, v1
	v_dot4_i32_i8 v1, v132, v129, v1
	;; [unrolled: 3-line block ×3, first 2 shown]
	v_cvt_f32_i32_e32 v1, v1
	v_mul_f32_e32 v2, v3, v159
	v_fmac_f32_e32 v27, v2, v147
	v_mul_f32_e32 v2, v3, v157
	v_fmac_f32_e32 v112, v2, v1
	s_waitcnt lgkmcnt(0)
	v_dot4_i32_i8 v1, v137, v123, 0
	v_dot4_i32_i8 v141, v138, v127, v1
	v_add_u32_e32 v1, 0x4148, v34
	ds_read2_b32 v[1:2], v1 offset1:1
	v_add_u32_e32 v131, 0x4150, v34
	v_add_u32_e32 v133, 0x4158, v34
	;; [unrolled: 1-line block ×3, first 2 shown]
	ds_read2_b32 v[131:132], v131 offset1:1
	ds_read2_b32 v[133:134], v133 offset1:1
	;; [unrolled: 1-line block ×3, first 2 shown]
	s_waitcnt lgkmcnt(3)
	v_dot4_i32_i8 v1, v1, v124, v141
	v_dot4_i32_i8 v1, v2, v128, v1
	s_waitcnt lgkmcnt(2)
	v_dot4_i32_i8 v1, v131, v125, v1
	v_dot4_i32_i8 v1, v132, v129, v1
	;; [unrolled: 3-line block ×3, first 2 shown]
	v_cvt_f32_i32_e32 v142, v1
	s_waitcnt lgkmcnt(0)
	v_dot4_i32_i8 v1, v137, v123, 0
	v_dot4_i32_i8 v123, v138, v127, v1
	v_add_u32_e32 v1, 0x61c8, v34
	ds_read2_b32 v[1:2], v1 offset1:1
	v_add_u32_e32 v127, 0x61d0, v34
	v_add_u32_e32 v133, 0x61d8, v34
	;; [unrolled: 1-line block ×3, first 2 shown]
	ds_read2_b32 v[131:132], v127 offset1:1
	ds_read2_b32 v[133:134], v133 offset1:1
	;; [unrolled: 1-line block ×3, first 2 shown]
	s_waitcnt lgkmcnt(3)
	v_dot4_i32_i8 v1, v1, v124, v123
	v_dot4_i32_i8 v1, v2, v128, v1
	s_waitcnt lgkmcnt(2)
	v_dot4_i32_i8 v1, v131, v125, v1
	v_dot4_i32_i8 v1, v132, v129, v1
	;; [unrolled: 3-line block ×3, first 2 shown]
	v_cvt_f32_i32_e32 v1, v1
	ds_read_b128 v[123:126], v30 offset:96
	ds_read_b128 v[127:130], v30 offset:112
	v_mul_f32_e32 v2, v3, v155
	v_mul_f32_e32 v141, v3, v161
	v_fmac_f32_e32 v25, v2, v1
	s_waitcnt lgkmcnt(1)
	v_dot4_i32_i8 v1, v135, v123, 0
	s_waitcnt lgkmcnt(0)
	v_dot4_i32_i8 v1, v136, v127, v1
	v_dot4_i32_i8 v1, v139, v124, v1
	;; [unrolled: 1-line block ×7, first 2 shown]
	v_cvt_f32_i32_e32 v3, v1
	v_dot4_i32_i8 v1, v137, v123, 0
	v_dot4_i32_i8 v137, v138, v127, v1
	v_add_u32_e32 v1, 0x20e8, v34
	ds_read2_b32 v[1:2], v1 offset1:1
	v_add_u32_e32 v131, 0x20f0, v34
	v_add_u32_e32 v133, 0x20f8, v34
	;; [unrolled: 1-line block ×3, first 2 shown]
	ds_read2_b32 v[131:132], v131 offset1:1
	ds_read2_b32 v[133:134], v133 offset1:1
	;; [unrolled: 1-line block ×3, first 2 shown]
	s_waitcnt lgkmcnt(3)
	v_dot4_i32_i8 v1, v1, v124, v137
	v_dot4_i32_i8 v1, v2, v128, v1
	s_waitcnt lgkmcnt(2)
	v_dot4_i32_i8 v1, v131, v125, v1
	v_dot4_i32_i8 v1, v132, v129, v1
	;; [unrolled: 3-line block ×3, first 2 shown]
	v_cvt_f32_i32_e32 v1, v1
	v_mul_f32_e32 v2, v4, v160
	v_fmac_f32_e32 v27, v2, v3
	v_mul_f32_e32 v2, v4, v158
	v_fmac_f32_e32 v112, v2, v1
	s_waitcnt lgkmcnt(0)
	v_dot4_i32_i8 v1, v135, v123, 0
	v_dot4_i32_i8 v3, v136, v127, v1
	v_add_u32_e32 v1, 0x4168, v34
	ds_read2_b32 v[1:2], v1 offset1:1
	v_add_u32_e32 v131, 0x4170, v34
	v_add_u32_e32 v133, 0x4178, v34
	v_add_u32_e32 v135, 0x61e0, v34
	ds_read2_b32 v[131:132], v131 offset1:1
	ds_read2_b32 v[133:134], v133 offset1:1
	;; [unrolled: 1-line block ×3, first 2 shown]
	s_waitcnt lgkmcnt(3)
	v_dot4_i32_i8 v1, v1, v124, v3
	v_dot4_i32_i8 v1, v2, v128, v1
	s_waitcnt lgkmcnt(2)
	v_dot4_i32_i8 v1, v131, v125, v1
	v_dot4_i32_i8 v1, v132, v129, v1
	;; [unrolled: 3-line block ×3, first 2 shown]
	v_cvt_f32_i32_e32 v3, v1
	s_waitcnt lgkmcnt(0)
	v_dot4_i32_i8 v1, v135, v123, 0
	v_dot4_i32_i8 v123, v136, v127, v1
	v_add_u32_e32 v1, 0x61e8, v34
	ds_read2_b32 v[1:2], v1 offset1:1
	v_add_u32_e32 v127, 0x61f0, v34
	ds_read2_b32 v[131:132], v127 offset1:1
	;; [unrolled: 2-line block ×3, first 2 shown]
	s_waitcnt lgkmcnt(2)
	v_dot4_i32_i8 v1, v1, v124, v123
	v_dot4_i32_i8 v1, v2, v128, v1
	s_waitcnt lgkmcnt(1)
	v_dot4_i32_i8 v1, v131, v125, v1
	v_dot4_i32_i8 v1, v132, v129, v1
	;; [unrolled: 3-line block ×3, first 2 shown]
	v_cvt_f32_i32_e32 v1, v1
	v_fmac_f32_e32 v107, v141, v142
	v_mul_f32_e32 v2, v4, v162
	v_fmac_f32_e32 v107, v2, v3
	v_mul_f32_e32 v2, v4, v156
	v_fmac_f32_e32 v25, v2, v1
	s_barrier
	s_cbranch_scc1 .LBB182_5
; %bb.12:                               ;   in Loop: Header=BB182_6 Depth=1
	v_add_u32_e32 v1, s10, v39
	v_cmp_gt_i32_e32 vcc, s12, v1
	s_and_b64 s[26:27], s[2:3], vcc
	s_and_saveexec_b64 s[4:5], s[26:27]
	s_cbranch_execz .LBB182_14
; %bb.13:                               ;   in Loop: Header=BB182_6 Depth=1
	v_add_u32_e32 v1, s10, v40
	v_mad_i64_i32 v[1:2], s[26:27], v1, 36, v[21:22]
	global_load_dword v1, v[1:2], off offset:4
	s_waitcnt vmcnt(0)
	ds_write_b32 v31, v1
.LBB182_14:                             ;   in Loop: Header=BB182_6 Depth=1
	s_or_b64 exec, exec, s[4:5]
	s_and_saveexec_b64 s[4:5], s[0:1]
	s_cbranch_execz .LBB182_4
; %bb.15:                               ;   in Loop: Header=BB182_6 Depth=1
	v_add_u32_e32 v1, 4, v122
	v_cmp_gt_i32_e32 vcc, s12, v1
	s_and_b64 s[26:27], s[2:3], vcc
	s_and_b64 exec, exec, s[26:27]
	s_cbranch_execz .LBB182_4
; %bb.16:                               ;   in Loop: Header=BB182_6 Depth=1
	global_load_dword v1, v[23:24], off
	s_waitcnt vmcnt(0)
	v_cvt_f32_f16_e32 v1, v1
	ds_write_b32 v33, v1
	s_branch .LBB182_4
.LBB182_17:
	s_mul_i32 s0, s14, s11
	s_waitcnt vmcnt(0)
	v_cmp_gt_i32_e32 vcc, s0, v26
	s_and_saveexec_b64 s[0:1], vcc
	s_cbranch_execz .LBB182_26
; %bb.18:
	v_mul_lo_u32 v1, v26, s13
	v_add_u32_e32 v0, s15, v0
	v_cmp_gt_u32_e32 vcc, s13, v0
	s_and_saveexec_b64 s[0:1], vcc
	s_cbranch_execz .LBB182_20
; %bb.19:
	v_add_u32_e32 v2, v1, v0
	v_mov_b32_e32 v3, 0
	v_lshlrev_b64 v[2:3], 2, v[2:3]
	v_mov_b32_e32 v4, s17
	v_add_co_u32_e32 v2, vcc, s16, v2
	v_addc_co_u32_e32 v3, vcc, v4, v3, vcc
	global_store_dword v[2:3], v27, off
.LBB182_20:
	s_or_b64 exec, exec, s[0:1]
	v_add_u32_e32 v2, 32, v0
	v_cmp_gt_u32_e32 vcc, s13, v2
	s_and_saveexec_b64 s[0:1], vcc
	s_cbranch_execz .LBB182_22
; %bb.21:
	v_add_u32_e32 v2, v1, v2
	v_mov_b32_e32 v3, 0
	v_lshlrev_b64 v[2:3], 2, v[2:3]
	v_mov_b32_e32 v4, s17
	v_add_co_u32_e32 v2, vcc, s16, v2
	v_addc_co_u32_e32 v3, vcc, v4, v3, vcc
	global_store_dword v[2:3], v112, off
.LBB182_22:
	s_or_b64 exec, exec, s[0:1]
	;; [unrolled: 14-line block ×3, first 2 shown]
	v_add_u32_e32 v0, 0x60, v0
	v_cmp_gt_u32_e32 vcc, s13, v0
	s_and_b64 exec, exec, vcc
	s_cbranch_execz .LBB182_26
; %bb.25:
	v_add_u32_e32 v0, v1, v0
	v_mov_b32_e32 v1, 0
	v_lshlrev_b64 v[0:1], 2, v[0:1]
	v_mov_b32_e32 v2, s17
	v_add_co_u32_e32 v0, vcc, s16, v0
	v_addc_co_u32_e32 v1, vcc, v2, v1, vcc
	global_store_dword v[0:1], v25, off
.LBB182_26:
	s_endpgm
	.section	.rodata,"a",@progbits
	.p2align	6, 0x0
	.amdhsa_kernel _ZL8moe_q5_0IfLb1EEvPKvS1_PT_PKiS5_S5_iiiiiii
		.amdhsa_group_segment_fixed_size 38656
		.amdhsa_private_segment_fixed_size 0
		.amdhsa_kernarg_size 76
		.amdhsa_user_sgpr_count 6
		.amdhsa_user_sgpr_private_segment_buffer 1
		.amdhsa_user_sgpr_dispatch_ptr 0
		.amdhsa_user_sgpr_queue_ptr 0
		.amdhsa_user_sgpr_kernarg_segment_ptr 1
		.amdhsa_user_sgpr_dispatch_id 0
		.amdhsa_user_sgpr_flat_scratch_init 0
		.amdhsa_user_sgpr_private_segment_size 0
		.amdhsa_uses_dynamic_stack 0
		.amdhsa_system_sgpr_private_segment_wavefront_offset 0
		.amdhsa_system_sgpr_workgroup_id_x 1
		.amdhsa_system_sgpr_workgroup_id_y 1
		.amdhsa_system_sgpr_workgroup_id_z 0
		.amdhsa_system_sgpr_workgroup_info 0
		.amdhsa_system_vgpr_workitem_id 1
		.amdhsa_next_free_vgpr 169
		.amdhsa_next_free_sgpr 98
		.amdhsa_reserve_vcc 1
		.amdhsa_reserve_flat_scratch 0
		.amdhsa_float_round_mode_32 0
		.amdhsa_float_round_mode_16_64 0
		.amdhsa_float_denorm_mode_32 3
		.amdhsa_float_denorm_mode_16_64 3
		.amdhsa_dx10_clamp 1
		.amdhsa_ieee_mode 1
		.amdhsa_fp16_overflow 0
		.amdhsa_exception_fp_ieee_invalid_op 0
		.amdhsa_exception_fp_denorm_src 0
		.amdhsa_exception_fp_ieee_div_zero 0
		.amdhsa_exception_fp_ieee_overflow 0
		.amdhsa_exception_fp_ieee_underflow 0
		.amdhsa_exception_fp_ieee_inexact 0
		.amdhsa_exception_int_div_zero 0
	.end_amdhsa_kernel
	.section	.text._ZL8moe_q5_0IfLb1EEvPKvS1_PT_PKiS5_S5_iiiiiii,"axG",@progbits,_ZL8moe_q5_0IfLb1EEvPKvS1_PT_PKiS5_S5_iiiiiii,comdat
.Lfunc_end182:
	.size	_ZL8moe_q5_0IfLb1EEvPKvS1_PT_PKiS5_S5_iiiiiii, .Lfunc_end182-_ZL8moe_q5_0IfLb1EEvPKvS1_PT_PKiS5_S5_iiiiiii
                                        ; -- End function
	.set _ZL8moe_q5_0IfLb1EEvPKvS1_PT_PKiS5_S5_iiiiiii.num_vgpr, 169
	.set _ZL8moe_q5_0IfLb1EEvPKvS1_PT_PKiS5_S5_iiiiiii.num_agpr, 0
	.set _ZL8moe_q5_0IfLb1EEvPKvS1_PT_PKiS5_S5_iiiiiii.numbered_sgpr, 28
	.set _ZL8moe_q5_0IfLb1EEvPKvS1_PT_PKiS5_S5_iiiiiii.num_named_barrier, 0
	.set _ZL8moe_q5_0IfLb1EEvPKvS1_PT_PKiS5_S5_iiiiiii.private_seg_size, 0
	.set _ZL8moe_q5_0IfLb1EEvPKvS1_PT_PKiS5_S5_iiiiiii.uses_vcc, 1
	.set _ZL8moe_q5_0IfLb1EEvPKvS1_PT_PKiS5_S5_iiiiiii.uses_flat_scratch, 0
	.set _ZL8moe_q5_0IfLb1EEvPKvS1_PT_PKiS5_S5_iiiiiii.has_dyn_sized_stack, 0
	.set _ZL8moe_q5_0IfLb1EEvPKvS1_PT_PKiS5_S5_iiiiiii.has_recursion, 0
	.set _ZL8moe_q5_0IfLb1EEvPKvS1_PT_PKiS5_S5_iiiiiii.has_indirect_call, 0
	.section	.AMDGPU.csdata,"",@progbits
; Kernel info:
; codeLenInByte = 14228
; TotalNumSgprs: 32
; NumVgprs: 169
; ScratchSize: 0
; MemoryBound: 0
; FloatMode: 240
; IeeeMode: 1
; LDSByteSize: 38656 bytes/workgroup (compile time only)
; SGPRBlocks: 12
; VGPRBlocks: 42
; NumSGPRsForWavesPerEU: 102
; NumVGPRsForWavesPerEU: 169
; Occupancy: 1
; WaveLimiterHint : 1
; COMPUTE_PGM_RSRC2:SCRATCH_EN: 0
; COMPUTE_PGM_RSRC2:USER_SGPR: 6
; COMPUTE_PGM_RSRC2:TRAP_HANDLER: 0
; COMPUTE_PGM_RSRC2:TGID_X_EN: 1
; COMPUTE_PGM_RSRC2:TGID_Y_EN: 1
; COMPUTE_PGM_RSRC2:TGID_Z_EN: 0
; COMPUTE_PGM_RSRC2:TIDIG_COMP_CNT: 1
	.section	.text._ZL8moe_q5_1IfLb0EEvPKvS1_PT_PKiS5_S5_iiiiiii,"axG",@progbits,_ZL8moe_q5_1IfLb0EEvPKvS1_PT_PKiS5_S5_iiiiiii,comdat
	.globl	_ZL8moe_q5_1IfLb0EEvPKvS1_PT_PKiS5_S5_iiiiiii ; -- Begin function _ZL8moe_q5_1IfLb0EEvPKvS1_PT_PKiS5_S5_iiiiiii
	.p2align	8
	.type	_ZL8moe_q5_1IfLb0EEvPKvS1_PT_PKiS5_S5_iiiiiii,@function
_ZL8moe_q5_1IfLb0EEvPKvS1_PT_PKiS5_S5_iiiiiii: ; @_ZL8moe_q5_1IfLb0EEvPKvS1_PT_PKiS5_S5_iiiiiii
; %bb.0:
	s_load_dwordx4 s[0:3], s[4:5], 0x18
	s_mov_b32 s8, s7
	s_mov_b32 s9, 0
	s_lshl_b64 s[10:11], s[8:9], 2
	s_waitcnt lgkmcnt(0)
	s_add_u32 s2, s2, s10
	s_addc_u32 s3, s3, s11
	s_load_dword s2, s[2:3], 0x0
	s_waitcnt lgkmcnt(0)
	s_cmpk_gt_u32 s2, 0xff
	s_cbranch_scc1 .LBB183_30
; %bb.1:
	s_load_dwordx2 s[10:11], s[4:5], 0x28
	s_lshl_b32 s3, s8, 3
	s_waitcnt lgkmcnt(0)
	s_load_dword s7, s[10:11], 0x0
	s_waitcnt lgkmcnt(0)
	s_cmp_gt_u32 s3, s7
	s_cbranch_scc1 .LBB183_30
; %bb.2:
	v_add_u32_e32 v2, s3, v1
	v_mov_b32_e32 v3, 0
	v_lshlrev_b64 v[4:5], 2, v[2:3]
	v_mov_b32_e32 v2, s1
	v_add_co_u32_e32 v4, vcc, s0, v4
	v_addc_co_u32_e32 v5, vcc, v2, v5, vcc
	global_load_dword v6, v[4:5], off
	s_load_dwordx2 s[14:15], s[4:5], 0x30
	s_load_dwordx2 s[12:13], s[4:5], 0x10
	s_load_dwordx4 s[8:11], s[4:5], 0x3c
	s_lshl_b32 s18, s6, 7
	v_mov_b32_e32 v48, v3
	s_waitcnt lgkmcnt(0)
	s_cmp_lt_i32 s15, 32
	v_mov_b32_e32 v51, v3
	v_mov_b32_e32 v7, v3
	s_cbranch_scc1 .LBB183_21
; %bb.3:
	s_load_dwordx4 s[4:7], s[4:5], 0x0
	s_ashr_i32 s0, s15, 31
	s_ashr_i32 s1, s9, 31
	s_lshr_b32 s0, s0, 27
	s_lshr_b32 s1, s1, 27
	s_add_i32 s0, s15, s0
	s_add_i32 s1, s9, s1
	s_mul_i32 s2, s2, s14
	s_ashr_i32 s19, s0, 5
	s_ashr_i32 s9, s1, 5
	s_ashr_i32 s1, s2, 31
	s_waitcnt lgkmcnt(0)
	s_add_u32 s2, s4, s2
	s_mul_i32 s3, s19, s18
	v_mul_lo_u32 v10, s19, v1
	s_addc_u32 s1, s5, s1
	s_mul_hi_i32 s4, s3, 24
	s_mul_i32 s3, s3, 24
	s_add_u32 s14, s2, s3
	s_addc_u32 s20, s1, s4
	s_lshl_b32 s1, s19, 3
	v_add_u32_e32 v12, s1, v10
	v_add_u32_e32 v14, s1, v12
	;; [unrolled: 1-line block ×11, first 2 shown]
	v_lshlrev_b32_e32 v3, 3, v0
	s_movk_i32 s16, 0x104
	v_add_u32_e32 v34, s1, v32
	v_lshrrev_b32_e32 v43, 3, v0
	v_mad_u32_u24 v11, v1, s16, v3
	v_add_u32_e32 v36, s1, v34
	v_lshl_add_u32 v3, v1, 2, v43
	v_add_u32_e32 v38, s1, v36
	v_and_b32_e32 v42, 7, v0
	v_add_u32_e32 v46, 32, v3
	v_add_u32_e32 v40, s1, v38
	v_lshlrev_b32_e32 v5, 2, v42
	s_mov_b32 s1, 0x8200
	v_and_b32_e32 v47, 0xffc, v46
	v_add3_u32 v51, v47, v5, s1
	v_add_u32_e32 v47, 64, v3
	v_mul_lo_u32 v44, s19, v3
	v_and_b32_e32 v4, 0x7fc, v3
	v_lshlrev_b32_e32 v48, 5, v3
	v_and_b32_e32 v49, 0xffc, v47
	v_add_u32_e32 v3, 0x60, v3
	v_add3_u32 v69, v49, v5, s1
	v_and_b32_e32 v49, 0xffc, v3
	s_abs_i32 s2, s11
	v_add3_u32 v4, v4, v5, s1
	v_add3_u32 v5, v49, v5, s1
	v_cvt_f32_u32_e32 v49, s2
	s_andn2_b32 s0, s0, 31
	v_add_u32_e32 v45, s0, v44
	v_lshlrev_b32_e32 v68, 5, v46
	v_rcp_iflag_f32_e32 v52, v49
	v_add_u32_e32 v46, s0, v45
	v_lshlrev_b32_e32 v70, 5, v47
	v_add_u32_e32 v47, s0, v46
	v_mul_f32_e32 v52, 0x4f7ffffe, v52
	v_cvt_u32_f32_e32 v54, v52
	s_sub_i32 s0, 0, s2
	v_mov_b32_e32 v49, 0x9280
	v_mov_b32_e32 v52, 0x9680
	v_mul_lo_u32 v55, s0, v54
	v_lshl_add_u32 v49, v1, 7, v49
	v_lshl_add_u32 v52, v1, 4, v52
	v_lshlrev_b32_e32 v2, 2, v0
	v_mul_hi_u32 v1, v54, v55
	v_and_b32_e32 v9, 12, v2
	v_and_b32_e32 v57, 28, v2
	v_add_u32_e32 v53, v52, v2
	s_waitcnt vmcnt(0)
	v_sub_u32_e32 v2, 0, v6
	v_max_i32_e32 v2, v6, v2
	v_add_u32_e32 v1, v54, v1
	v_mul_hi_u32 v1, v2, v1
	v_xor_b32_e32 v61, s11, v6
	v_ashrrev_i32_e32 v61, 31, v61
	v_add_u32_e32 v60, 32, v0
	v_mul_lo_u32 v56, v1, s2
	v_add_u32_e32 v59, 64, v0
	v_add_u32_e32 v58, 0x60, v0
	v_lshrrev_b32_e32 v55, 3, v60
	v_sub_u32_e32 v2, v2, v56
	v_add_u32_e32 v56, 1, v1
	v_cmp_le_u32_e64 s[0:1], s2, v2
	v_cndmask_b32_e64 v1, v1, v56, s[0:1]
	v_subrev_u32_e32 v56, s2, v2
	v_cndmask_b32_e64 v2, v2, v56, s[0:1]
	v_add_u32_e32 v56, 1, v1
	v_cmp_le_u32_e64 s[0:1], s2, v2
	v_cndmask_b32_e64 v1, v1, v56, s[0:1]
	v_xor_b32_e32 v1, v1, v61
	v_sub_u32_e32 v1, v1, v61
	v_mul_lo_u32 v56, v1, s9
	v_lshlrev_b32_e32 v61, 5, v0
	v_and_b32_e32 v58, 0x1fc, v58
	v_and_b32_e32 v59, 0x1fc, v59
	;; [unrolled: 1-line block ×4, first 2 shown]
	v_lshlrev_b32_e32 v3, 5, v3
	v_and_b32_e32 v50, 31, v0
	v_cmp_gt_u32_e32 vcc, 4, v0
	v_cmp_gt_i32_e64 s[0:1], s8, v1
	v_mov_b32_e32 v2, s7
	v_add_co_u32_e64 v1, s[2:3], s6, v57
	v_add_u32_e32 v62, v61, v58
	v_add_u32_e32 v63, v61, v59
	;; [unrolled: 1-line block ×4, first 2 shown]
	v_mov_b32_e32 v66, 0x80
	v_lshrrev_b32_e32 v8, 2, v0
	v_mov_b32_e32 v7, 0
	v_add_u32_e32 v13, 0x820, v11
	v_add_u32_e32 v15, 0x1040, v11
	;; [unrolled: 1-line block ×15, first 2 shown]
	v_lshl_or_b32 v50, v50, 2, v49
	v_mul_u32_u24_e32 v54, 0x104, v0
	s_mov_b32 s21, 0
	v_addc_co_u32_e64 v2, s[2:3], 0, v2, s[2:3]
	s_and_b64 s[4:5], vcc, s[0:1]
	v_ashrrev_i32_e32 v57, 31, v56
	v_add_u32_e32 v58, 0x8e00, v62
	v_add_u32_e32 v59, 0x8a00, v63
	v_add_u32_e32 v60, 0x8600, v64
	v_add_u32_e32 v61, 0x8200, v65
	v_add_u32_e32 v62, 0x8e10, v62
	v_add_u32_e32 v63, 0x8a10, v63
	v_add_u32_e32 v64, 0x8610, v64
	v_add_u32_e32 v65, 0x8210, v65
	v_mad_u32_u24 v66, v0, s16, v66
	v_add_u32_e32 v67, v4, v48
	v_add_u32_e32 v68, v51, v68
	;; [unrolled: 1-line block ×4, first 2 shown]
	v_mov_b32_e32 v51, 0
	v_mov_b32_e32 v48, 0
	;; [unrolled: 1-line block ×3, first 2 shown]
	s_branch .LBB183_5
.LBB183_4:                              ;   in Loop: Header=BB183_5 Depth=1
	s_add_i32 s21, s21, 8
	s_cmp_ge_i32 s21, s19
	s_cbranch_scc1 .LBB183_21
.LBB183_5:                              ; =>This Loop Header: Depth=1
                                        ;     Child Loop BB183_11 Depth 2
                                        ;     Child Loop BB183_19 Depth 2
	s_mul_i32 s3, s21, 24
	s_mul_hi_u32 s2, s21, 24
	s_add_u32 s16, s14, s3
	s_addc_u32 s17, s20, s2
	v_mad_u64_u32 v[4:5], s[2:3], v8, 24, s[16:17]
	v_mad_u64_u32 v[71:72], s[2:3], v10, 24, v[4:5]
	v_add_co_u32_e64 v73, s[2:3], v71, v9
	v_addc_co_u32_e64 v74, s[2:3], 0, v72, s[2:3]
	v_mad_u64_u32 v[77:78], s[2:3], v16, 24, v[4:5]
	v_mad_u64_u32 v[75:76], s[2:3], v14, 24, v[4:5]
	;; [unrolled: 1-line block ×3, first 2 shown]
	global_load_dword v87, v[73:74], off offset:8
	global_load_dword v88, v[77:78], off offset:4
	;; [unrolled: 1-line block ×5, first 2 shown]
	v_add_co_u32_e64 v71, s[2:3], v79, v9
	v_addc_co_u32_e64 v72, s[2:3], 0, v80, s[2:3]
	global_load_dword v92, v[71:72], off offset:8
	v_add_co_u32_e64 v71, s[2:3], v75, v9
	v_addc_co_u32_e64 v72, s[2:3], 0, v76, s[2:3]
	v_add_co_u32_e64 v73, s[2:3], v77, v9
	v_addc_co_u32_e64 v74, s[2:3], 0, v78, s[2:3]
	global_load_dword v93, v[71:72], off offset:8
	global_load_dword v94, v[73:74], off offset:8
	v_mad_u64_u32 v[71:72], s[2:3], v18, 24, v[4:5]
	v_mad_u64_u32 v[73:74], s[2:3], v20, 24, v[4:5]
	;; [unrolled: 1-line block ×4, first 2 shown]
	v_add_co_u32_e64 v79, s[2:3], v71, v9
	v_addc_co_u32_e64 v80, s[2:3], 0, v72, s[2:3]
	v_add_co_u32_e64 v81, s[2:3], v73, v9
	v_addc_co_u32_e64 v82, s[2:3], 0, v74, s[2:3]
	v_add_co_u32_e64 v83, s[2:3], v75, v9
	v_addc_co_u32_e64 v84, s[2:3], 0, v76, s[2:3]
	v_add_co_u32_e64 v85, s[2:3], v77, v9
	v_addc_co_u32_e64 v86, s[2:3], 0, v78, s[2:3]
	global_load_dword v95, v[79:80], off offset:8
	global_load_dword v96, v[81:82], off offset:8
	;; [unrolled: 1-line block ×8, first 2 shown]
	s_waitcnt vmcnt(15)
	v_lshrrev_b32_e32 v73, 4, v87
	v_and_b32_e32 v72, 0xf0f0f0f, v87
	v_and_b32_e32 v73, 0xf0f0f0f, v73
	s_waitcnt vmcnt(12)
	v_ashrrev_i32_e32 v74, v9, v90
	s_waitcnt vmcnt(11)
	v_ashrrev_i32_e32 v71, v9, v91
	v_lshlrev_b32_e32 v76, 4, v71
	v_lshlrev_b32_e32 v77, 11, v71
	v_lshrrev_b32_e32 v80, 12, v71
	v_lshrrev_b32_e32 v81, 5, v71
	v_lshlrev_b32_e32 v78, 18, v71
	v_lshlrev_b32_e32 v79, 25, v71
	;; [unrolled: 1-line block ×4, first 2 shown]
	v_and_b32_e32 v76, 16, v76
	v_and_b32_e32 v77, 0x1000, v77
	;; [unrolled: 1-line block ×8, first 2 shown]
	v_or3_b32 v72, v76, v72, v77
	v_or3_b32 v73, v80, v73, v81
	;; [unrolled: 1-line block ×4, first 2 shown]
	v_lshlrev_b32_e32 v83, 4, v74
	ds_write2_b32 v11, v72, v71 offset1:1
	v_lshlrev_b32_e32 v72, 11, v74
	s_waitcnt vmcnt(10)
	v_and_b32_e32 v75, 0xf0f0f0f, v92
	v_and_b32_e32 v71, 16, v83
	;; [unrolled: 1-line block ×3, first 2 shown]
	v_or3_b32 v71, v71, v75, v72
	v_lshlrev_b32_e32 v72, 18, v74
	v_lshlrev_b32_e32 v73, 25, v74
	v_and_b32_e32 v72, 0x100000, v72
	v_and_b32_e32 v73, 0x10000000, v73
	v_or3_b32 v71, v71, v72, v73
	v_lshrrev_b32_e32 v72, 4, v92
	v_lshrrev_b32_e32 v73, 12, v74
	v_lshrrev_b32_e32 v75, 5, v74
	v_and_b32_e32 v72, 0xf0f0f0f, v72
	v_and_b32_e32 v73, 16, v73
	;; [unrolled: 1-line block ×3, first 2 shown]
	v_or3_b32 v72, v73, v72, v75
	v_lshlrev_b32_e32 v73, 2, v74
	v_lshlrev_b32_e32 v74, 9, v74
	v_and_b32_e32 v73, 0x100000, v73
	v_and_b32_e32 v74, 0x10000000, v74
	v_or3_b32 v72, v72, v73, v74
	ds_write2_b32 v13, v71, v72 offset1:1
	v_ashrrev_i32_e32 v71, v9, v89
	v_lshlrev_b32_e32 v73, 4, v71
	v_lshlrev_b32_e32 v74, 11, v71
	s_waitcnt vmcnt(9)
	v_and_b32_e32 v72, 0xf0f0f0f, v93
	v_and_b32_e32 v73, 16, v73
	v_and_b32_e32 v74, 0x1000, v74
	v_or3_b32 v72, v73, v72, v74
	v_lshlrev_b32_e32 v73, 18, v71
	v_lshlrev_b32_e32 v74, 25, v71
	v_and_b32_e32 v73, 0x100000, v73
	v_and_b32_e32 v74, 0x10000000, v74
	v_or3_b32 v72, v72, v73, v74
	v_lshrrev_b32_e32 v73, 4, v93
	v_lshrrev_b32_e32 v74, 12, v71
	;; [unrolled: 1-line block ×3, first 2 shown]
	v_and_b32_e32 v73, 0xf0f0f0f, v73
	v_and_b32_e32 v74, 16, v74
	;; [unrolled: 1-line block ×3, first 2 shown]
	v_or3_b32 v73, v74, v73, v75
	v_lshlrev_b32_e32 v74, 2, v71
	v_lshlrev_b32_e32 v71, 9, v71
	v_and_b32_e32 v74, 0x100000, v74
	v_and_b32_e32 v71, 0x10000000, v71
	v_or3_b32 v71, v73, v74, v71
	ds_write2_b32 v15, v72, v71 offset1:1
	v_ashrrev_i32_e32 v71, v9, v88
	v_lshlrev_b32_e32 v73, 4, v71
	v_lshlrev_b32_e32 v74, 11, v71
	s_waitcnt vmcnt(8)
	v_and_b32_e32 v72, 0xf0f0f0f, v94
	v_and_b32_e32 v73, 16, v73
	v_and_b32_e32 v74, 0x1000, v74
	v_or3_b32 v72, v73, v72, v74
	v_lshlrev_b32_e32 v73, 18, v71
	v_lshlrev_b32_e32 v74, 25, v71
	v_and_b32_e32 v73, 0x100000, v73
	v_and_b32_e32 v74, 0x10000000, v74
	v_or3_b32 v72, v72, v73, v74
	v_lshrrev_b32_e32 v73, 4, v94
	v_lshrrev_b32_e32 v74, 12, v71
	;; [unrolled: 1-line block ×3, first 2 shown]
	v_and_b32_e32 v73, 0xf0f0f0f, v73
	v_and_b32_e32 v74, 16, v74
	;; [unrolled: 1-line block ×3, first 2 shown]
	v_or3_b32 v73, v74, v73, v75
	v_lshlrev_b32_e32 v74, 2, v71
	v_lshlrev_b32_e32 v71, 9, v71
	v_and_b32_e32 v74, 0x100000, v74
	v_and_b32_e32 v71, 0x10000000, v71
	v_or3_b32 v71, v73, v74, v71
	s_waitcnt vmcnt(0)
	v_ashrrev_i32_e32 v87, v9, v102
	ds_write2_b32 v17, v72, v71 offset1:1
	v_lshlrev_b32_e32 v72, 4, v87
	v_lshlrev_b32_e32 v73, 11, v87
	v_and_b32_e32 v71, 0xf0f0f0f, v95
	v_and_b32_e32 v72, 16, v72
	v_and_b32_e32 v73, 0x1000, v73
	v_or3_b32 v71, v72, v71, v73
	v_lshlrev_b32_e32 v72, 18, v87
	v_lshlrev_b32_e32 v73, 25, v87
	v_and_b32_e32 v72, 0x100000, v72
	v_and_b32_e32 v73, 0x10000000, v73
	v_or3_b32 v88, v71, v72, v73
	v_lshrrev_b32_e32 v71, 4, v95
	v_lshrrev_b32_e32 v72, 12, v87
	;; [unrolled: 1-line block ×3, first 2 shown]
	v_and_b32_e32 v71, 0xf0f0f0f, v71
	v_and_b32_e32 v72, 16, v72
	;; [unrolled: 1-line block ×3, first 2 shown]
	v_or3_b32 v89, v72, v71, v73
	v_lshlrev_b32_e32 v71, 2, v87
	v_and_b32_e32 v90, 0x100000, v71
	v_mad_u64_u32 v[71:72], s[2:3], v26, 24, v[4:5]
	v_mad_u64_u32 v[73:74], s[2:3], v28, 24, v[4:5]
	v_add_co_u32_e64 v75, s[2:3], v71, v9
	v_addc_co_u32_e64 v76, s[2:3], 0, v72, s[2:3]
	v_add_co_u32_e64 v77, s[2:3], v73, v9
	v_addc_co_u32_e64 v78, s[2:3], 0, v74, s[2:3]
	v_mad_u64_u32 v[79:80], s[2:3], v30, 24, v[4:5]
	v_mad_u64_u32 v[81:82], s[2:3], v32, 24, v[4:5]
	v_add_co_u32_e64 v83, s[2:3], v79, v9
	v_addc_co_u32_e64 v84, s[2:3], 0, v80, s[2:3]
	v_add_co_u32_e64 v85, s[2:3], v81, v9
	v_addc_co_u32_e64 v86, s[2:3], 0, v82, s[2:3]
	global_load_dword v91, v[75:76], off offset:8
	global_load_dword v92, v[77:78], off offset:8
	;; [unrolled: 1-line block ×8, first 2 shown]
	v_lshlrev_b32_e32 v71, 9, v87
	v_and_b32_e32 v71, 0x10000000, v71
	v_or3_b32 v71, v89, v90, v71
	ds_write2_b32 v19, v88, v71 offset1:1
	v_ashrrev_i32_e32 v71, v9, v101
	v_lshlrev_b32_e32 v73, 4, v71
	v_lshlrev_b32_e32 v74, 11, v71
	v_and_b32_e32 v72, 0xf0f0f0f, v96
	v_and_b32_e32 v73, 16, v73
	v_and_b32_e32 v74, 0x1000, v74
	v_or3_b32 v72, v73, v72, v74
	v_lshlrev_b32_e32 v73, 18, v71
	v_lshlrev_b32_e32 v74, 25, v71
	v_and_b32_e32 v73, 0x100000, v73
	v_and_b32_e32 v74, 0x10000000, v74
	v_or3_b32 v72, v72, v73, v74
	v_lshrrev_b32_e32 v73, 4, v96
	v_lshrrev_b32_e32 v74, 12, v71
	v_lshrrev_b32_e32 v75, 5, v71
	v_and_b32_e32 v73, 0xf0f0f0f, v73
	v_and_b32_e32 v74, 16, v74
	v_and_b32_e32 v75, 0x1000, v75
	v_or3_b32 v73, v74, v73, v75
	v_lshlrev_b32_e32 v74, 2, v71
	v_lshlrev_b32_e32 v71, 9, v71
	v_and_b32_e32 v74, 0x100000, v74
	v_and_b32_e32 v71, 0x10000000, v71
	v_or3_b32 v71, v73, v74, v71
	ds_write2_b32 v21, v72, v71 offset1:1
	v_ashrrev_i32_e32 v71, v9, v100
	v_lshlrev_b32_e32 v73, 4, v71
	v_lshlrev_b32_e32 v74, 11, v71
	v_and_b32_e32 v72, 0xf0f0f0f, v97
	v_and_b32_e32 v73, 16, v73
	v_and_b32_e32 v74, 0x1000, v74
	v_or3_b32 v72, v73, v72, v74
	v_lshlrev_b32_e32 v73, 18, v71
	v_lshlrev_b32_e32 v74, 25, v71
	v_and_b32_e32 v73, 0x100000, v73
	v_and_b32_e32 v74, 0x10000000, v74
	v_or3_b32 v72, v72, v73, v74
	v_lshrrev_b32_e32 v73, 4, v97
	v_lshrrev_b32_e32 v74, 12, v71
	v_lshrrev_b32_e32 v75, 5, v71
	v_and_b32_e32 v73, 0xf0f0f0f, v73
	v_and_b32_e32 v74, 16, v74
	v_and_b32_e32 v75, 0x1000, v75
	v_or3_b32 v73, v74, v73, v75
	v_lshlrev_b32_e32 v74, 2, v71
	v_lshlrev_b32_e32 v71, 9, v71
	v_and_b32_e32 v74, 0x100000, v74
	;; [unrolled: 25-line block ×3, first 2 shown]
	v_and_b32_e32 v71, 0x10000000, v71
	v_or3_b32 v71, v73, v74, v71
	ds_write2_b32 v25, v72, v71 offset1:1
	s_waitcnt vmcnt(0)
	v_ashrrev_i32_e32 v85, v9, v104
	v_lshlrev_b32_e32 v72, 4, v85
	v_lshlrev_b32_e32 v73, 11, v85
	v_and_b32_e32 v71, 0xf0f0f0f, v91
	v_and_b32_e32 v72, 16, v72
	;; [unrolled: 1-line block ×3, first 2 shown]
	v_or3_b32 v71, v72, v71, v73
	v_lshlrev_b32_e32 v72, 18, v85
	v_lshlrev_b32_e32 v73, 25, v85
	v_and_b32_e32 v72, 0x100000, v72
	v_and_b32_e32 v73, 0x10000000, v73
	v_or3_b32 v86, v71, v72, v73
	v_lshrrev_b32_e32 v71, 4, v91
	v_lshrrev_b32_e32 v72, 12, v85
	v_lshrrev_b32_e32 v73, 5, v85
	v_and_b32_e32 v71, 0xf0f0f0f, v71
	v_and_b32_e32 v72, 16, v72
	;; [unrolled: 1-line block ×3, first 2 shown]
	v_or3_b32 v87, v72, v71, v73
	v_lshlrev_b32_e32 v71, 2, v85
	v_and_b32_e32 v88, 0x100000, v71
	v_mad_u64_u32 v[71:72], s[2:3], v34, 24, v[4:5]
	v_mad_u64_u32 v[73:74], s[2:3], v36, 24, v[4:5]
	v_add_co_u32_e64 v75, s[2:3], v71, v9
	v_addc_co_u32_e64 v76, s[2:3], 0, v72, s[2:3]
	v_add_co_u32_e64 v77, s[2:3], v73, v9
	v_addc_co_u32_e64 v78, s[2:3], 0, v74, s[2:3]
	v_mad_u64_u32 v[79:80], s[2:3], v38, 24, v[4:5]
	v_mad_u64_u32 v[4:5], s[2:3], v40, 24, v[4:5]
	v_add_co_u32_e64 v81, s[2:3], v79, v9
	v_addc_co_u32_e64 v82, s[2:3], 0, v80, s[2:3]
	v_add_co_u32_e64 v83, s[2:3], v4, v9
	v_addc_co_u32_e64 v84, s[2:3], 0, v5, s[2:3]
	global_load_dword v89, v[75:76], off offset:8
	global_load_dword v90, v[77:78], off offset:8
	;; [unrolled: 1-line block ×8, first 2 shown]
	v_lshlrev_b32_e32 v4, 9, v85
	v_and_b32_e32 v4, 0x10000000, v4
	v_or3_b32 v4, v87, v88, v4
	ds_write2_b32 v27, v86, v4 offset1:1
	v_ashrrev_i32_e32 v4, v9, v103
	v_lshlrev_b32_e32 v71, 4, v4
	v_lshlrev_b32_e32 v72, 11, v4
	v_and_b32_e32 v5, 0xf0f0f0f, v92
	v_and_b32_e32 v71, 16, v71
	v_and_b32_e32 v72, 0x1000, v72
	v_or3_b32 v5, v71, v5, v72
	v_lshlrev_b32_e32 v71, 18, v4
	v_lshlrev_b32_e32 v72, 25, v4
	v_and_b32_e32 v71, 0x100000, v71
	v_and_b32_e32 v72, 0x10000000, v72
	v_or3_b32 v5, v5, v71, v72
	v_lshrrev_b32_e32 v71, 4, v92
	v_lshrrev_b32_e32 v72, 12, v4
	v_lshrrev_b32_e32 v73, 5, v4
	v_and_b32_e32 v71, 0xf0f0f0f, v71
	v_and_b32_e32 v72, 16, v72
	v_and_b32_e32 v73, 0x1000, v73
	v_or3_b32 v71, v72, v71, v73
	v_lshlrev_b32_e32 v72, 2, v4
	v_lshlrev_b32_e32 v4, 9, v4
	v_and_b32_e32 v72, 0x100000, v72
	v_and_b32_e32 v4, 0x10000000, v4
	v_or3_b32 v4, v71, v72, v4
	ds_write2_b32 v29, v5, v4 offset1:1
	v_ashrrev_i32_e32 v4, v9, v102
	v_lshlrev_b32_e32 v71, 4, v4
	v_lshlrev_b32_e32 v72, 11, v4
	v_and_b32_e32 v5, 0xf0f0f0f, v93
	v_and_b32_e32 v71, 16, v71
	v_and_b32_e32 v72, 0x1000, v72
	v_or3_b32 v5, v71, v5, v72
	v_lshlrev_b32_e32 v71, 18, v4
	v_lshlrev_b32_e32 v72, 25, v4
	v_and_b32_e32 v71, 0x100000, v71
	v_and_b32_e32 v72, 0x10000000, v72
	v_or3_b32 v5, v5, v71, v72
	v_lshrrev_b32_e32 v71, 4, v93
	v_lshrrev_b32_e32 v72, 12, v4
	v_lshrrev_b32_e32 v73, 5, v4
	v_and_b32_e32 v71, 0xf0f0f0f, v71
	v_and_b32_e32 v72, 16, v72
	v_and_b32_e32 v73, 0x1000, v73
	v_or3_b32 v71, v72, v71, v73
	v_lshlrev_b32_e32 v72, 2, v4
	v_lshlrev_b32_e32 v4, 9, v4
	v_and_b32_e32 v72, 0x100000, v72
	;; [unrolled: 25-line block ×3, first 2 shown]
	v_and_b32_e32 v4, 0x10000000, v4
	v_or3_b32 v4, v71, v72, v4
	ds_write2_b32 v33, v5, v4 offset1:1
	s_waitcnt vmcnt(0)
	v_ashrrev_i32_e32 v4, v9, v100
	v_lshlrev_b32_e32 v71, 4, v4
	v_lshlrev_b32_e32 v72, 11, v4
	v_and_b32_e32 v5, 0xf0f0f0f, v89
	v_and_b32_e32 v71, 16, v71
	v_and_b32_e32 v72, 0x1000, v72
	v_or3_b32 v5, v71, v5, v72
	v_lshlrev_b32_e32 v71, 18, v4
	v_lshlrev_b32_e32 v72, 25, v4
	v_and_b32_e32 v71, 0x100000, v71
	v_and_b32_e32 v72, 0x10000000, v72
	v_or3_b32 v77, v5, v71, v72
	v_lshrrev_b32_e32 v5, 4, v89
	v_lshrrev_b32_e32 v71, 12, v4
	v_lshrrev_b32_e32 v72, 5, v4
	v_and_b32_e32 v5, 0xf0f0f0f, v5
	v_and_b32_e32 v71, 16, v71
	;; [unrolled: 1-line block ×3, first 2 shown]
	v_or3_b32 v71, v71, v5, v72
	v_lshlrev_b32_e32 v5, 2, v4
	v_and_b32_e32 v72, 0x100000, v5
	v_lshlrev_b32_e32 v73, 9, v4
	v_mad_u64_u32 v[4:5], s[2:3], v42, 24, s[16:17]
	v_and_b32_e32 v73, 0x10000000, v73
	v_or3_b32 v78, v71, v72, v73
	v_mad_u64_u32 v[71:72], s[2:3], v44, 24, v[4:5]
	v_mad_u64_u32 v[73:74], s[2:3], v45, 24, v[4:5]
	;; [unrolled: 1-line block ×4, first 2 shown]
	global_load_dword v79, v[71:72], off
	global_load_dword v80, v[73:74], off
	;; [unrolled: 1-line block ×3, first 2 shown]
	v_ashrrev_i32_e32 v71, v9, v99
	global_load_dword v4, v[4:5], off
	v_lshlrev_b32_e32 v72, 4, v71
	v_lshlrev_b32_e32 v73, 11, v71
	v_and_b32_e32 v5, 0xf0f0f0f, v90
	v_and_b32_e32 v72, 16, v72
	;; [unrolled: 1-line block ×3, first 2 shown]
	v_or3_b32 v5, v72, v5, v73
	v_lshlrev_b32_e32 v72, 18, v71
	v_lshlrev_b32_e32 v73, 25, v71
	v_and_b32_e32 v72, 0x100000, v72
	v_and_b32_e32 v73, 0x10000000, v73
	v_or3_b32 v5, v5, v72, v73
	v_lshrrev_b32_e32 v72, 4, v90
	v_lshrrev_b32_e32 v73, 12, v71
	;; [unrolled: 1-line block ×3, first 2 shown]
	v_and_b32_e32 v72, 0xf0f0f0f, v72
	v_and_b32_e32 v73, 16, v73
	;; [unrolled: 1-line block ×3, first 2 shown]
	v_or3_b32 v72, v73, v72, v74
	v_lshlrev_b32_e32 v73, 2, v71
	v_lshlrev_b32_e32 v71, 9, v71
	v_and_b32_e32 v73, 0x100000, v73
	v_and_b32_e32 v71, 0x10000000, v71
	v_or3_b32 v71, v72, v73, v71
	ds_write2_b32 v37, v5, v71 offset1:1
	v_ashrrev_i32_e32 v5, v9, v98
	v_lshlrev_b32_e32 v72, 4, v5
	v_lshlrev_b32_e32 v73, 11, v5
	v_and_b32_e32 v71, 0xf0f0f0f, v91
	v_and_b32_e32 v72, 16, v72
	;; [unrolled: 1-line block ×3, first 2 shown]
	v_or3_b32 v71, v72, v71, v73
	v_lshlrev_b32_e32 v72, 18, v5
	v_lshlrev_b32_e32 v73, 25, v5
	v_and_b32_e32 v72, 0x100000, v72
	v_and_b32_e32 v73, 0x10000000, v73
	v_or3_b32 v71, v71, v72, v73
	v_lshrrev_b32_e32 v72, 4, v91
	v_lshrrev_b32_e32 v73, 12, v5
	;; [unrolled: 1-line block ×3, first 2 shown]
	v_and_b32_e32 v72, 0xf0f0f0f, v72
	v_and_b32_e32 v73, 16, v73
	;; [unrolled: 1-line block ×3, first 2 shown]
	v_or3_b32 v72, v73, v72, v74
	v_lshlrev_b32_e32 v73, 2, v5
	v_lshlrev_b32_e32 v5, 9, v5
	v_and_b32_e32 v73, 0x100000, v73
	v_and_b32_e32 v5, 0x10000000, v5
	v_or3_b32 v5, v72, v73, v5
	ds_write2_b32 v39, v71, v5 offset1:1
	v_ashrrev_i32_e32 v5, v9, v97
	v_lshlrev_b32_e32 v72, 4, v5
	v_lshlrev_b32_e32 v73, 11, v5
	v_and_b32_e32 v71, 0xf0f0f0f, v96
	v_and_b32_e32 v72, 16, v72
	;; [unrolled: 1-line block ×3, first 2 shown]
	v_or3_b32 v71, v72, v71, v73
	v_lshlrev_b32_e32 v72, 18, v5
	v_lshlrev_b32_e32 v73, 25, v5
	v_and_b32_e32 v72, 0x100000, v72
	v_and_b32_e32 v73, 0x10000000, v73
	v_or3_b32 v71, v71, v72, v73
	v_lshrrev_b32_e32 v72, 4, v96
	v_lshrrev_b32_e32 v73, 12, v5
	;; [unrolled: 1-line block ×3, first 2 shown]
	v_and_b32_e32 v72, 0xf0f0f0f, v72
	v_and_b32_e32 v73, 16, v73
	;; [unrolled: 1-line block ×3, first 2 shown]
	v_or3_b32 v72, v73, v72, v74
	v_lshlrev_b32_e32 v73, 2, v5
	v_lshlrev_b32_e32 v5, 9, v5
	v_and_b32_e32 v73, 0x100000, v73
	v_and_b32_e32 v5, 0x10000000, v5
	s_lshl_b32 s16, s21, 5
	v_or3_b32 v5, v72, v73, v5
	s_cmp_lt_i32 s16, s15
	ds_write2_b32 v35, v77, v78 offset1:1
	ds_write2_b32 v41, v71, v5 offset1:1
	s_waitcnt vmcnt(3)
	ds_write_b32 v67, v79
	s_waitcnt vmcnt(2)
	ds_write_b32 v68, v80
	s_waitcnt vmcnt(1)
	ds_write_b32 v69, v81
	s_waitcnt vmcnt(0)
	ds_write_b32 v70, v4
	s_cbranch_scc0 .LBB183_4
; %bb.6:                                ;   in Loop: Header=BB183_5 Depth=1
	v_add_u32_e32 v4, s21, v43
	v_cmp_gt_i32_e64 s[2:3], s9, v4
	s_and_b64 s[22:23], s[0:1], s[2:3]
	s_and_saveexec_b64 s[2:3], s[22:23]
	s_cbranch_execz .LBB183_8
; %bb.7:                                ;   in Loop: Header=BB183_5 Depth=1
	v_add_u32_e32 v4, v56, v4
	v_mad_i64_i32 v[4:5], s[22:23], v4, 36, v[1:2]
	global_load_dword v4, v[4:5], off offset:4
	s_waitcnt vmcnt(0)
	ds_write_b32 v50, v4
.LBB183_8:                              ;   in Loop: Header=BB183_5 Depth=1
	s_or_b64 exec, exec, s[2:3]
	v_add_u32_e32 v4, s21, v0
	v_cmp_gt_i32_e64 s[2:3], s9, v4
	s_and_b64 s[22:23], s[4:5], s[2:3]
	s_and_saveexec_b64 s[2:3], s[22:23]
	s_cbranch_execz .LBB183_10
; %bb.9:                                ;   in Loop: Header=BB183_5 Depth=1
	v_add_u32_e32 v5, v56, v4
	v_mad_i64_i32 v[71:72], s[22:23], v5, 36, s[6:7]
	global_load_dword v5, v[71:72], off
	s_waitcnt vmcnt(0)
	ds_write_b32 v53, v5
.LBB183_10:                             ;   in Loop: Header=BB183_5 Depth=1
	s_or_b64 exec, exec, s[2:3]
	s_mov_b32 s2, -4
	v_mov_b32_e32 v5, v49
	v_mov_b32_e32 v71, v54
	;; [unrolled: 1-line block ×7, first 2 shown]
	s_waitcnt lgkmcnt(0)
	s_barrier
.LBB183_11:                             ;   Parent Loop BB183_5 Depth=1
                                        ; =>  This Inner Loop Header: Depth=2
	ds_read_b128 v[77:80], v5
	ds_read_b128 v[81:84], v5 offset:16
	ds_read2_b32 v[85:86], v71 offset1:1
	ds_read2_b32 v[87:88], v71 offset0:2 offset1:3
	ds_read2_b32 v[89:90], v71 offset0:4 offset1:5
	;; [unrolled: 1-line block ×3, first 2 shown]
	v_add_u32_e32 v93, 0x2080, v71
	v_add_u32_e32 v95, 0x2088, v71
	;; [unrolled: 1-line block ×12, first 2 shown]
	ds_read_b32 v117, v72
	ds_read_b32 v118, v73
	;; [unrolled: 1-line block ×5, first 2 shown]
	ds_read2_b32 v[93:94], v93 offset1:1
	ds_read2_b32 v[95:96], v95 offset1:1
	;; [unrolled: 1-line block ×12, first 2 shown]
	s_waitcnt lgkmcnt(14)
	v_dot4_i32_i8 v85, v85, v77, 0
	v_dot4_i32_i8 v85, v86, v81, v85
	s_waitcnt lgkmcnt(11)
	v_dot4_i32_i8 v86, v93, v77, 0
	s_waitcnt lgkmcnt(7)
	;; [unrolled: 2-line block ×3, first 2 shown]
	v_dot4_i32_i8 v77, v109, v77, 0
	v_dot4_i32_i8 v85, v87, v78, v85
	v_dot4_i32_i8 v86, v94, v81, v86
	v_dot4_i32_i8 v87, v102, v81, v93
	v_dot4_i32_i8 v77, v110, v81, v77
	v_dot4_i32_i8 v81, v88, v82, v85
	v_dot4_i32_i8 v85, v95, v78, v86
	v_dot4_i32_i8 v86, v103, v78, v87
	s_waitcnt lgkmcnt(2)
	v_dot4_i32_i8 v77, v111, v78, v77
	v_dot4_i32_i8 v78, v89, v79, v81
	v_dot4_i32_i8 v81, v96, v82, v85
	v_dot4_i32_i8 v85, v104, v82, v86
	v_dot4_i32_i8 v77, v112, v82, v77
	v_dot4_i32_i8 v78, v90, v83, v78
	v_dot4_i32_i8 v81, v97, v79, v81
	v_dot4_i32_i8 v82, v105, v79, v85
	s_waitcnt lgkmcnt(1)
	;; [unrolled: 9-line block ×3, first 2 shown]
	v_dot4_i32_i8 v77, v115, v80, v77
	v_cvt_f32_i32_e32 v78, v78
	v_dot4_i32_i8 v79, v100, v84, v79
	v_dot4_i32_i8 v80, v108, v84, v81
	;; [unrolled: 1-line block ×3, first 2 shown]
	v_cvt_f32_i32_e32 v79, v79
	v_cvt_f32_i32_e32 v80, v80
	v_cvt_f32_i32_e32 v77, v77
	v_pk_mul_f16 v118, v117, v118
	v_pk_mul_f16 v119, v117, v119
	;; [unrolled: 1-line block ×4, first 2 shown]
	v_fma_mix_f32 v78, v118, v78, v118 op_sel:[0,0,1] op_sel_hi:[1,0,1]
	s_add_i32 s2, s2, 4
	v_add_f32_e32 v7, v7, v78
	v_fma_mix_f32 v78, v119, v79, v119 op_sel:[0,0,1] op_sel_hi:[1,0,1]
	v_fma_mix_f32 v79, v120, v80, v120 op_sel:[0,0,1] op_sel_hi:[1,0,1]
	;; [unrolled: 1-line block ×3, first 2 shown]
	v_add_u32_e32 v76, 4, v76
	v_add_u32_e32 v75, 4, v75
	;; [unrolled: 1-line block ×7, first 2 shown]
	s_cmp_lt_u32 s2, 12
	v_add_f32_e32 v51, v51, v78
	v_add_f32_e32 v48, v48, v79
	;; [unrolled: 1-line block ×3, first 2 shown]
	s_cbranch_scc1 .LBB183_11
; %bb.12:                               ;   in Loop: Header=BB183_5 Depth=1
	s_bitset1_b32 s16, 7
	s_cmp_ge_i32 s16, s15
	s_barrier
	s_cbranch_scc1 .LBB183_4
; %bb.13:                               ;   in Loop: Header=BB183_5 Depth=1
	v_add_u32_e32 v5, s21, v55
	v_cmp_gt_i32_e64 s[2:3], s9, v5
	s_and_b64 s[16:17], s[0:1], s[2:3]
	s_and_saveexec_b64 s[2:3], s[16:17]
	s_cbranch_execz .LBB183_15
; %bb.14:                               ;   in Loop: Header=BB183_5 Depth=1
	v_add_u32_e32 v5, v56, v5
	v_mad_i64_i32 v[71:72], s[16:17], v5, 36, v[1:2]
	global_load_dword v5, v[71:72], off offset:4
	s_waitcnt vmcnt(0)
	ds_write_b32 v50, v5
.LBB183_15:                             ;   in Loop: Header=BB183_5 Depth=1
	s_or_b64 exec, exec, s[2:3]
	s_and_saveexec_b64 s[16:17], vcc
	s_cbranch_execz .LBB183_18
; %bb.16:                               ;   in Loop: Header=BB183_5 Depth=1
	v_or_b32_e32 v5, 4, v4
	v_cmp_gt_i32_e64 s[2:3], s9, v5
	s_and_b64 s[2:3], s[0:1], s[2:3]
	s_and_b64 exec, exec, s[2:3]
	s_cbranch_execz .LBB183_18
; %bb.17:                               ;   in Loop: Header=BB183_5 Depth=1
	v_ashrrev_i32_e32 v5, 31, v4
	v_add_co_u32_e64 v4, s[2:3], v56, v4
	v_addc_co_u32_e64 v71, s[2:3], v57, v5, s[2:3]
	v_mad_u64_u32 v[4:5], s[2:3], v4, 36, s[6:7]
	v_mad_i32_i24 v5, v71, 36, v5
	global_load_dword v4, v[4:5], off offset:144
	s_waitcnt vmcnt(0)
	ds_write_b32 v53, v4
.LBB183_18:                             ;   in Loop: Header=BB183_5 Depth=1
	s_or_b64 exec, exec, s[16:17]
	s_mov_b32 s2, 12
	v_mov_b32_e32 v4, v52
	v_mov_b32_e32 v5, v49
	;; [unrolled: 1-line block ×7, first 2 shown]
	s_waitcnt lgkmcnt(0)
	s_barrier
.LBB183_19:                             ;   Parent Loop BB183_5 Depth=1
                                        ; =>  This Inner Loop Header: Depth=2
	v_add_u32_e32 v92, 0x2080, v71
	v_add_u32_e32 v94, 0x2088, v71
	;; [unrolled: 1-line block ×12, first 2 shown]
	ds_read_b128 v[76:79], v5
	ds_read_b32 v116, v4
	ds_read_b128 v[80:83], v5 offset:16
	ds_read2_b32 v[84:85], v71 offset1:1
	ds_read_b32 v117, v72
	ds_read2_b32 v[86:87], v71 offset0:2 offset1:3
	ds_read2_b32 v[88:89], v71 offset0:4 offset1:5
	;; [unrolled: 1-line block ×3, first 2 shown]
	ds_read_b32 v118, v73
	ds_read_b32 v119, v74
	ds_read_b32 v120, v75
	ds_read2_b32 v[92:93], v92 offset1:1
	ds_read2_b32 v[94:95], v94 offset1:1
	;; [unrolled: 1-line block ×12, first 2 shown]
	s_waitcnt lgkmcnt(14)
	v_dot4_i32_i8 v84, v84, v76, 0
	v_dot4_i32_i8 v84, v85, v80, v84
	s_waitcnt lgkmcnt(11)
	v_dot4_i32_i8 v85, v92, v76, 0
	s_waitcnt lgkmcnt(7)
	;; [unrolled: 2-line block ×3, first 2 shown]
	v_dot4_i32_i8 v76, v108, v76, 0
	v_dot4_i32_i8 v84, v86, v77, v84
	v_dot4_i32_i8 v85, v93, v80, v85
	v_dot4_i32_i8 v86, v101, v80, v92
	v_dot4_i32_i8 v76, v109, v80, v76
	v_dot4_i32_i8 v80, v87, v81, v84
	v_dot4_i32_i8 v84, v94, v77, v85
	v_dot4_i32_i8 v85, v102, v77, v86
	s_waitcnt lgkmcnt(2)
	v_dot4_i32_i8 v76, v110, v77, v76
	v_dot4_i32_i8 v77, v88, v78, v80
	v_dot4_i32_i8 v80, v95, v81, v84
	v_dot4_i32_i8 v84, v103, v81, v85
	v_dot4_i32_i8 v76, v111, v81, v76
	v_dot4_i32_i8 v77, v89, v82, v77
	v_dot4_i32_i8 v80, v96, v78, v80
	v_dot4_i32_i8 v81, v104, v78, v84
	s_waitcnt lgkmcnt(1)
	;; [unrolled: 9-line block ×3, first 2 shown]
	v_dot4_i32_i8 v76, v114, v79, v76
	v_cvt_f32_i32_e32 v77, v77
	v_dot4_i32_i8 v78, v99, v83, v78
	v_dot4_i32_i8 v79, v107, v83, v80
	;; [unrolled: 1-line block ×3, first 2 shown]
	v_cvt_f32_i32_e32 v78, v78
	v_cvt_f32_i32_e32 v79, v79
	;; [unrolled: 1-line block ×3, first 2 shown]
	v_pk_mul_f16 v117, v116, v117
	v_pk_mul_f16 v118, v116, v118
	v_pk_mul_f16 v119, v116, v119
	v_pk_mul_f16 v116, v116, v120
	v_fma_mix_f32 v77, v117, v77, v117 op_sel:[0,0,1] op_sel_hi:[1,0,1]
	s_add_i32 s2, s2, 4
	v_add_f32_e32 v7, v7, v77
	v_fma_mix_f32 v77, v118, v78, v118 op_sel:[0,0,1] op_sel_hi:[1,0,1]
	v_fma_mix_f32 v78, v119, v79, v119 op_sel:[0,0,1] op_sel_hi:[1,0,1]
	;; [unrolled: 1-line block ×3, first 2 shown]
	v_add_u32_e32 v75, 4, v75
	v_add_u32_e32 v74, 4, v74
	;; [unrolled: 1-line block ×7, first 2 shown]
	s_cmp_lt_u32 s2, 28
	v_add_f32_e32 v51, v51, v77
	v_add_f32_e32 v48, v48, v78
	;; [unrolled: 1-line block ×3, first 2 shown]
	s_cbranch_scc1 .LBB183_19
; %bb.20:                               ;   in Loop: Header=BB183_5 Depth=1
	s_barrier
	s_branch .LBB183_4
.LBB183_21:
	s_mul_i32 s0, s11, s8
	s_waitcnt vmcnt(0)
	v_cmp_gt_i32_e32 vcc, s0, v6
	s_and_saveexec_b64 s[0:1], vcc
	s_cbranch_execz .LBB183_30
; %bb.22:
	v_mul_lo_u32 v1, v6, s10
	v_add_u32_e32 v0, s18, v0
	v_cmp_gt_u32_e32 vcc, s10, v0
	s_and_saveexec_b64 s[0:1], vcc
	s_cbranch_execz .LBB183_24
; %bb.23:
	v_add_u32_e32 v4, v1, v0
	v_mov_b32_e32 v5, 0
	v_lshlrev_b64 v[4:5], 2, v[4:5]
	v_mov_b32_e32 v2, s13
	v_add_co_u32_e32 v4, vcc, s12, v4
	v_addc_co_u32_e32 v5, vcc, v2, v5, vcc
	global_store_dword v[4:5], v7, off
.LBB183_24:
	s_or_b64 exec, exec, s[0:1]
	v_add_u32_e32 v2, 32, v0
	v_cmp_gt_u32_e32 vcc, s10, v2
	s_and_saveexec_b64 s[0:1], vcc
	s_cbranch_execz .LBB183_26
; %bb.25:
	v_add_u32_e32 v4, v1, v2
	v_mov_b32_e32 v5, 0
	v_lshlrev_b64 v[4:5], 2, v[4:5]
	v_mov_b32_e32 v2, s13
	v_add_co_u32_e32 v4, vcc, s12, v4
	v_addc_co_u32_e32 v5, vcc, v2, v5, vcc
	global_store_dword v[4:5], v51, off
.LBB183_26:
	s_or_b64 exec, exec, s[0:1]
	;; [unrolled: 14-line block ×3, first 2 shown]
	v_add_u32_e32 v0, 0x60, v0
	v_cmp_gt_u32_e32 vcc, s10, v0
	s_and_b64 exec, exec, vcc
	s_cbranch_execz .LBB183_30
; %bb.29:
	v_add_u32_e32 v0, v1, v0
	v_mov_b32_e32 v1, 0
	v_lshlrev_b64 v[0:1], 2, v[0:1]
	v_mov_b32_e32 v2, s13
	v_add_co_u32_e32 v0, vcc, s12, v0
	v_addc_co_u32_e32 v1, vcc, v2, v1, vcc
	global_store_dword v[0:1], v3, off
.LBB183_30:
	s_endpgm
	.section	.rodata,"a",@progbits
	.p2align	6, 0x0
	.amdhsa_kernel _ZL8moe_q5_1IfLb0EEvPKvS1_PT_PKiS5_S5_iiiiiii
		.amdhsa_group_segment_fixed_size 38656
		.amdhsa_private_segment_fixed_size 0
		.amdhsa_kernarg_size 76
		.amdhsa_user_sgpr_count 6
		.amdhsa_user_sgpr_private_segment_buffer 1
		.amdhsa_user_sgpr_dispatch_ptr 0
		.amdhsa_user_sgpr_queue_ptr 0
		.amdhsa_user_sgpr_kernarg_segment_ptr 1
		.amdhsa_user_sgpr_dispatch_id 0
		.amdhsa_user_sgpr_flat_scratch_init 0
		.amdhsa_user_sgpr_private_segment_size 0
		.amdhsa_uses_dynamic_stack 0
		.amdhsa_system_sgpr_private_segment_wavefront_offset 0
		.amdhsa_system_sgpr_workgroup_id_x 1
		.amdhsa_system_sgpr_workgroup_id_y 1
		.amdhsa_system_sgpr_workgroup_id_z 0
		.amdhsa_system_sgpr_workgroup_info 0
		.amdhsa_system_vgpr_workitem_id 1
		.amdhsa_next_free_vgpr 129
		.amdhsa_next_free_sgpr 98
		.amdhsa_reserve_vcc 1
		.amdhsa_reserve_flat_scratch 0
		.amdhsa_float_round_mode_32 0
		.amdhsa_float_round_mode_16_64 0
		.amdhsa_float_denorm_mode_32 3
		.amdhsa_float_denorm_mode_16_64 3
		.amdhsa_dx10_clamp 1
		.amdhsa_ieee_mode 1
		.amdhsa_fp16_overflow 0
		.amdhsa_exception_fp_ieee_invalid_op 0
		.amdhsa_exception_fp_denorm_src 0
		.amdhsa_exception_fp_ieee_div_zero 0
		.amdhsa_exception_fp_ieee_overflow 0
		.amdhsa_exception_fp_ieee_underflow 0
		.amdhsa_exception_fp_ieee_inexact 0
		.amdhsa_exception_int_div_zero 0
	.end_amdhsa_kernel
	.section	.text._ZL8moe_q5_1IfLb0EEvPKvS1_PT_PKiS5_S5_iiiiiii,"axG",@progbits,_ZL8moe_q5_1IfLb0EEvPKvS1_PT_PKiS5_S5_iiiiiii,comdat
.Lfunc_end183:
	.size	_ZL8moe_q5_1IfLb0EEvPKvS1_PT_PKiS5_S5_iiiiiii, .Lfunc_end183-_ZL8moe_q5_1IfLb0EEvPKvS1_PT_PKiS5_S5_iiiiiii
                                        ; -- End function
	.set _ZL8moe_q5_1IfLb0EEvPKvS1_PT_PKiS5_S5_iiiiiii.num_vgpr, 122
	.set _ZL8moe_q5_1IfLb0EEvPKvS1_PT_PKiS5_S5_iiiiiii.num_agpr, 0
	.set _ZL8moe_q5_1IfLb0EEvPKvS1_PT_PKiS5_S5_iiiiiii.numbered_sgpr, 24
	.set _ZL8moe_q5_1IfLb0EEvPKvS1_PT_PKiS5_S5_iiiiiii.num_named_barrier, 0
	.set _ZL8moe_q5_1IfLb0EEvPKvS1_PT_PKiS5_S5_iiiiiii.private_seg_size, 0
	.set _ZL8moe_q5_1IfLb0EEvPKvS1_PT_PKiS5_S5_iiiiiii.uses_vcc, 1
	.set _ZL8moe_q5_1IfLb0EEvPKvS1_PT_PKiS5_S5_iiiiiii.uses_flat_scratch, 0
	.set _ZL8moe_q5_1IfLb0EEvPKvS1_PT_PKiS5_S5_iiiiiii.has_dyn_sized_stack, 0
	.set _ZL8moe_q5_1IfLb0EEvPKvS1_PT_PKiS5_S5_iiiiiii.has_recursion, 0
	.set _ZL8moe_q5_1IfLb0EEvPKvS1_PT_PKiS5_S5_iiiiiii.has_indirect_call, 0
	.section	.AMDGPU.csdata,"",@progbits
; Kernel info:
; codeLenInByte = 6380
; TotalNumSgprs: 28
; NumVgprs: 122
; ScratchSize: 0
; MemoryBound: 0
; FloatMode: 240
; IeeeMode: 1
; LDSByteSize: 38656 bytes/workgroup (compile time only)
; SGPRBlocks: 12
; VGPRBlocks: 32
; NumSGPRsForWavesPerEU: 102
; NumVGPRsForWavesPerEU: 129
; Occupancy: 1
; WaveLimiterHint : 1
; COMPUTE_PGM_RSRC2:SCRATCH_EN: 0
; COMPUTE_PGM_RSRC2:USER_SGPR: 6
; COMPUTE_PGM_RSRC2:TRAP_HANDLER: 0
; COMPUTE_PGM_RSRC2:TGID_X_EN: 1
; COMPUTE_PGM_RSRC2:TGID_Y_EN: 1
; COMPUTE_PGM_RSRC2:TGID_Z_EN: 0
; COMPUTE_PGM_RSRC2:TIDIG_COMP_CNT: 1
	.section	.text._ZL8moe_q5_1IfLb1EEvPKvS1_PT_PKiS5_S5_iiiiiii,"axG",@progbits,_ZL8moe_q5_1IfLb1EEvPKvS1_PT_PKiS5_S5_iiiiiii,comdat
	.globl	_ZL8moe_q5_1IfLb1EEvPKvS1_PT_PKiS5_S5_iiiiiii ; -- Begin function _ZL8moe_q5_1IfLb1EEvPKvS1_PT_PKiS5_S5_iiiiiii
	.p2align	8
	.type	_ZL8moe_q5_1IfLb1EEvPKvS1_PT_PKiS5_S5_iiiiiii,@function
_ZL8moe_q5_1IfLb1EEvPKvS1_PT_PKiS5_S5_iiiiiii: ; @_ZL8moe_q5_1IfLb1EEvPKvS1_PT_PKiS5_S5_iiiiiii
; %bb.0:
	s_load_dwordx4 s[0:3], s[4:5], 0x18
	s_mov_b32 s8, s7
	s_mov_b32 s9, 0
	s_lshl_b64 s[10:11], s[8:9], 2
	s_waitcnt lgkmcnt(0)
	s_add_u32 s2, s2, s10
	s_addc_u32 s3, s3, s11
	s_load_dword s2, s[2:3], 0x0
	s_waitcnt lgkmcnt(0)
	s_cmpk_gt_u32 s2, 0xff
	s_cbranch_scc1 .LBB184_30
; %bb.1:
	s_load_dwordx2 s[10:11], s[4:5], 0x28
	s_lshl_b32 s3, s8, 3
	s_waitcnt lgkmcnt(0)
	s_load_dword s7, s[10:11], 0x0
	s_waitcnt lgkmcnt(0)
	s_cmp_gt_u32 s3, s7
	s_cbranch_scc1 .LBB184_30
; %bb.2:
	v_add_u32_e32 v17, s3, v1
	v_mov_b32_e32 v18, 0
	v_lshlrev_b64 v[2:3], 2, v[17:18]
	v_mov_b32_e32 v4, s1
	v_add_co_u32_e32 v2, vcc, s0, v2
	v_addc_co_u32_e32 v3, vcc, v4, v3, vcc
	global_load_dword v23, v[2:3], off
	s_load_dwordx8 s[8:15], s[4:5], 0x30
	s_load_dwordx2 s[16:17], s[4:5], 0x10
	s_waitcnt lgkmcnt(0)
	s_lshl_b32 s15, s6, 7
	v_mov_b32_e32 v49, v18
	v_mov_b32_e32 v52, v18
	s_cmp_lt_i32 s9, 32
	v_mov_b32_e32 v24, v18
	s_cbranch_scc1 .LBB184_21
; %bb.3:
	s_ashr_i32 s0, s9, 31
	s_lshr_b32 s0, s0, 27
	s_load_dwordx4 s[4:7], s[4:5], 0x0
	s_add_i32 s0, s9, s0
	s_ashr_i32 s20, s0, 5
	s_ashr_i32 s0, s12, 31
	s_lshr_b32 s0, s0, 27
	s_add_i32 s0, s12, s0
	s_mul_i32 s2, s2, s8
	s_ashr_i32 s12, s0, 5
	s_ashr_i32 s0, s2, 31
	s_waitcnt lgkmcnt(0)
	s_add_u32 s1, s4, s2
	s_mul_i32 s2, s20, s15
	s_addc_u32 s0, s5, s0
	s_mul_hi_i32 s3, s2, 24
	s_mul_i32 s2, s2, 24
	s_add_u32 s8, s1, s2
	s_addc_u32 s21, s0, s3
	s_not_b32 s0, s15
	s_add_i32 s2, s10, s0
	v_lshlrev_b32_e32 v19, 2, v0
	v_min_i32_e32 v2, s2, v1
	v_lshlrev_b32_e32 v18, 3, v0
	s_movk_i32 s18, 0x104
	v_mul_lo_u32 v27, v2, s20
	v_mad_u64_u32 v[2:3], s[0:1], v2, s18, v[18:19]
	v_add_u32_e32 v3, 8, v1
	v_min_i32_e32 v3, s2, v3
	v_mul_lo_u32 v28, v3, s20
	v_mad_u64_u32 v[3:4], s[0:1], v3, s18, v[18:19]
	v_add_u32_e32 v4, 16, v1
	v_min_i32_e32 v4, s2, v4
	;; [unrolled: 4-line block ×15, first 2 shown]
	v_mul_lo_u32 v42, v17, s20
	v_mad_u64_u32 v[17:18], s[0:1], v17, s18, v[18:19]
	v_lshrrev_b32_e32 v44, 3, v0
	v_lshl_add_u32 v18, v1, 2, v44
	v_min_i32_e32 v20, s2, v18
	v_ashrrev_i32_e32 v21, 31, v20
	v_lshrrev_b32_e32 v21, 30, v21
	v_mul_lo_u32 v45, v20, s20
	v_add_u32_e32 v21, v20, v21
	v_lshlrev_b32_e32 v49, 5, v20
	v_add_u32_e32 v20, 32, v18
	v_min_i32_e32 v20, s2, v20
	v_ashrrev_i32_e32 v47, 31, v20
	v_lshrrev_b32_e32 v47, 30, v47
	v_mul_lo_u32 v46, v20, s20
	v_add_u32_e32 v47, v20, v47
	v_lshlrev_b32_e32 v68, 5, v20
	v_add_u32_e32 v20, 64, v18
	v_min_i32_e32 v20, s2, v20
	v_and_b32_e32 v43, 7, v0
	v_ashrrev_i32_e32 v48, 31, v20
	v_add_u32_e32 v18, 0x60, v18
	v_lshlrev_b32_e32 v22, 2, v43
	s_mov_b32 s0, 0x8200
	v_and_b32_e32 v47, -4, v47
	v_lshrrev_b32_e32 v48, 30, v48
	v_min_i32_e32 v18, s2, v18
	v_add3_u32 v52, v47, v22, s0
	v_mul_lo_u32 v47, v20, s20
	v_add_u32_e32 v48, v20, v48
	v_lshlrev_b32_e32 v70, 5, v20
	v_ashrrev_i32_e32 v20, 31, v18
	v_lshrrev_b32_e32 v20, 30, v20
	v_add_u32_e32 v20, v18, v20
	v_and_b32_e32 v21, -4, v21
	v_and_b32_e32 v48, -4, v48
	;; [unrolled: 1-line block ×3, first 2 shown]
	s_abs_i32 s2, s14
	v_add3_u32 v21, v21, v22, s0
	v_add3_u32 v69, v48, v22, s0
	;; [unrolled: 1-line block ×3, first 2 shown]
	v_cvt_f32_u32_e32 v20, s2
	s_sub_i32 s0, 0, s2
	v_mov_b32_e32 v50, 0x9280
	v_mov_b32_e32 v53, 0x9680
	v_rcp_iflag_f32_e32 v20, v20
	v_lshl_add_u32 v50, v1, 7, v50
	v_lshl_add_u32 v1, v1, 4, v53
	v_and_b32_e32 v26, 12, v19
	v_mul_f32_e32 v20, 0x4f7ffffe, v20
	v_cvt_u32_f32_e32 v20, v20
	v_and_b32_e32 v57, 28, v19
	v_add_u32_e32 v53, v1, v19
	s_waitcnt vmcnt(0)
	v_xor_b32_e32 v61, s14, v23
	v_mul_lo_u32 v54, s0, v20
	v_ashrrev_i32_e32 v61, 31, v61
	v_mul_lo_u32 v48, v18, s20
	v_add_u32_e32 v60, 32, v0
	v_mul_hi_u32 v19, v20, v54
	v_sub_u32_e32 v54, 0, v23
	v_max_i32_e32 v56, v23, v54
	v_add_u32_e32 v59, 64, v0
	v_add_u32_e32 v19, v20, v19
	v_mul_hi_u32 v19, v56, v19
	v_add_u32_e32 v58, 0x60, v0
	v_lshrrev_b32_e32 v55, 3, v60
	v_and_b32_e32 v58, 0x1fc, v58
	v_mul_lo_u32 v20, v19, s2
	v_and_b32_e32 v59, 0x1fc, v59
	v_and_b32_e32 v60, 0x1fc, v60
	;; [unrolled: 1-line block ×3, first 2 shown]
	v_sub_u32_e32 v20, v56, v20
	v_add_u32_e32 v56, 1, v19
	v_cmp_le_u32_e64 s[0:1], s2, v20
	v_cndmask_b32_e64 v19, v19, v56, s[0:1]
	v_subrev_u32_e32 v56, s2, v20
	v_cndmask_b32_e64 v20, v20, v56, s[0:1]
	v_add_u32_e32 v56, 1, v19
	v_cmp_le_u32_e64 s[0:1], s2, v20
	v_cndmask_b32_e64 v19, v19, v56, s[0:1]
	v_xor_b32_e32 v19, v19, v61
	v_sub_u32_e32 v19, v19, v61
	v_mul_lo_u32 v56, v19, s12
	v_lshlrev_b32_e32 v61, 5, v0
	v_lshlrev_b32_e32 v18, 5, v18
	v_and_b32_e32 v51, 31, v0
	v_cmp_gt_u32_e32 vcc, 4, v0
	v_cmp_gt_i32_e64 s[0:1], s11, v19
	v_mov_b32_e32 v20, s7
	v_add_co_u32_e64 v19, s[2:3], s6, v57
	v_add_u32_e32 v62, v61, v58
	v_add_u32_e32 v63, v61, v59
	;; [unrolled: 1-line block ×4, first 2 shown]
	v_mov_b32_e32 v66, 0x80
	v_lshrrev_b32_e32 v25, 2, v0
	v_mov_b32_e32 v24, 0
	v_lshl_or_b32 v51, v51, 2, v50
	v_mul_u32_u24_e32 v54, 0x104, v0
	s_mov_b32 s10, 0
	v_addc_co_u32_e64 v20, s[2:3], 0, v20, s[2:3]
	s_and_b64 s[4:5], vcc, s[0:1]
	v_ashrrev_i32_e32 v57, 31, v56
	v_add_u32_e32 v58, 0x8e00, v62
	v_add_u32_e32 v59, 0x8a00, v63
	v_add_u32_e32 v60, 0x8600, v64
	v_add_u32_e32 v61, 0x8200, v65
	v_add_u32_e32 v62, 0x8e10, v62
	v_add_u32_e32 v63, 0x8a10, v63
	v_add_u32_e32 v64, 0x8610, v64
	v_add_u32_e32 v65, 0x8210, v65
	v_mad_u32_u24 v66, v0, s18, v66
	v_add_u32_e32 v67, v21, v49
	v_add_u32_e32 v68, v52, v68
	;; [unrolled: 1-line block ×4, first 2 shown]
	v_mov_b32_e32 v52, 0
	v_mov_b32_e32 v49, 0
	;; [unrolled: 1-line block ×3, first 2 shown]
	s_branch .LBB184_5
.LBB184_4:                              ;   in Loop: Header=BB184_5 Depth=1
	s_add_i32 s10, s10, 8
	s_cmp_ge_i32 s10, s20
	s_cbranch_scc1 .LBB184_21
.LBB184_5:                              ; =>This Loop Header: Depth=1
                                        ;     Child Loop BB184_11 Depth 2
                                        ;     Child Loop BB184_19 Depth 2
	s_mul_i32 s3, s10, 24
	s_mul_hi_u32 s2, s10, 24
	s_add_u32 s18, s8, s3
	s_addc_u32 s19, s21, s2
	v_mad_u64_u32 v[21:22], s[2:3], v25, 24, s[18:19]
	v_mad_i64_i32 v[71:72], s[2:3], v27, 24, v[21:22]
	v_add_co_u32_e64 v73, s[2:3], v71, v26
	v_addc_co_u32_e64 v74, s[2:3], 0, v72, s[2:3]
	v_mad_i64_i32 v[77:78], s[2:3], v30, 24, v[21:22]
	v_mad_i64_i32 v[75:76], s[2:3], v29, 24, v[21:22]
	;; [unrolled: 1-line block ×3, first 2 shown]
	global_load_dword v87, v[73:74], off offset:8
	global_load_dword v88, v[77:78], off offset:4
	;; [unrolled: 1-line block ×5, first 2 shown]
	v_add_co_u32_e64 v71, s[2:3], v79, v26
	v_addc_co_u32_e64 v72, s[2:3], 0, v80, s[2:3]
	global_load_dword v92, v[71:72], off offset:8
	v_add_co_u32_e64 v71, s[2:3], v75, v26
	v_addc_co_u32_e64 v72, s[2:3], 0, v76, s[2:3]
	v_add_co_u32_e64 v73, s[2:3], v77, v26
	v_addc_co_u32_e64 v74, s[2:3], 0, v78, s[2:3]
	global_load_dword v93, v[71:72], off offset:8
	global_load_dword v94, v[73:74], off offset:8
	v_mad_i64_i32 v[71:72], s[2:3], v31, 24, v[21:22]
	v_mad_i64_i32 v[73:74], s[2:3], v32, 24, v[21:22]
	;; [unrolled: 1-line block ×4, first 2 shown]
	v_add_co_u32_e64 v79, s[2:3], v71, v26
	v_addc_co_u32_e64 v80, s[2:3], 0, v72, s[2:3]
	v_add_co_u32_e64 v81, s[2:3], v73, v26
	v_addc_co_u32_e64 v82, s[2:3], 0, v74, s[2:3]
	;; [unrolled: 2-line block ×4, first 2 shown]
	global_load_dword v95, v[79:80], off offset:8
	global_load_dword v96, v[81:82], off offset:8
	;; [unrolled: 1-line block ×8, first 2 shown]
	s_waitcnt vmcnt(15)
	v_lshrrev_b32_e32 v73, 4, v87
	v_and_b32_e32 v72, 0xf0f0f0f, v87
	v_and_b32_e32 v73, 0xf0f0f0f, v73
	s_waitcnt vmcnt(12)
	v_ashrrev_i32_e32 v74, v26, v90
	s_waitcnt vmcnt(11)
	v_ashrrev_i32_e32 v71, v26, v91
	v_lshlrev_b32_e32 v76, 4, v71
	v_lshlrev_b32_e32 v77, 11, v71
	v_lshrrev_b32_e32 v80, 12, v71
	v_lshrrev_b32_e32 v81, 5, v71
	v_lshlrev_b32_e32 v78, 18, v71
	v_lshlrev_b32_e32 v79, 25, v71
	;; [unrolled: 1-line block ×4, first 2 shown]
	v_and_b32_e32 v76, 16, v76
	v_and_b32_e32 v77, 0x1000, v77
	v_and_b32_e32 v80, 16, v80
	v_and_b32_e32 v81, 0x1000, v81
	v_and_b32_e32 v78, 0x100000, v78
	v_and_b32_e32 v79, 0x10000000, v79
	v_and_b32_e32 v82, 0x100000, v82
	v_and_b32_e32 v71, 0x10000000, v71
	v_or3_b32 v72, v76, v72, v77
	v_or3_b32 v73, v80, v73, v81
	;; [unrolled: 1-line block ×4, first 2 shown]
	v_lshlrev_b32_e32 v83, 4, v74
	ds_write2_b32 v2, v72, v71 offset1:1
	v_lshlrev_b32_e32 v72, 11, v74
	s_waitcnt vmcnt(10)
	v_and_b32_e32 v75, 0xf0f0f0f, v92
	v_and_b32_e32 v71, 16, v83
	v_and_b32_e32 v72, 0x1000, v72
	v_or3_b32 v71, v71, v75, v72
	v_lshlrev_b32_e32 v72, 18, v74
	v_lshlrev_b32_e32 v73, 25, v74
	v_and_b32_e32 v72, 0x100000, v72
	v_and_b32_e32 v73, 0x10000000, v73
	v_or3_b32 v71, v71, v72, v73
	v_lshrrev_b32_e32 v72, 4, v92
	v_lshrrev_b32_e32 v73, 12, v74
	;; [unrolled: 1-line block ×3, first 2 shown]
	v_and_b32_e32 v72, 0xf0f0f0f, v72
	v_and_b32_e32 v73, 16, v73
	;; [unrolled: 1-line block ×3, first 2 shown]
	v_or3_b32 v72, v73, v72, v75
	v_lshlrev_b32_e32 v73, 2, v74
	v_lshlrev_b32_e32 v74, 9, v74
	v_and_b32_e32 v73, 0x100000, v73
	v_and_b32_e32 v74, 0x10000000, v74
	v_or3_b32 v72, v72, v73, v74
	ds_write2_b32 v3, v71, v72 offset1:1
	v_ashrrev_i32_e32 v71, v26, v89
	v_lshlrev_b32_e32 v73, 4, v71
	v_lshlrev_b32_e32 v74, 11, v71
	s_waitcnt vmcnt(9)
	v_and_b32_e32 v72, 0xf0f0f0f, v93
	v_and_b32_e32 v73, 16, v73
	;; [unrolled: 1-line block ×3, first 2 shown]
	v_or3_b32 v72, v73, v72, v74
	v_lshlrev_b32_e32 v73, 18, v71
	v_lshlrev_b32_e32 v74, 25, v71
	v_and_b32_e32 v73, 0x100000, v73
	v_and_b32_e32 v74, 0x10000000, v74
	v_or3_b32 v72, v72, v73, v74
	v_lshrrev_b32_e32 v73, 4, v93
	v_lshrrev_b32_e32 v74, 12, v71
	;; [unrolled: 1-line block ×3, first 2 shown]
	v_and_b32_e32 v73, 0xf0f0f0f, v73
	v_and_b32_e32 v74, 16, v74
	;; [unrolled: 1-line block ×3, first 2 shown]
	v_or3_b32 v73, v74, v73, v75
	v_lshlrev_b32_e32 v74, 2, v71
	v_lshlrev_b32_e32 v71, 9, v71
	v_and_b32_e32 v74, 0x100000, v74
	v_and_b32_e32 v71, 0x10000000, v71
	v_or3_b32 v71, v73, v74, v71
	ds_write2_b32 v4, v72, v71 offset1:1
	v_ashrrev_i32_e32 v71, v26, v88
	v_lshlrev_b32_e32 v73, 4, v71
	v_lshlrev_b32_e32 v74, 11, v71
	s_waitcnt vmcnt(8)
	v_and_b32_e32 v72, 0xf0f0f0f, v94
	v_and_b32_e32 v73, 16, v73
	;; [unrolled: 1-line block ×3, first 2 shown]
	v_or3_b32 v72, v73, v72, v74
	v_lshlrev_b32_e32 v73, 18, v71
	v_lshlrev_b32_e32 v74, 25, v71
	v_and_b32_e32 v73, 0x100000, v73
	v_and_b32_e32 v74, 0x10000000, v74
	v_or3_b32 v72, v72, v73, v74
	v_lshrrev_b32_e32 v73, 4, v94
	v_lshrrev_b32_e32 v74, 12, v71
	;; [unrolled: 1-line block ×3, first 2 shown]
	v_and_b32_e32 v73, 0xf0f0f0f, v73
	v_and_b32_e32 v74, 16, v74
	;; [unrolled: 1-line block ×3, first 2 shown]
	v_or3_b32 v73, v74, v73, v75
	v_lshlrev_b32_e32 v74, 2, v71
	v_lshlrev_b32_e32 v71, 9, v71
	v_and_b32_e32 v74, 0x100000, v74
	v_and_b32_e32 v71, 0x10000000, v71
	v_or3_b32 v71, v73, v74, v71
	s_waitcnt vmcnt(0)
	v_ashrrev_i32_e32 v87, v26, v102
	ds_write2_b32 v5, v72, v71 offset1:1
	v_lshlrev_b32_e32 v72, 4, v87
	v_lshlrev_b32_e32 v73, 11, v87
	v_and_b32_e32 v71, 0xf0f0f0f, v95
	v_and_b32_e32 v72, 16, v72
	;; [unrolled: 1-line block ×3, first 2 shown]
	v_or3_b32 v71, v72, v71, v73
	v_lshlrev_b32_e32 v72, 18, v87
	v_lshlrev_b32_e32 v73, 25, v87
	v_and_b32_e32 v72, 0x100000, v72
	v_and_b32_e32 v73, 0x10000000, v73
	v_or3_b32 v88, v71, v72, v73
	v_lshrrev_b32_e32 v71, 4, v95
	v_lshrrev_b32_e32 v72, 12, v87
	;; [unrolled: 1-line block ×3, first 2 shown]
	v_and_b32_e32 v71, 0xf0f0f0f, v71
	v_and_b32_e32 v72, 16, v72
	v_and_b32_e32 v73, 0x1000, v73
	v_or3_b32 v89, v72, v71, v73
	v_lshlrev_b32_e32 v71, 2, v87
	v_and_b32_e32 v90, 0x100000, v71
	v_mad_i64_i32 v[71:72], s[2:3], v35, 24, v[21:22]
	v_mad_i64_i32 v[73:74], s[2:3], v36, 24, v[21:22]
	v_add_co_u32_e64 v75, s[2:3], v71, v26
	v_addc_co_u32_e64 v76, s[2:3], 0, v72, s[2:3]
	v_add_co_u32_e64 v77, s[2:3], v73, v26
	v_addc_co_u32_e64 v78, s[2:3], 0, v74, s[2:3]
	v_mad_i64_i32 v[79:80], s[2:3], v37, 24, v[21:22]
	v_mad_i64_i32 v[81:82], s[2:3], v38, 24, v[21:22]
	v_add_co_u32_e64 v83, s[2:3], v79, v26
	v_addc_co_u32_e64 v84, s[2:3], 0, v80, s[2:3]
	v_add_co_u32_e64 v85, s[2:3], v81, v26
	v_addc_co_u32_e64 v86, s[2:3], 0, v82, s[2:3]
	global_load_dword v91, v[75:76], off offset:8
	global_load_dword v92, v[77:78], off offset:8
	;; [unrolled: 1-line block ×8, first 2 shown]
	v_lshlrev_b32_e32 v71, 9, v87
	v_and_b32_e32 v71, 0x10000000, v71
	v_or3_b32 v71, v89, v90, v71
	ds_write2_b32 v6, v88, v71 offset1:1
	v_ashrrev_i32_e32 v71, v26, v101
	v_lshlrev_b32_e32 v73, 4, v71
	v_lshlrev_b32_e32 v74, 11, v71
	v_and_b32_e32 v72, 0xf0f0f0f, v96
	v_and_b32_e32 v73, 16, v73
	v_and_b32_e32 v74, 0x1000, v74
	v_or3_b32 v72, v73, v72, v74
	v_lshlrev_b32_e32 v73, 18, v71
	v_lshlrev_b32_e32 v74, 25, v71
	v_and_b32_e32 v73, 0x100000, v73
	v_and_b32_e32 v74, 0x10000000, v74
	v_or3_b32 v72, v72, v73, v74
	v_lshrrev_b32_e32 v73, 4, v96
	v_lshrrev_b32_e32 v74, 12, v71
	v_lshrrev_b32_e32 v75, 5, v71
	v_and_b32_e32 v73, 0xf0f0f0f, v73
	v_and_b32_e32 v74, 16, v74
	v_and_b32_e32 v75, 0x1000, v75
	v_or3_b32 v73, v74, v73, v75
	v_lshlrev_b32_e32 v74, 2, v71
	v_lshlrev_b32_e32 v71, 9, v71
	v_and_b32_e32 v74, 0x100000, v74
	v_and_b32_e32 v71, 0x10000000, v71
	v_or3_b32 v71, v73, v74, v71
	ds_write2_b32 v7, v72, v71 offset1:1
	v_ashrrev_i32_e32 v71, v26, v100
	v_lshlrev_b32_e32 v73, 4, v71
	v_lshlrev_b32_e32 v74, 11, v71
	v_and_b32_e32 v72, 0xf0f0f0f, v97
	v_and_b32_e32 v73, 16, v73
	v_and_b32_e32 v74, 0x1000, v74
	v_or3_b32 v72, v73, v72, v74
	v_lshlrev_b32_e32 v73, 18, v71
	v_lshlrev_b32_e32 v74, 25, v71
	v_and_b32_e32 v73, 0x100000, v73
	v_and_b32_e32 v74, 0x10000000, v74
	v_or3_b32 v72, v72, v73, v74
	v_lshrrev_b32_e32 v73, 4, v97
	v_lshrrev_b32_e32 v74, 12, v71
	v_lshrrev_b32_e32 v75, 5, v71
	v_and_b32_e32 v73, 0xf0f0f0f, v73
	v_and_b32_e32 v74, 16, v74
	v_and_b32_e32 v75, 0x1000, v75
	v_or3_b32 v73, v74, v73, v75
	v_lshlrev_b32_e32 v74, 2, v71
	v_lshlrev_b32_e32 v71, 9, v71
	v_and_b32_e32 v74, 0x100000, v74
	;; [unrolled: 25-line block ×3, first 2 shown]
	v_and_b32_e32 v71, 0x10000000, v71
	v_or3_b32 v71, v73, v74, v71
	ds_write2_b32 v9, v72, v71 offset1:1
	s_waitcnt vmcnt(0)
	v_ashrrev_i32_e32 v85, v26, v104
	v_lshlrev_b32_e32 v72, 4, v85
	v_lshlrev_b32_e32 v73, 11, v85
	v_and_b32_e32 v71, 0xf0f0f0f, v91
	v_and_b32_e32 v72, 16, v72
	;; [unrolled: 1-line block ×3, first 2 shown]
	v_or3_b32 v71, v72, v71, v73
	v_lshlrev_b32_e32 v72, 18, v85
	v_lshlrev_b32_e32 v73, 25, v85
	v_and_b32_e32 v72, 0x100000, v72
	v_and_b32_e32 v73, 0x10000000, v73
	v_or3_b32 v86, v71, v72, v73
	v_lshrrev_b32_e32 v71, 4, v91
	v_lshrrev_b32_e32 v72, 12, v85
	;; [unrolled: 1-line block ×3, first 2 shown]
	v_and_b32_e32 v71, 0xf0f0f0f, v71
	v_and_b32_e32 v72, 16, v72
	;; [unrolled: 1-line block ×3, first 2 shown]
	v_or3_b32 v87, v72, v71, v73
	v_lshlrev_b32_e32 v71, 2, v85
	v_and_b32_e32 v88, 0x100000, v71
	v_mad_i64_i32 v[71:72], s[2:3], v39, 24, v[21:22]
	v_mad_i64_i32 v[73:74], s[2:3], v40, 24, v[21:22]
	v_add_co_u32_e64 v75, s[2:3], v71, v26
	v_addc_co_u32_e64 v76, s[2:3], 0, v72, s[2:3]
	v_add_co_u32_e64 v77, s[2:3], v73, v26
	v_addc_co_u32_e64 v78, s[2:3], 0, v74, s[2:3]
	v_mad_i64_i32 v[79:80], s[2:3], v41, 24, v[21:22]
	v_mad_i64_i32 v[21:22], s[2:3], v42, 24, v[21:22]
	v_add_co_u32_e64 v81, s[2:3], v79, v26
	v_addc_co_u32_e64 v82, s[2:3], 0, v80, s[2:3]
	v_add_co_u32_e64 v83, s[2:3], v21, v26
	v_addc_co_u32_e64 v84, s[2:3], 0, v22, s[2:3]
	global_load_dword v89, v[75:76], off offset:8
	global_load_dword v90, v[77:78], off offset:8
	;; [unrolled: 1-line block ×8, first 2 shown]
	v_lshlrev_b32_e32 v21, 9, v85
	v_and_b32_e32 v21, 0x10000000, v21
	v_or3_b32 v21, v87, v88, v21
	ds_write2_b32 v10, v86, v21 offset1:1
	v_ashrrev_i32_e32 v21, v26, v103
	v_lshlrev_b32_e32 v71, 4, v21
	v_lshlrev_b32_e32 v72, 11, v21
	v_and_b32_e32 v22, 0xf0f0f0f, v92
	v_and_b32_e32 v71, 16, v71
	v_and_b32_e32 v72, 0x1000, v72
	v_or3_b32 v22, v71, v22, v72
	v_lshlrev_b32_e32 v71, 18, v21
	v_lshlrev_b32_e32 v72, 25, v21
	v_and_b32_e32 v71, 0x100000, v71
	v_and_b32_e32 v72, 0x10000000, v72
	v_or3_b32 v22, v22, v71, v72
	v_lshrrev_b32_e32 v71, 4, v92
	v_lshrrev_b32_e32 v72, 12, v21
	v_lshrrev_b32_e32 v73, 5, v21
	v_and_b32_e32 v71, 0xf0f0f0f, v71
	v_and_b32_e32 v72, 16, v72
	v_and_b32_e32 v73, 0x1000, v73
	v_or3_b32 v71, v72, v71, v73
	v_lshlrev_b32_e32 v72, 2, v21
	v_lshlrev_b32_e32 v21, 9, v21
	v_and_b32_e32 v72, 0x100000, v72
	v_and_b32_e32 v21, 0x10000000, v21
	v_or3_b32 v21, v71, v72, v21
	ds_write2_b32 v11, v22, v21 offset1:1
	v_ashrrev_i32_e32 v21, v26, v102
	v_lshlrev_b32_e32 v71, 4, v21
	v_lshlrev_b32_e32 v72, 11, v21
	v_and_b32_e32 v22, 0xf0f0f0f, v93
	v_and_b32_e32 v71, 16, v71
	v_and_b32_e32 v72, 0x1000, v72
	v_or3_b32 v22, v71, v22, v72
	v_lshlrev_b32_e32 v71, 18, v21
	v_lshlrev_b32_e32 v72, 25, v21
	v_and_b32_e32 v71, 0x100000, v71
	v_and_b32_e32 v72, 0x10000000, v72
	v_or3_b32 v22, v22, v71, v72
	v_lshrrev_b32_e32 v71, 4, v93
	v_lshrrev_b32_e32 v72, 12, v21
	v_lshrrev_b32_e32 v73, 5, v21
	v_and_b32_e32 v71, 0xf0f0f0f, v71
	v_and_b32_e32 v72, 16, v72
	v_and_b32_e32 v73, 0x1000, v73
	v_or3_b32 v71, v72, v71, v73
	v_lshlrev_b32_e32 v72, 2, v21
	v_lshlrev_b32_e32 v21, 9, v21
	v_and_b32_e32 v72, 0x100000, v72
	v_and_b32_e32 v21, 0x10000000, v21
	v_or3_b32 v21, v71, v72, v21
	ds_write2_b32 v12, v22, v21 offset1:1
	v_ashrrev_i32_e32 v21, v26, v95
	v_lshlrev_b32_e32 v71, 4, v21
	v_lshlrev_b32_e32 v72, 11, v21
	v_and_b32_e32 v22, 0xf0f0f0f, v94
	v_and_b32_e32 v71, 16, v71
	v_and_b32_e32 v72, 0x1000, v72
	v_or3_b32 v22, v71, v22, v72
	v_lshlrev_b32_e32 v71, 18, v21
	v_lshlrev_b32_e32 v72, 25, v21
	v_and_b32_e32 v71, 0x100000, v71
	v_and_b32_e32 v72, 0x10000000, v72
	v_or3_b32 v22, v22, v71, v72
	v_lshrrev_b32_e32 v71, 4, v94
	v_lshrrev_b32_e32 v72, 12, v21
	v_lshrrev_b32_e32 v73, 5, v21
	v_and_b32_e32 v71, 0xf0f0f0f, v71
	v_and_b32_e32 v72, 16, v72
	v_and_b32_e32 v73, 0x1000, v73
	v_or3_b32 v71, v72, v71, v73
	v_lshlrev_b32_e32 v72, 2, v21
	v_lshlrev_b32_e32 v21, 9, v21
	v_and_b32_e32 v72, 0x100000, v72
	v_and_b32_e32 v21, 0x10000000, v21
	v_or3_b32 v21, v71, v72, v21
	ds_write2_b32 v13, v22, v21 offset1:1
	s_waitcnt vmcnt(0)
	v_ashrrev_i32_e32 v21, v26, v100
	v_lshlrev_b32_e32 v71, 4, v21
	v_lshlrev_b32_e32 v72, 11, v21
	v_and_b32_e32 v22, 0xf0f0f0f, v89
	v_and_b32_e32 v71, 16, v71
	v_and_b32_e32 v72, 0x1000, v72
	v_or3_b32 v22, v71, v22, v72
	v_lshlrev_b32_e32 v71, 18, v21
	v_lshlrev_b32_e32 v72, 25, v21
	v_and_b32_e32 v71, 0x100000, v71
	v_and_b32_e32 v72, 0x10000000, v72
	v_or3_b32 v77, v22, v71, v72
	v_lshrrev_b32_e32 v22, 4, v89
	v_lshrrev_b32_e32 v71, 12, v21
	;; [unrolled: 1-line block ×3, first 2 shown]
	v_and_b32_e32 v22, 0xf0f0f0f, v22
	v_and_b32_e32 v71, 16, v71
	;; [unrolled: 1-line block ×3, first 2 shown]
	v_or3_b32 v71, v71, v22, v72
	v_lshlrev_b32_e32 v22, 2, v21
	v_and_b32_e32 v72, 0x100000, v22
	v_lshlrev_b32_e32 v73, 9, v21
	v_mad_u64_u32 v[21:22], s[2:3], v43, 24, s[18:19]
	v_and_b32_e32 v73, 0x10000000, v73
	v_or3_b32 v78, v71, v72, v73
	v_mad_i64_i32 v[71:72], s[2:3], v45, 24, v[21:22]
	v_mad_i64_i32 v[73:74], s[2:3], v46, 24, v[21:22]
	;; [unrolled: 1-line block ×4, first 2 shown]
	global_load_dword v79, v[71:72], off
	global_load_dword v80, v[73:74], off
	;; [unrolled: 1-line block ×3, first 2 shown]
	v_ashrrev_i32_e32 v71, v26, v99
	global_load_dword v21, v[21:22], off
	v_lshlrev_b32_e32 v72, 4, v71
	v_lshlrev_b32_e32 v73, 11, v71
	v_and_b32_e32 v22, 0xf0f0f0f, v90
	v_and_b32_e32 v72, 16, v72
	;; [unrolled: 1-line block ×3, first 2 shown]
	v_or3_b32 v22, v72, v22, v73
	v_lshlrev_b32_e32 v72, 18, v71
	v_lshlrev_b32_e32 v73, 25, v71
	v_and_b32_e32 v72, 0x100000, v72
	v_and_b32_e32 v73, 0x10000000, v73
	v_or3_b32 v22, v22, v72, v73
	v_lshrrev_b32_e32 v72, 4, v90
	v_lshrrev_b32_e32 v73, 12, v71
	v_lshrrev_b32_e32 v74, 5, v71
	v_and_b32_e32 v72, 0xf0f0f0f, v72
	v_and_b32_e32 v73, 16, v73
	;; [unrolled: 1-line block ×3, first 2 shown]
	v_or3_b32 v72, v73, v72, v74
	v_lshlrev_b32_e32 v73, 2, v71
	v_lshlrev_b32_e32 v71, 9, v71
	v_and_b32_e32 v73, 0x100000, v73
	v_and_b32_e32 v71, 0x10000000, v71
	v_or3_b32 v71, v72, v73, v71
	ds_write2_b32 v14, v77, v78 offset1:1
	ds_write2_b32 v15, v22, v71 offset1:1
	v_ashrrev_i32_e32 v22, v26, v98
	v_lshlrev_b32_e32 v72, 4, v22
	v_lshlrev_b32_e32 v73, 11, v22
	v_and_b32_e32 v71, 0xf0f0f0f, v91
	v_and_b32_e32 v72, 16, v72
	;; [unrolled: 1-line block ×3, first 2 shown]
	v_or3_b32 v71, v72, v71, v73
	v_lshlrev_b32_e32 v72, 18, v22
	v_lshlrev_b32_e32 v73, 25, v22
	v_and_b32_e32 v72, 0x100000, v72
	v_and_b32_e32 v73, 0x10000000, v73
	v_or3_b32 v71, v71, v72, v73
	v_lshrrev_b32_e32 v72, 4, v91
	v_lshrrev_b32_e32 v73, 12, v22
	;; [unrolled: 1-line block ×3, first 2 shown]
	v_and_b32_e32 v72, 0xf0f0f0f, v72
	v_and_b32_e32 v73, 16, v73
	;; [unrolled: 1-line block ×3, first 2 shown]
	v_or3_b32 v72, v73, v72, v74
	v_lshlrev_b32_e32 v73, 2, v22
	v_lshlrev_b32_e32 v22, 9, v22
	v_and_b32_e32 v73, 0x100000, v73
	v_and_b32_e32 v22, 0x10000000, v22
	v_or3_b32 v22, v72, v73, v22
	ds_write2_b32 v16, v71, v22 offset1:1
	v_ashrrev_i32_e32 v22, v26, v97
	v_lshlrev_b32_e32 v72, 4, v22
	v_lshlrev_b32_e32 v73, 11, v22
	v_and_b32_e32 v71, 0xf0f0f0f, v96
	v_and_b32_e32 v72, 16, v72
	v_and_b32_e32 v73, 0x1000, v73
	v_or3_b32 v71, v72, v71, v73
	v_lshlrev_b32_e32 v72, 18, v22
	v_lshlrev_b32_e32 v73, 25, v22
	v_and_b32_e32 v72, 0x100000, v72
	v_and_b32_e32 v73, 0x10000000, v73
	v_or3_b32 v71, v71, v72, v73
	v_lshrrev_b32_e32 v72, 4, v96
	v_lshrrev_b32_e32 v73, 12, v22
	;; [unrolled: 1-line block ×3, first 2 shown]
	v_and_b32_e32 v72, 0xf0f0f0f, v72
	v_and_b32_e32 v73, 16, v73
	;; [unrolled: 1-line block ×3, first 2 shown]
	v_or3_b32 v72, v73, v72, v74
	v_lshlrev_b32_e32 v73, 2, v22
	v_lshlrev_b32_e32 v22, 9, v22
	v_and_b32_e32 v73, 0x100000, v73
	v_and_b32_e32 v22, 0x10000000, v22
	s_lshl_b32 s18, s10, 5
	v_or3_b32 v22, v72, v73, v22
	s_cmp_lt_i32 s18, s9
	ds_write2_b32 v17, v71, v22 offset1:1
	s_waitcnt vmcnt(3)
	ds_write_b32 v67, v79
	s_waitcnt vmcnt(2)
	ds_write_b32 v68, v80
	;; [unrolled: 2-line block ×4, first 2 shown]
	s_cbranch_scc0 .LBB184_4
; %bb.6:                                ;   in Loop: Header=BB184_5 Depth=1
	v_add_u32_e32 v21, s10, v44
	v_cmp_gt_i32_e64 s[2:3], s12, v21
	s_and_b64 s[22:23], s[0:1], s[2:3]
	s_and_saveexec_b64 s[2:3], s[22:23]
	s_cbranch_execz .LBB184_8
; %bb.7:                                ;   in Loop: Header=BB184_5 Depth=1
	v_add_u32_e32 v21, v56, v21
	v_mad_i64_i32 v[21:22], s[22:23], v21, 36, v[19:20]
	global_load_dword v21, v[21:22], off offset:4
	s_waitcnt vmcnt(0)
	ds_write_b32 v51, v21
.LBB184_8:                              ;   in Loop: Header=BB184_5 Depth=1
	s_or_b64 exec, exec, s[2:3]
	v_add_u32_e32 v21, s10, v0
	v_cmp_gt_i32_e64 s[2:3], s12, v21
	s_and_b64 s[22:23], s[4:5], s[2:3]
	s_and_saveexec_b64 s[2:3], s[22:23]
	s_cbranch_execz .LBB184_10
; %bb.9:                                ;   in Loop: Header=BB184_5 Depth=1
	v_add_u32_e32 v22, v56, v21
	v_mad_i64_i32 v[71:72], s[22:23], v22, 36, s[6:7]
	global_load_dword v22, v[71:72], off
	s_waitcnt vmcnt(0)
	ds_write_b32 v53, v22
.LBB184_10:                             ;   in Loop: Header=BB184_5 Depth=1
	s_or_b64 exec, exec, s[2:3]
	s_mov_b32 s2, -4
	v_mov_b32_e32 v22, v50
	v_mov_b32_e32 v71, v54
	;; [unrolled: 1-line block ×7, first 2 shown]
	s_waitcnt lgkmcnt(0)
	s_barrier
.LBB184_11:                             ;   Parent Loop BB184_5 Depth=1
                                        ; =>  This Inner Loop Header: Depth=2
	ds_read_b128 v[77:80], v22
	ds_read_b128 v[81:84], v22 offset:16
	ds_read2_b32 v[85:86], v71 offset1:1
	ds_read2_b32 v[87:88], v71 offset0:2 offset1:3
	ds_read2_b32 v[89:90], v71 offset0:4 offset1:5
	;; [unrolled: 1-line block ×3, first 2 shown]
	v_add_u32_e32 v93, 0x2080, v71
	v_add_u32_e32 v95, 0x2088, v71
	;; [unrolled: 1-line block ×12, first 2 shown]
	ds_read_b32 v117, v72
	ds_read_b32 v118, v73
	;; [unrolled: 1-line block ×5, first 2 shown]
	ds_read2_b32 v[93:94], v93 offset1:1
	ds_read2_b32 v[95:96], v95 offset1:1
	;; [unrolled: 1-line block ×12, first 2 shown]
	s_waitcnt lgkmcnt(14)
	v_dot4_i32_i8 v85, v85, v77, 0
	v_dot4_i32_i8 v85, v86, v81, v85
	s_waitcnt lgkmcnt(11)
	v_dot4_i32_i8 v86, v93, v77, 0
	s_waitcnt lgkmcnt(7)
	v_dot4_i32_i8 v93, v101, v77, 0
	s_waitcnt lgkmcnt(3)
	v_dot4_i32_i8 v77, v109, v77, 0
	v_dot4_i32_i8 v85, v87, v78, v85
	v_dot4_i32_i8 v86, v94, v81, v86
	v_dot4_i32_i8 v87, v102, v81, v93
	v_dot4_i32_i8 v77, v110, v81, v77
	v_dot4_i32_i8 v81, v88, v82, v85
	v_dot4_i32_i8 v85, v95, v78, v86
	v_dot4_i32_i8 v86, v103, v78, v87
	s_waitcnt lgkmcnt(2)
	v_dot4_i32_i8 v77, v111, v78, v77
	v_dot4_i32_i8 v78, v89, v79, v81
	v_dot4_i32_i8 v81, v96, v82, v85
	v_dot4_i32_i8 v85, v104, v82, v86
	v_dot4_i32_i8 v77, v112, v82, v77
	v_dot4_i32_i8 v78, v90, v83, v78
	v_dot4_i32_i8 v81, v97, v79, v81
	v_dot4_i32_i8 v82, v105, v79, v85
	s_waitcnt lgkmcnt(1)
	v_dot4_i32_i8 v77, v113, v79, v77
	v_dot4_i32_i8 v78, v91, v80, v78
	v_dot4_i32_i8 v79, v98, v83, v81
	v_dot4_i32_i8 v81, v106, v83, v82
	v_dot4_i32_i8 v77, v114, v83, v77
	v_dot4_i32_i8 v78, v92, v84, v78
	v_dot4_i32_i8 v79, v99, v80, v79
	v_dot4_i32_i8 v81, v107, v80, v81
	s_waitcnt lgkmcnt(0)
	v_dot4_i32_i8 v77, v115, v80, v77
	v_cvt_f32_i32_e32 v78, v78
	v_dot4_i32_i8 v79, v100, v84, v79
	v_dot4_i32_i8 v80, v108, v84, v81
	;; [unrolled: 1-line block ×3, first 2 shown]
	v_cvt_f32_i32_e32 v79, v79
	v_cvt_f32_i32_e32 v80, v80
	v_cvt_f32_i32_e32 v77, v77
	v_pk_mul_f16 v118, v117, v118
	v_pk_mul_f16 v119, v117, v119
	;; [unrolled: 1-line block ×4, first 2 shown]
	v_fma_mix_f32 v78, v118, v78, v118 op_sel:[0,0,1] op_sel_hi:[1,0,1]
	s_add_i32 s2, s2, 4
	v_add_f32_e32 v24, v24, v78
	v_fma_mix_f32 v78, v119, v79, v119 op_sel:[0,0,1] op_sel_hi:[1,0,1]
	v_fma_mix_f32 v79, v120, v80, v120 op_sel:[0,0,1] op_sel_hi:[1,0,1]
	;; [unrolled: 1-line block ×3, first 2 shown]
	v_add_u32_e32 v76, 4, v76
	v_add_u32_e32 v75, 4, v75
	;; [unrolled: 1-line block ×7, first 2 shown]
	s_cmp_lt_u32 s2, 12
	v_add_f32_e32 v52, v52, v78
	v_add_f32_e32 v49, v49, v79
	;; [unrolled: 1-line block ×3, first 2 shown]
	s_cbranch_scc1 .LBB184_11
; %bb.12:                               ;   in Loop: Header=BB184_5 Depth=1
	s_bitset1_b32 s18, 7
	s_cmp_ge_i32 s18, s9
	s_barrier
	s_cbranch_scc1 .LBB184_4
; %bb.13:                               ;   in Loop: Header=BB184_5 Depth=1
	v_add_u32_e32 v22, s10, v55
	v_cmp_gt_i32_e64 s[2:3], s12, v22
	s_and_b64 s[18:19], s[0:1], s[2:3]
	s_and_saveexec_b64 s[2:3], s[18:19]
	s_cbranch_execz .LBB184_15
; %bb.14:                               ;   in Loop: Header=BB184_5 Depth=1
	v_add_u32_e32 v22, v56, v22
	v_mad_i64_i32 v[71:72], s[18:19], v22, 36, v[19:20]
	global_load_dword v22, v[71:72], off offset:4
	s_waitcnt vmcnt(0)
	ds_write_b32 v51, v22
.LBB184_15:                             ;   in Loop: Header=BB184_5 Depth=1
	s_or_b64 exec, exec, s[2:3]
	s_and_saveexec_b64 s[18:19], vcc
	s_cbranch_execz .LBB184_18
; %bb.16:                               ;   in Loop: Header=BB184_5 Depth=1
	v_or_b32_e32 v22, 4, v21
	v_cmp_gt_i32_e64 s[2:3], s12, v22
	s_and_b64 s[2:3], s[0:1], s[2:3]
	s_and_b64 exec, exec, s[2:3]
	s_cbranch_execz .LBB184_18
; %bb.17:                               ;   in Loop: Header=BB184_5 Depth=1
	v_ashrrev_i32_e32 v22, 31, v21
	v_add_co_u32_e64 v21, s[2:3], v56, v21
	v_addc_co_u32_e64 v71, s[2:3], v57, v22, s[2:3]
	v_mad_u64_u32 v[21:22], s[2:3], v21, 36, s[6:7]
	v_mad_i32_i24 v22, v71, 36, v22
	global_load_dword v21, v[21:22], off offset:144
	s_waitcnt vmcnt(0)
	ds_write_b32 v53, v21
.LBB184_18:                             ;   in Loop: Header=BB184_5 Depth=1
	s_or_b64 exec, exec, s[18:19]
	s_mov_b32 s2, 12
	v_mov_b32_e32 v21, v1
	v_mov_b32_e32 v22, v50
	;; [unrolled: 1-line block ×7, first 2 shown]
	s_waitcnt lgkmcnt(0)
	s_barrier
.LBB184_19:                             ;   Parent Loop BB184_5 Depth=1
                                        ; =>  This Inner Loop Header: Depth=2
	v_add_u32_e32 v92, 0x2080, v71
	v_add_u32_e32 v94, 0x2088, v71
	;; [unrolled: 1-line block ×12, first 2 shown]
	ds_read_b128 v[76:79], v22
	ds_read_b32 v116, v21
	ds_read_b128 v[80:83], v22 offset:16
	ds_read2_b32 v[84:85], v71 offset1:1
	ds_read_b32 v117, v72
	ds_read2_b32 v[86:87], v71 offset0:2 offset1:3
	ds_read2_b32 v[88:89], v71 offset0:4 offset1:5
	;; [unrolled: 1-line block ×3, first 2 shown]
	ds_read_b32 v118, v73
	ds_read_b32 v119, v74
	;; [unrolled: 1-line block ×3, first 2 shown]
	ds_read2_b32 v[92:93], v92 offset1:1
	ds_read2_b32 v[94:95], v94 offset1:1
	;; [unrolled: 1-line block ×12, first 2 shown]
	s_waitcnt lgkmcnt(14)
	v_dot4_i32_i8 v84, v84, v76, 0
	v_dot4_i32_i8 v84, v85, v80, v84
	s_waitcnt lgkmcnt(11)
	v_dot4_i32_i8 v85, v92, v76, 0
	s_waitcnt lgkmcnt(7)
	;; [unrolled: 2-line block ×3, first 2 shown]
	v_dot4_i32_i8 v76, v108, v76, 0
	v_dot4_i32_i8 v84, v86, v77, v84
	v_dot4_i32_i8 v85, v93, v80, v85
	v_dot4_i32_i8 v86, v101, v80, v92
	v_dot4_i32_i8 v76, v109, v80, v76
	v_dot4_i32_i8 v80, v87, v81, v84
	v_dot4_i32_i8 v84, v94, v77, v85
	v_dot4_i32_i8 v85, v102, v77, v86
	s_waitcnt lgkmcnt(2)
	v_dot4_i32_i8 v76, v110, v77, v76
	v_dot4_i32_i8 v77, v88, v78, v80
	v_dot4_i32_i8 v80, v95, v81, v84
	v_dot4_i32_i8 v84, v103, v81, v85
	v_dot4_i32_i8 v76, v111, v81, v76
	v_dot4_i32_i8 v77, v89, v82, v77
	v_dot4_i32_i8 v80, v96, v78, v80
	v_dot4_i32_i8 v81, v104, v78, v84
	s_waitcnt lgkmcnt(1)
	v_dot4_i32_i8 v76, v112, v78, v76
	v_dot4_i32_i8 v77, v90, v79, v77
	v_dot4_i32_i8 v78, v97, v82, v80
	v_dot4_i32_i8 v80, v105, v82, v81
	v_dot4_i32_i8 v76, v113, v82, v76
	v_dot4_i32_i8 v77, v91, v83, v77
	v_dot4_i32_i8 v78, v98, v79, v78
	v_dot4_i32_i8 v80, v106, v79, v80
	s_waitcnt lgkmcnt(0)
	v_dot4_i32_i8 v76, v114, v79, v76
	v_cvt_f32_i32_e32 v77, v77
	v_dot4_i32_i8 v78, v99, v83, v78
	v_dot4_i32_i8 v79, v107, v83, v80
	v_dot4_i32_i8 v76, v115, v83, v76
	v_cvt_f32_i32_e32 v78, v78
	v_cvt_f32_i32_e32 v79, v79
	;; [unrolled: 1-line block ×3, first 2 shown]
	v_pk_mul_f16 v117, v116, v117
	v_pk_mul_f16 v118, v116, v118
	v_pk_mul_f16 v119, v116, v119
	v_pk_mul_f16 v116, v116, v120
	v_fma_mix_f32 v77, v117, v77, v117 op_sel:[0,0,1] op_sel_hi:[1,0,1]
	s_add_i32 s2, s2, 4
	v_add_f32_e32 v24, v24, v77
	v_fma_mix_f32 v77, v118, v78, v118 op_sel:[0,0,1] op_sel_hi:[1,0,1]
	v_fma_mix_f32 v78, v119, v79, v119 op_sel:[0,0,1] op_sel_hi:[1,0,1]
	;; [unrolled: 1-line block ×3, first 2 shown]
	v_add_u32_e32 v75, 4, v75
	v_add_u32_e32 v74, 4, v74
	;; [unrolled: 1-line block ×7, first 2 shown]
	s_cmp_lt_u32 s2, 28
	v_add_f32_e32 v52, v52, v77
	v_add_f32_e32 v49, v49, v78
	;; [unrolled: 1-line block ×3, first 2 shown]
	s_cbranch_scc1 .LBB184_19
; %bb.20:                               ;   in Loop: Header=BB184_5 Depth=1
	s_barrier
	s_branch .LBB184_4
.LBB184_21:
	s_mul_i32 s0, s14, s11
	s_waitcnt vmcnt(0)
	v_cmp_gt_i32_e32 vcc, s0, v23
	s_and_saveexec_b64 s[0:1], vcc
	s_cbranch_execz .LBB184_30
; %bb.22:
	v_mul_lo_u32 v1, v23, s13
	v_add_u32_e32 v0, s15, v0
	v_cmp_gt_u32_e32 vcc, s13, v0
	s_and_saveexec_b64 s[0:1], vcc
	s_cbranch_execz .LBB184_24
; %bb.23:
	v_add_u32_e32 v2, v1, v0
	v_mov_b32_e32 v3, 0
	v_lshlrev_b64 v[2:3], 2, v[2:3]
	v_mov_b32_e32 v4, s17
	v_add_co_u32_e32 v2, vcc, s16, v2
	v_addc_co_u32_e32 v3, vcc, v4, v3, vcc
	global_store_dword v[2:3], v24, off
.LBB184_24:
	s_or_b64 exec, exec, s[0:1]
	v_add_u32_e32 v2, 32, v0
	v_cmp_gt_u32_e32 vcc, s13, v2
	s_and_saveexec_b64 s[0:1], vcc
	s_cbranch_execz .LBB184_26
; %bb.25:
	v_add_u32_e32 v2, v1, v2
	v_mov_b32_e32 v3, 0
	v_lshlrev_b64 v[2:3], 2, v[2:3]
	v_mov_b32_e32 v4, s17
	v_add_co_u32_e32 v2, vcc, s16, v2
	v_addc_co_u32_e32 v3, vcc, v4, v3, vcc
	global_store_dword v[2:3], v52, off
.LBB184_26:
	s_or_b64 exec, exec, s[0:1]
	;; [unrolled: 14-line block ×3, first 2 shown]
	v_add_u32_e32 v0, 0x60, v0
	v_cmp_gt_u32_e32 vcc, s13, v0
	s_and_b64 exec, exec, vcc
	s_cbranch_execz .LBB184_30
; %bb.29:
	v_add_u32_e32 v0, v1, v0
	v_mov_b32_e32 v1, 0
	v_lshlrev_b64 v[0:1], 2, v[0:1]
	v_mov_b32_e32 v2, s17
	v_add_co_u32_e32 v0, vcc, s16, v0
	v_addc_co_u32_e32 v1, vcc, v2, v1, vcc
	global_store_dword v[0:1], v18, off
.LBB184_30:
	s_endpgm
	.section	.rodata,"a",@progbits
	.p2align	6, 0x0
	.amdhsa_kernel _ZL8moe_q5_1IfLb1EEvPKvS1_PT_PKiS5_S5_iiiiiii
		.amdhsa_group_segment_fixed_size 38656
		.amdhsa_private_segment_fixed_size 0
		.amdhsa_kernarg_size 76
		.amdhsa_user_sgpr_count 6
		.amdhsa_user_sgpr_private_segment_buffer 1
		.amdhsa_user_sgpr_dispatch_ptr 0
		.amdhsa_user_sgpr_queue_ptr 0
		.amdhsa_user_sgpr_kernarg_segment_ptr 1
		.amdhsa_user_sgpr_dispatch_id 0
		.amdhsa_user_sgpr_flat_scratch_init 0
		.amdhsa_user_sgpr_private_segment_size 0
		.amdhsa_uses_dynamic_stack 0
		.amdhsa_system_sgpr_private_segment_wavefront_offset 0
		.amdhsa_system_sgpr_workgroup_id_x 1
		.amdhsa_system_sgpr_workgroup_id_y 1
		.amdhsa_system_sgpr_workgroup_id_z 0
		.amdhsa_system_sgpr_workgroup_info 0
		.amdhsa_system_vgpr_workitem_id 1
		.amdhsa_next_free_vgpr 129
		.amdhsa_next_free_sgpr 98
		.amdhsa_reserve_vcc 1
		.amdhsa_reserve_flat_scratch 0
		.amdhsa_float_round_mode_32 0
		.amdhsa_float_round_mode_16_64 0
		.amdhsa_float_denorm_mode_32 3
		.amdhsa_float_denorm_mode_16_64 3
		.amdhsa_dx10_clamp 1
		.amdhsa_ieee_mode 1
		.amdhsa_fp16_overflow 0
		.amdhsa_exception_fp_ieee_invalid_op 0
		.amdhsa_exception_fp_denorm_src 0
		.amdhsa_exception_fp_ieee_div_zero 0
		.amdhsa_exception_fp_ieee_overflow 0
		.amdhsa_exception_fp_ieee_underflow 0
		.amdhsa_exception_fp_ieee_inexact 0
		.amdhsa_exception_int_div_zero 0
	.end_amdhsa_kernel
	.section	.text._ZL8moe_q5_1IfLb1EEvPKvS1_PT_PKiS5_S5_iiiiiii,"axG",@progbits,_ZL8moe_q5_1IfLb1EEvPKvS1_PT_PKiS5_S5_iiiiiii,comdat
.Lfunc_end184:
	.size	_ZL8moe_q5_1IfLb1EEvPKvS1_PT_PKiS5_S5_iiiiiii, .Lfunc_end184-_ZL8moe_q5_1IfLb1EEvPKvS1_PT_PKiS5_S5_iiiiiii
                                        ; -- End function
	.set _ZL8moe_q5_1IfLb1EEvPKvS1_PT_PKiS5_S5_iiiiiii.num_vgpr, 122
	.set _ZL8moe_q5_1IfLb1EEvPKvS1_PT_PKiS5_S5_iiiiiii.num_agpr, 0
	.set _ZL8moe_q5_1IfLb1EEvPKvS1_PT_PKiS5_S5_iiiiiii.numbered_sgpr, 24
	.set _ZL8moe_q5_1IfLb1EEvPKvS1_PT_PKiS5_S5_iiiiiii.num_named_barrier, 0
	.set _ZL8moe_q5_1IfLb1EEvPKvS1_PT_PKiS5_S5_iiiiiii.private_seg_size, 0
	.set _ZL8moe_q5_1IfLb1EEvPKvS1_PT_PKiS5_S5_iiiiiii.uses_vcc, 1
	.set _ZL8moe_q5_1IfLb1EEvPKvS1_PT_PKiS5_S5_iiiiiii.uses_flat_scratch, 0
	.set _ZL8moe_q5_1IfLb1EEvPKvS1_PT_PKiS5_S5_iiiiiii.has_dyn_sized_stack, 0
	.set _ZL8moe_q5_1IfLb1EEvPKvS1_PT_PKiS5_S5_iiiiiii.has_recursion, 0
	.set _ZL8moe_q5_1IfLb1EEvPKvS1_PT_PKiS5_S5_iiiiiii.has_indirect_call, 0
	.section	.AMDGPU.csdata,"",@progbits
; Kernel info:
; codeLenInByte = 6644
; TotalNumSgprs: 28
; NumVgprs: 122
; ScratchSize: 0
; MemoryBound: 0
; FloatMode: 240
; IeeeMode: 1
; LDSByteSize: 38656 bytes/workgroup (compile time only)
; SGPRBlocks: 12
; VGPRBlocks: 32
; NumSGPRsForWavesPerEU: 102
; NumVGPRsForWavesPerEU: 129
; Occupancy: 1
; WaveLimiterHint : 1
; COMPUTE_PGM_RSRC2:SCRATCH_EN: 0
; COMPUTE_PGM_RSRC2:USER_SGPR: 6
; COMPUTE_PGM_RSRC2:TRAP_HANDLER: 0
; COMPUTE_PGM_RSRC2:TGID_X_EN: 1
; COMPUTE_PGM_RSRC2:TGID_Y_EN: 1
; COMPUTE_PGM_RSRC2:TGID_Z_EN: 0
; COMPUTE_PGM_RSRC2:TIDIG_COMP_CNT: 1
	.section	.text._ZL8moe_q8_0IfLb0EEvPKvS1_PT_PKiS5_S5_iiiiiii,"axG",@progbits,_ZL8moe_q8_0IfLb0EEvPKvS1_PT_PKiS5_S5_iiiiiii,comdat
	.globl	_ZL8moe_q8_0IfLb0EEvPKvS1_PT_PKiS5_S5_iiiiiii ; -- Begin function _ZL8moe_q8_0IfLb0EEvPKvS1_PT_PKiS5_S5_iiiiiii
	.p2align	8
	.type	_ZL8moe_q8_0IfLb0EEvPKvS1_PT_PKiS5_S5_iiiiiii,@function
_ZL8moe_q8_0IfLb0EEvPKvS1_PT_PKiS5_S5_iiiiiii: ; @_ZL8moe_q8_0IfLb0EEvPKvS1_PT_PKiS5_S5_iiiiiii
; %bb.0:
	s_load_dwordx4 s[0:3], s[4:5], 0x18
	s_mov_b32 s8, s7
	s_mov_b32 s9, 0
	s_lshl_b64 s[10:11], s[8:9], 2
	s_waitcnt lgkmcnt(0)
	s_add_u32 s2, s2, s10
	s_addc_u32 s3, s3, s11
	s_load_dword s2, s[2:3], 0x0
	s_waitcnt lgkmcnt(0)
	s_cmpk_gt_u32 s2, 0xff
	s_cbranch_scc1 .LBB185_22
; %bb.1:
	s_load_dwordx2 s[10:11], s[4:5], 0x28
	s_lshl_b32 s3, s8, 3
	s_waitcnt lgkmcnt(0)
	s_load_dword s7, s[10:11], 0x0
	s_waitcnt lgkmcnt(0)
	s_cmp_gt_u32 s3, s7
	s_cbranch_scc1 .LBB185_22
; %bb.2:
	v_add_u32_e32 v2, s3, v1
	v_mov_b32_e32 v3, 0
	v_lshlrev_b64 v[4:5], 2, v[2:3]
	v_mov_b32_e32 v2, s1
	v_add_co_u32_e32 v4, vcc, s0, v4
	v_addc_co_u32_e32 v5, vcc, v2, v5, vcc
	global_load_dword v4, v[4:5], off
	s_load_dwordx2 s[14:15], s[4:5], 0x30
	s_load_dwordx2 s[12:13], s[4:5], 0x10
	s_load_dwordx4 s[8:11], s[4:5], 0x3c
	s_lshl_b32 s16, s6, 7
	v_mov_b32_e32 v43, v3
	s_waitcnt lgkmcnt(0)
	s_cmp_lt_i32 s15, 32
	v_mov_b32_e32 v44, v3
	v_mov_b32_e32 v5, v3
	s_cbranch_scc1 .LBB185_13
; %bb.3:
	s_ashr_i32 s0, s15, 31
	s_lshr_b32 s0, s0, 27
	s_load_dwordx4 s[4:7], s[4:5], 0x0
	s_add_i32 s0, s15, s0
	s_ashr_i32 s17, s0, 5
	s_ashr_i32 s0, s9, 31
	s_lshr_b32 s0, s0, 27
	s_add_i32 s0, s9, s0
	s_mul_i32 s2, s2, s14
	s_ashr_i32 s9, s0, 5
	s_ashr_i32 s0, s2, 31
	s_waitcnt lgkmcnt(0)
	s_add_u32 s1, s4, s2
	s_mul_i32 s2, s17, s16
	s_addc_u32 s0, s5, s0
	s_mul_hi_i32 s3, s2, 34
	s_mul_i32 s2, s2, 34
	v_mul_lo_u32 v8, s17, v1
	s_add_u32 s14, s1, s2
	s_addc_u32 s18, s0, s3
	v_lshlrev_b32_e32 v2, 2, v0
	s_movk_i32 s0, 0x84
	v_mad_u32_u24 v9, v1, s0, v2
	s_lshl_b32 s0, s17, 3
	v_add_u32_e32 v10, s0, v8
	v_add_u32_e32 v12, s0, v10
	s_abs_i32 s2, s11
	v_add_u32_e32 v14, s0, v12
	v_cvt_f32_u32_e32 v45, s2
	v_add_u32_e32 v16, s0, v14
	v_add_u32_e32 v18, s0, v16
	v_add_u32_e32 v20, s0, v18
	v_add_u32_e32 v22, s0, v20
	v_rcp_iflag_f32_e32 v45, v45
	v_add_u32_e32 v24, s0, v22
	v_add_u32_e32 v26, s0, v24
	;; [unrolled: 1-line block ×4, first 2 shown]
	v_mul_f32_e32 v45, 0x4f7ffffe, v45
	v_add_u32_e32 v32, s0, v30
	v_cvt_u32_f32_e32 v47, v45
	v_add_u32_e32 v34, s0, v32
	v_add_u32_e32 v36, s0, v34
	;; [unrolled: 1-line block ×3, first 2 shown]
	s_sub_i32 s0, 0, s2
	v_mul_lo_u32 v48, s0, v47
	v_lshlrev_b32_e32 v3, 3, v1
	v_lshrrev_b32_e32 v42, 2, v0
	v_add_u32_e32 v43, v42, v3
	v_mov_b32_e32 v45, 0x4a40
	v_mul_lo_u32 v41, s17, v43
	v_add_u16_e32 v3, v42, v3
	v_lshlrev_b32_e32 v54, 4, v43
	v_add_u32_e32 v43, 64, v43
	v_lshl_add_u32 v45, v1, 7, v45
	v_lshlrev_b32_e32 v57, 4, v1
	v_mul_hi_u32 v1, v47, v48
	v_and_b32_e32 v40, 3, v0
	v_lshrrev_b16_e32 v3, 1, v3
	v_lshrrev_b32_e32 v46, 1, v43
	v_and_b32_e32 v7, 28, v2
	v_and_b32_e32 v3, 0x7fc, v3
	v_lshlrev_b32_e32 v44, 2, v40
	s_movk_i32 s4, 0x4200
	v_and_b32_e32 v46, 0xffc, v46
	v_add_u32_e32 v56, 0x4e40, v2
	v_and_b32_e32 v2, 31, v0
	v_add3_u32 v3, v3, v44, s4
	v_add3_u32 v44, v46, v44, s4
	v_lshl_add_u32 v46, v2, 2, v45
	s_waitcnt vmcnt(0)
	v_sub_u32_e32 v2, 0, v4
	v_max_i32_e32 v2, v4, v2
	v_add_u32_e32 v1, v47, v1
	v_mul_hi_u32 v1, v2, v1
	v_xor_b32_e32 v52, s11, v4
	v_ashrrev_i32_e32 v52, 31, v52
	v_add_u32_e32 v49, 0x60, v0
	v_mul_lo_u32 v48, v1, s2
	v_cmp_gt_u32_e64 s[0:1], 4, v0
	v_add_u32_e32 v50, 64, v0
	v_lshrrev_b32_e32 v49, 1, v49
	v_sub_u32_e32 v2, v2, v48
	v_add_u32_e32 v48, 1, v1
	v_cmp_le_u32_e32 vcc, s2, v2
	v_cndmask_b32_e32 v1, v1, v48, vcc
	v_subrev_u32_e32 v48, s2, v2
	v_cndmask_b32_e32 v2, v2, v48, vcc
	v_add_u32_e32 v48, 1, v1
	v_cmp_le_u32_e32 vcc, s2, v2
	v_cndmask_b32_e32 v1, v1, v48, vcc
	v_xor_b32_e32 v1, v1, v52
	v_sub_u32_e32 v1, v1, v52
	v_cmp_gt_i32_e32 vcc, s8, v1
	v_mul_lo_u32 v48, v1, s9
	v_mov_b32_e32 v2, s7
	v_add_co_u32_e64 v1, s[2:3], s6, v7
	v_addc_co_u32_e64 v2, s[2:3], 0, v2, s[2:3]
	v_add_u32_e32 v51, 32, v0
	s_and_b64 s[2:3], s[0:1], vcc
	v_lshlrev_b32_e32 v52, 4, v0
	v_and_b32_e32 v49, 0xfc, v49
	s_movk_i32 s0, 0x4800
	v_lshrrev_b32_e32 v50, 1, v50
	v_lshrrev_b32_e32 v6, 3, v0
	v_add3_u32 v49, v52, v49, s0
	v_and_b32_e32 v50, 0xfc, v50
	s_movk_i32 s0, 0x4600
	v_lshrrev_b32_e32 v51, 1, v51
	v_lshlrev_b32_e32 v43, 4, v43
	v_add3_u32 v50, v52, v50, s0
	v_and_b32_e32 v51, 0xfc, v51
	s_movk_i32 s0, 0x4400
	v_lshlrev_b32_e32 v53, 2, v6
	v_mov_b32_e32 v5, 0
	v_add_u32_e32 v11, 0x420, v9
	v_add_u32_e32 v13, 0x840, v9
	;; [unrolled: 1-line block ×15, first 2 shown]
	v_lshl_add_u32 v42, s17, 6, v41
	v_mul_u32_u24_e32 v47, 0x84, v0
	s_mov_b32 s19, 0
	v_add3_u32 v51, v52, v51, s0
	v_add3_u32 v52, v52, v53, s4
	v_add_u32_e32 v53, 0x4e40, v57
	v_add_u32_e32 v54, v3, v54
	;; [unrolled: 1-line block ×4, first 2 shown]
	v_mov_b32_e32 v44, 0
	v_mov_b32_e32 v43, 0
	;; [unrolled: 1-line block ×3, first 2 shown]
	s_branch .LBB185_5
.LBB185_4:                              ;   in Loop: Header=BB185_5 Depth=1
	s_add_i32 s19, s19, 4
	s_cmp_ge_i32 s19, s17
	s_cbranch_scc1 .LBB185_13
.LBB185_5:                              ; =>This Loop Header: Depth=1
                                        ;     Child Loop BB185_11 Depth 2
	s_mul_i32 s1, s19, 34
	s_mul_hi_u32 s0, s19, 34
	s_add_u32 s4, s14, s1
	s_addc_u32 s5, s18, s0
	v_mad_u64_u32 v[57:58], s[0:1], v6, 34, s[4:5]
	v_mad_u64_u32 v[59:60], s[0:1], v8, 34, v[57:58]
	;; [unrolled: 1-line block ×3, first 2 shown]
	v_add_co_u32_e64 v59, s[0:1], v59, v7
	v_addc_co_u32_e64 v60, s[0:1], 0, v60, s[0:1]
	v_add_co_u32_e64 v61, s[0:1], v61, v7
	v_addc_co_u32_e64 v62, s[0:1], 0, v62, s[0:1]
	v_mad_u64_u32 v[63:64], s[0:1], v12, 34, v[57:58]
	v_mad_u64_u32 v[65:66], s[0:1], v14, 34, v[57:58]
	v_add_co_u32_e64 v63, s[0:1], v63, v7
	v_addc_co_u32_e64 v64, s[0:1], 0, v64, s[0:1]
	v_add_co_u32_e64 v65, s[0:1], v65, v7
	v_addc_co_u32_e64 v66, s[0:1], 0, v66, s[0:1]
	v_mad_u64_u32 v[67:68], s[0:1], v16, 34, v[57:58]
	v_mad_u64_u32 v[69:70], s[0:1], v18, 34, v[57:58]
	;; [unrolled: 6-line block ×3, first 2 shown]
	v_add_co_u32_e64 v71, s[0:1], v71, v7
	v_addc_co_u32_e64 v72, s[0:1], 0, v72, s[0:1]
	v_add_co_u32_e64 v73, s[0:1], v73, v7
	v_addc_co_u32_e64 v74, s[0:1], 0, v74, s[0:1]
	global_load_dword v75, v[59:60], off offset:2
	global_load_dword v76, v[61:62], off offset:2
	;; [unrolled: 1-line block ×7, first 2 shown]
	s_nop 0
	global_load_dword v73, v[73:74], off offset:2
	v_mad_u64_u32 v[59:60], s[0:1], v24, 34, v[57:58]
	v_mad_u64_u32 v[61:62], s[0:1], v26, 34, v[57:58]
	v_add_co_u32_e64 v59, s[0:1], v59, v7
	v_addc_co_u32_e64 v60, s[0:1], 0, v60, s[0:1]
	v_add_co_u32_e64 v61, s[0:1], v61, v7
	v_addc_co_u32_e64 v62, s[0:1], 0, v62, s[0:1]
	v_mad_u64_u32 v[63:64], s[0:1], v28, 34, v[57:58]
	v_mad_u64_u32 v[65:66], s[0:1], v30, 34, v[57:58]
	v_add_co_u32_e64 v63, s[0:1], v63, v7
	v_addc_co_u32_e64 v64, s[0:1], 0, v64, s[0:1]
	v_add_co_u32_e64 v65, s[0:1], v65, v7
	v_addc_co_u32_e64 v66, s[0:1], 0, v66, s[0:1]
	;; [unrolled: 6-line block ×3, first 2 shown]
	v_mad_u64_u32 v[71:72], s[0:1], v36, 34, v[57:58]
	global_load_dword v74, v[59:60], off offset:2
	global_load_dword v82, v[61:62], off offset:2
	;; [unrolled: 1-line block ×3, first 2 shown]
	s_nop 0
	global_load_dword v65, v[65:66], off offset:2
	s_nop 0
	global_load_dword v66, v[67:68], off offset:2
	;; [unrolled: 2-line block ×3, first 2 shown]
	v_add_co_u32_e64 v59, s[0:1], v71, v7
	v_addc_co_u32_e64 v60, s[0:1], 0, v72, s[0:1]
	v_mad_u64_u32 v[61:62], s[0:1], v40, 34, s[4:5]
	v_mad_u64_u32 v[57:58], s[0:1], v38, 34, v[57:58]
	;; [unrolled: 1-line block ×3, first 2 shown]
	v_add_co_u32_e64 v57, s[0:1], v57, v7
	v_addc_co_u32_e64 v58, s[0:1], 0, v58, s[0:1]
	v_mad_u64_u32 v[61:62], s[0:1], v42, 34, v[61:62]
	global_load_ushort v63, v[63:64], off
	s_nop 0
	global_load_dword v59, v[59:60], off offset:2
	s_nop 0
	global_load_dword v57, v[57:58], off offset:2
	s_nop 0
	global_load_ushort v58, v[61:62], off
	s_lshl_b32 s0, s19, 5
	s_cmp_ge_i32 s0, s15
	s_waitcnt vmcnt(17)
	ds_write_b32 v9, v75
	s_waitcnt vmcnt(16)
	ds_write_b32 v11, v76
	;; [unrolled: 2-line block ×16, first 2 shown]
	v_cvt_f32_f16_e32 v60, v63
	s_waitcnt vmcnt(0)
	v_cvt_f32_f16_e32 v57, v58
	ds_write_b32 v54, v60
	ds_write_b32 v55, v57
	s_cbranch_scc1 .LBB185_4
; %bb.6:                                ;   in Loop: Header=BB185_5 Depth=1
	v_add_u32_e32 v57, s19, v6
	v_cmp_gt_i32_e64 s[0:1], s9, v57
	s_and_b64 s[4:5], vcc, s[0:1]
	s_and_saveexec_b64 s[0:1], s[4:5]
	s_cbranch_execz .LBB185_8
; %bb.7:                                ;   in Loop: Header=BB185_5 Depth=1
	v_add_u32_e32 v57, v48, v57
	v_mad_i64_i32 v[57:58], s[4:5], v57, 36, v[1:2]
	global_load_dword v57, v[57:58], off offset:4
	s_waitcnt vmcnt(0)
	ds_write_b32 v46, v57
.LBB185_8:                              ;   in Loop: Header=BB185_5 Depth=1
	s_or_b64 exec, exec, s[0:1]
	v_or_b32_e32 v57, s19, v0
	v_cmp_gt_i32_e64 s[0:1], s9, v57
	s_and_b64 s[4:5], s[2:3], s[0:1]
	s_and_saveexec_b64 s[0:1], s[4:5]
	s_cbranch_execz .LBB185_10
; %bb.9:                                ;   in Loop: Header=BB185_5 Depth=1
	v_add_u32_e32 v57, v48, v57
	v_mad_i64_i32 v[57:58], s[4:5], v57, 36, s[6:7]
	global_load_dword v57, v[57:58], off
	s_waitcnt vmcnt(0)
	v_cvt_f32_f16_e32 v57, v57
	ds_write_b32 v56, v57
.LBB185_10:                             ;   in Loop: Header=BB185_5 Depth=1
	s_or_b64 exec, exec, s[0:1]
	s_mov_b32 s0, -8
	v_mov_b32_e32 v57, v45
	v_mov_b32_e32 v58, v53
	;; [unrolled: 1-line block ×7, first 2 shown]
	s_waitcnt lgkmcnt(0)
	s_barrier
.LBB185_11:                             ;   Parent Loop BB185_5 Depth=1
                                        ; =>  This Inner Loop Header: Depth=2
	ds_read_b32 v74, v58
	ds_read_b128 v[64:67], v57
	ds_read_b128 v[68:71], v57 offset:16
	ds_read_b32 v75, v59
	ds_read2_b32 v[72:73], v63 offset1:1
	s_add_i32 s0, s0, 8
	v_add_u32_e32 v59, 4, v59
	v_add_u32_e32 v58, 4, v58
	;; [unrolled: 1-line block ×3, first 2 shown]
	s_waitcnt lgkmcnt(0)
	v_dot4_i32_i8 v72, v72, v64, 0
	v_dot4_i32_i8 v76, v73, v65, v72
	ds_read2_b32 v[72:73], v63 offset0:2 offset1:3
	s_cmp_lt_u32 s0, 24
	s_waitcnt lgkmcnt(0)
	v_dot4_i32_i8 v72, v72, v66, v76
	v_dot4_i32_i8 v76, v73, v67, v72
	ds_read2_b32 v[72:73], v63 offset0:4 offset1:5
	s_waitcnt lgkmcnt(0)
	v_dot4_i32_i8 v72, v72, v68, v76
	v_dot4_i32_i8 v76, v73, v69, v72
	ds_read2_b32 v[72:73], v63 offset0:6 offset1:7
	s_waitcnt lgkmcnt(0)
	v_dot4_i32_i8 v72, v72, v70, v76
	v_dot4_i32_i8 v72, v73, v71, v72
	v_cvt_f32_i32_e32 v72, v72
	v_mul_f32_e32 v73, v74, v75
	v_fmac_f32_e32 v5, v73, v72
	v_add_u32_e32 v72, 0x1080, v63
	ds_read_b32 v75, v60
	ds_read2_b32 v[72:73], v72 offset1:1
	v_add_u32_e32 v60, 4, v60
	s_waitcnt lgkmcnt(0)
	v_dot4_i32_i8 v72, v72, v64, 0
	v_dot4_i32_i8 v76, v73, v65, v72
	v_add_u32_e32 v72, 0x1088, v63
	ds_read2_b32 v[72:73], v72 offset1:1
	s_waitcnt lgkmcnt(0)
	v_dot4_i32_i8 v72, v72, v66, v76
	v_dot4_i32_i8 v76, v73, v67, v72
	v_add_u32_e32 v72, 0x1090, v63
	ds_read2_b32 v[72:73], v72 offset1:1
	s_waitcnt lgkmcnt(0)
	v_dot4_i32_i8 v72, v72, v68, v76
	v_dot4_i32_i8 v76, v73, v69, v72
	v_add_u32_e32 v72, 0x1098, v63
	ds_read2_b32 v[72:73], v72 offset1:1
	s_waitcnt lgkmcnt(0)
	v_dot4_i32_i8 v72, v72, v70, v76
	v_dot4_i32_i8 v72, v73, v71, v72
	v_cvt_f32_i32_e32 v72, v72
	v_mul_f32_e32 v73, v74, v75
	v_fmac_f32_e32 v44, v73, v72
	v_add_u32_e32 v72, 0x2100, v63
	ds_read_b32 v75, v61
	ds_read2_b32 v[72:73], v72 offset1:1
	v_add_u32_e32 v61, 4, v61
	s_waitcnt lgkmcnt(0)
	v_dot4_i32_i8 v72, v72, v64, 0
	v_dot4_i32_i8 v76, v73, v65, v72
	v_add_u32_e32 v72, 0x2108, v63
	ds_read2_b32 v[72:73], v72 offset1:1
	s_waitcnt lgkmcnt(0)
	v_dot4_i32_i8 v72, v72, v66, v76
	v_dot4_i32_i8 v76, v73, v67, v72
	v_add_u32_e32 v72, 0x2110, v63
	ds_read2_b32 v[72:73], v72 offset1:1
	s_waitcnt lgkmcnt(0)
	v_dot4_i32_i8 v72, v72, v68, v76
	v_dot4_i32_i8 v76, v73, v69, v72
	v_add_u32_e32 v72, 0x2118, v63
	ds_read2_b32 v[72:73], v72 offset1:1
	s_waitcnt lgkmcnt(0)
	v_dot4_i32_i8 v72, v72, v70, v76
	v_dot4_i32_i8 v72, v73, v71, v72
	v_cvt_f32_i32_e32 v72, v72
	v_mul_f32_e32 v73, v74, v75
	v_fmac_f32_e32 v43, v73, v72
	v_add_u32_e32 v72, 0x3180, v63
	ds_read_b32 v75, v62
	ds_read2_b32 v[72:73], v72 offset1:1
	v_add_u32_e32 v62, 4, v62
	s_waitcnt lgkmcnt(0)
	v_dot4_i32_i8 v64, v72, v64, 0
	v_dot4_i32_i8 v72, v73, v65, v64
	v_add_u32_e32 v64, 0x3188, v63
	ds_read2_b32 v[64:65], v64 offset1:1
	s_waitcnt lgkmcnt(0)
	v_dot4_i32_i8 v64, v64, v66, v72
	v_dot4_i32_i8 v66, v65, v67, v64
	v_add_u32_e32 v64, 0x3190, v63
	ds_read2_b32 v[64:65], v64 offset1:1
	s_waitcnt lgkmcnt(0)
	v_dot4_i32_i8 v64, v64, v68, v66
	v_dot4_i32_i8 v66, v65, v69, v64
	v_add_u32_e32 v64, 0x3198, v63
	ds_read2_b32 v[64:65], v64 offset1:1
	v_add_u32_e32 v63, 32, v63
	s_waitcnt lgkmcnt(0)
	v_dot4_i32_i8 v64, v64, v70, v66
	v_dot4_i32_i8 v64, v65, v71, v64
	v_cvt_f32_i32_e32 v64, v64
	v_mul_f32_e32 v65, v74, v75
	v_fmac_f32_e32 v3, v65, v64
	s_cbranch_scc1 .LBB185_11
; %bb.12:                               ;   in Loop: Header=BB185_5 Depth=1
	s_barrier
	s_branch .LBB185_4
.LBB185_13:
	s_mul_i32 s0, s11, s8
	s_waitcnt vmcnt(0)
	v_cmp_gt_i32_e32 vcc, s0, v4
	s_and_saveexec_b64 s[0:1], vcc
	s_cbranch_execz .LBB185_22
; %bb.14:
	v_mul_lo_u32 v1, v4, s10
	v_add_u32_e32 v0, s16, v0
	v_cmp_gt_u32_e32 vcc, s10, v0
	s_and_saveexec_b64 s[0:1], vcc
	s_cbranch_execz .LBB185_16
; %bb.15:
	v_add_u32_e32 v6, v1, v0
	v_mov_b32_e32 v7, 0
	v_lshlrev_b64 v[6:7], 2, v[6:7]
	v_mov_b32_e32 v2, s13
	v_add_co_u32_e32 v6, vcc, s12, v6
	v_addc_co_u32_e32 v7, vcc, v2, v7, vcc
	global_store_dword v[6:7], v5, off
.LBB185_16:
	s_or_b64 exec, exec, s[0:1]
	v_add_u32_e32 v2, 32, v0
	v_cmp_gt_u32_e32 vcc, s10, v2
	s_and_saveexec_b64 s[0:1], vcc
	s_cbranch_execz .LBB185_18
; %bb.17:
	v_add_u32_e32 v4, v1, v2
	v_mov_b32_e32 v5, 0
	v_lshlrev_b64 v[4:5], 2, v[4:5]
	v_mov_b32_e32 v2, s13
	v_add_co_u32_e32 v4, vcc, s12, v4
	v_addc_co_u32_e32 v5, vcc, v2, v5, vcc
	global_store_dword v[4:5], v44, off
.LBB185_18:
	s_or_b64 exec, exec, s[0:1]
	;; [unrolled: 14-line block ×3, first 2 shown]
	v_add_u32_e32 v0, 0x60, v0
	v_cmp_gt_u32_e32 vcc, s10, v0
	s_and_b64 exec, exec, vcc
	s_cbranch_execz .LBB185_22
; %bb.21:
	v_add_u32_e32 v0, v1, v0
	v_mov_b32_e32 v1, 0
	v_lshlrev_b64 v[0:1], 2, v[0:1]
	v_mov_b32_e32 v2, s13
	v_add_co_u32_e32 v0, vcc, s12, v0
	v_addc_co_u32_e32 v1, vcc, v2, v1, vcc
	global_store_dword v[0:1], v3, off
.LBB185_22:
	s_endpgm
	.section	.rodata,"a",@progbits
	.p2align	6, 0x0
	.amdhsa_kernel _ZL8moe_q8_0IfLb0EEvPKvS1_PT_PKiS5_S5_iiiiiii
		.amdhsa_group_segment_fixed_size 20160
		.amdhsa_private_segment_fixed_size 0
		.amdhsa_kernarg_size 76
		.amdhsa_user_sgpr_count 6
		.amdhsa_user_sgpr_private_segment_buffer 1
		.amdhsa_user_sgpr_dispatch_ptr 0
		.amdhsa_user_sgpr_queue_ptr 0
		.amdhsa_user_sgpr_kernarg_segment_ptr 1
		.amdhsa_user_sgpr_dispatch_id 0
		.amdhsa_user_sgpr_flat_scratch_init 0
		.amdhsa_user_sgpr_private_segment_size 0
		.amdhsa_uses_dynamic_stack 0
		.amdhsa_system_sgpr_private_segment_wavefront_offset 0
		.amdhsa_system_sgpr_workgroup_id_x 1
		.amdhsa_system_sgpr_workgroup_id_y 1
		.amdhsa_system_sgpr_workgroup_id_z 0
		.amdhsa_system_sgpr_workgroup_info 0
		.amdhsa_system_vgpr_workitem_id 1
		.amdhsa_next_free_vgpr 84
		.amdhsa_next_free_sgpr 98
		.amdhsa_reserve_vcc 1
		.amdhsa_reserve_flat_scratch 0
		.amdhsa_float_round_mode_32 0
		.amdhsa_float_round_mode_16_64 0
		.amdhsa_float_denorm_mode_32 3
		.amdhsa_float_denorm_mode_16_64 3
		.amdhsa_dx10_clamp 1
		.amdhsa_ieee_mode 1
		.amdhsa_fp16_overflow 0
		.amdhsa_exception_fp_ieee_invalid_op 0
		.amdhsa_exception_fp_denorm_src 0
		.amdhsa_exception_fp_ieee_div_zero 0
		.amdhsa_exception_fp_ieee_overflow 0
		.amdhsa_exception_fp_ieee_underflow 0
		.amdhsa_exception_fp_ieee_inexact 0
		.amdhsa_exception_int_div_zero 0
	.end_amdhsa_kernel
	.section	.text._ZL8moe_q8_0IfLb0EEvPKvS1_PT_PKiS5_S5_iiiiiii,"axG",@progbits,_ZL8moe_q8_0IfLb0EEvPKvS1_PT_PKiS5_S5_iiiiiii,comdat
.Lfunc_end185:
	.size	_ZL8moe_q8_0IfLb0EEvPKvS1_PT_PKiS5_S5_iiiiiii, .Lfunc_end185-_ZL8moe_q8_0IfLb0EEvPKvS1_PT_PKiS5_S5_iiiiiii
                                        ; -- End function
	.set _ZL8moe_q8_0IfLb0EEvPKvS1_PT_PKiS5_S5_iiiiiii.num_vgpr, 84
	.set _ZL8moe_q8_0IfLb0EEvPKvS1_PT_PKiS5_S5_iiiiiii.num_agpr, 0
	.set _ZL8moe_q8_0IfLb0EEvPKvS1_PT_PKiS5_S5_iiiiiii.numbered_sgpr, 20
	.set _ZL8moe_q8_0IfLb0EEvPKvS1_PT_PKiS5_S5_iiiiiii.num_named_barrier, 0
	.set _ZL8moe_q8_0IfLb0EEvPKvS1_PT_PKiS5_S5_iiiiiii.private_seg_size, 0
	.set _ZL8moe_q8_0IfLb0EEvPKvS1_PT_PKiS5_S5_iiiiiii.uses_vcc, 1
	.set _ZL8moe_q8_0IfLb0EEvPKvS1_PT_PKiS5_S5_iiiiiii.uses_flat_scratch, 0
	.set _ZL8moe_q8_0IfLb0EEvPKvS1_PT_PKiS5_S5_iiiiiii.has_dyn_sized_stack, 0
	.set _ZL8moe_q8_0IfLb0EEvPKvS1_PT_PKiS5_S5_iiiiiii.has_recursion, 0
	.set _ZL8moe_q8_0IfLb0EEvPKvS1_PT_PKiS5_S5_iiiiiii.has_indirect_call, 0
	.section	.AMDGPU.csdata,"",@progbits
; Kernel info:
; codeLenInByte = 2900
; TotalNumSgprs: 24
; NumVgprs: 84
; ScratchSize: 0
; MemoryBound: 0
; FloatMode: 240
; IeeeMode: 1
; LDSByteSize: 20160 bytes/workgroup (compile time only)
; SGPRBlocks: 12
; VGPRBlocks: 20
; NumSGPRsForWavesPerEU: 102
; NumVGPRsForWavesPerEU: 84
; Occupancy: 3
; WaveLimiterHint : 1
; COMPUTE_PGM_RSRC2:SCRATCH_EN: 0
; COMPUTE_PGM_RSRC2:USER_SGPR: 6
; COMPUTE_PGM_RSRC2:TRAP_HANDLER: 0
; COMPUTE_PGM_RSRC2:TGID_X_EN: 1
; COMPUTE_PGM_RSRC2:TGID_Y_EN: 1
; COMPUTE_PGM_RSRC2:TGID_Z_EN: 0
; COMPUTE_PGM_RSRC2:TIDIG_COMP_CNT: 1
	.section	.text._ZL8moe_q8_0IfLb1EEvPKvS1_PT_PKiS5_S5_iiiiiii,"axG",@progbits,_ZL8moe_q8_0IfLb1EEvPKvS1_PT_PKiS5_S5_iiiiiii,comdat
	.globl	_ZL8moe_q8_0IfLb1EEvPKvS1_PT_PKiS5_S5_iiiiiii ; -- Begin function _ZL8moe_q8_0IfLb1EEvPKvS1_PT_PKiS5_S5_iiiiiii
	.p2align	8
	.type	_ZL8moe_q8_0IfLb1EEvPKvS1_PT_PKiS5_S5_iiiiiii,@function
_ZL8moe_q8_0IfLb1EEvPKvS1_PT_PKiS5_S5_iiiiiii: ; @_ZL8moe_q8_0IfLb1EEvPKvS1_PT_PKiS5_S5_iiiiiii
; %bb.0:
	s_load_dwordx4 s[0:3], s[4:5], 0x18
	s_mov_b32 s8, s7
	s_mov_b32 s9, 0
	s_lshl_b64 s[10:11], s[8:9], 2
	s_waitcnt lgkmcnt(0)
	s_add_u32 s2, s2, s10
	s_addc_u32 s3, s3, s11
	s_load_dword s2, s[2:3], 0x0
	s_waitcnt lgkmcnt(0)
	s_cmpk_gt_u32 s2, 0xff
	s_cbranch_scc1 .LBB186_22
; %bb.1:
	s_load_dwordx2 s[10:11], s[4:5], 0x28
	s_lshl_b32 s3, s8, 3
	s_waitcnt lgkmcnt(0)
	s_load_dword s7, s[10:11], 0x0
	s_waitcnt lgkmcnt(0)
	s_cmp_gt_u32 s3, s7
	s_cbranch_scc1 .LBB186_22
; %bb.2:
	v_add_u32_e32 v14, s3, v1
	v_mov_b32_e32 v15, 0
	v_lshlrev_b64 v[2:3], 2, v[14:15]
	v_mov_b32_e32 v4, s1
	v_add_co_u32_e32 v2, vcc, s0, v2
	v_addc_co_u32_e32 v3, vcc, v4, v3, vcc
	global_load_dword v21, v[2:3], off
	s_load_dwordx8 s[8:15], s[4:5], 0x30
	s_load_dwordx2 s[16:17], s[4:5], 0x10
	s_waitcnt lgkmcnt(0)
	s_lshl_b32 s15, s6, 7
	v_mov_b32_e32 v44, v15
	v_mov_b32_e32 v45, v15
	s_cmp_lt_i32 s9, 32
	v_mov_b32_e32 v22, v15
	s_cbranch_scc1 .LBB186_13
; %bb.3:
	s_ashr_i32 s0, s9, 31
	s_lshr_b32 s0, s0, 27
	s_load_dwordx4 s[4:7], s[4:5], 0x0
	s_add_i32 s0, s9, s0
	s_ashr_i32 s18, s0, 5
	s_ashr_i32 s0, s12, 31
	s_lshr_b32 s0, s0, 27
	s_add_i32 s0, s12, s0
	s_mul_i32 s2, s2, s8
	s_ashr_i32 s12, s0, 5
	s_ashr_i32 s0, s2, 31
	s_waitcnt lgkmcnt(0)
	s_add_u32 s1, s4, s2
	s_mul_i32 s2, s18, s15
	s_addc_u32 s0, s5, s0
	s_mul_hi_i32 s3, s2, 34
	s_mul_i32 s2, s2, 34
	s_add_u32 s8, s1, s2
	s_addc_u32 s19, s0, s3
	s_not_b32 s0, s15
	s_add_i32 s2, s10, s0
	v_lshlrev_b32_e32 v20, 2, v0
	v_min_i32_e32 v2, s2, v1
	s_movk_i32 s3, 0x84
	v_mul_lo_u32 v25, v2, s18
	s_waitcnt vmcnt(0)
	v_mad_u64_u32 v[2:3], s[0:1], v2, s3, v[20:21]
	v_add_u32_e32 v3, 8, v1
	v_min_i32_e32 v3, s2, v3
	v_mul_lo_u32 v26, v3, s18
	v_mad_u64_u32 v[3:4], s[0:1], v3, s3, v[20:21]
	v_add_u32_e32 v4, 16, v1
	v_min_i32_e32 v4, s2, v4
	v_mul_lo_u32 v27, v4, s18
	;; [unrolled: 4-line block ×15, first 2 shown]
	v_mad_u64_u32 v[18:19], s[0:1], v15, s3, v[20:21]
	v_lshrrev_b32_e32 v15, 2, v0
	v_lshl_add_u32 v15, v1, 3, v15
	v_min_i32_e32 v19, s2, v15
	v_ashrrev_i32_e32 v43, 31, v19
	v_add_u32_e32 v15, 64, v15
	v_lshrrev_b32_e32 v43, 29, v43
	v_min_i32_e32 v15, s2, v15
	v_mul_lo_u32 v42, v19, s18
	v_add_u32_e32 v43, v19, v43
	v_lshlrev_b32_e32 v54, 4, v19
	v_ashrrev_i32_e32 v19, 31, v15
	s_abs_i32 s2, s14
	v_lshrrev_b32_e32 v19, 29, v19
	v_cvt_f32_u32_e32 v46, s2
	v_add_u32_e32 v19, v15, v19
	v_and_b32_e32 v41, 3, v0
	v_ashrrev_i32_e32 v43, 3, v43
	v_ashrrev_i32_e32 v19, 3, v19
	v_lshlrev_b32_e32 v43, 2, v43
	v_lshlrev_b32_e32 v44, 2, v41
	s_movk_i32 s4, 0x4200
	v_lshlrev_b32_e32 v19, 2, v19
	v_add3_u32 v45, v43, v44, s4
	v_add3_u32 v44, v19, v44, s4
	v_rcp_iflag_f32_e32 v19, v46
	s_sub_i32 s0, 0, s2
	v_mov_b32_e32 v46, 0x4a40
	v_lshl_add_u32 v46, v1, 7, v46
	v_mul_f32_e32 v19, 0x4f7ffffe, v19
	v_cvt_u32_f32_e32 v19, v19
	v_lshlrev_b32_e32 v57, 4, v1
	v_and_b32_e32 v24, 28, v20
	v_add_u32_e32 v56, 0x4e40, v20
	v_mul_lo_u32 v48, s0, v19
	v_and_b32_e32 v20, 31, v0
	v_lshl_add_u32 v47, v20, 2, v46
	v_sub_u32_e32 v20, 0, v21
	v_mul_hi_u32 v1, v19, v48
	v_max_i32_e32 v20, v21, v20
	v_xor_b32_e32 v52, s14, v21
	v_ashrrev_i32_e32 v52, 31, v52
	v_add_u32_e32 v1, v19, v1
	v_mul_hi_u32 v19, v20, v1
	v_add_u32_e32 v49, 0x60, v0
	v_cmp_gt_u32_e64 s[0:1], 4, v0
	v_add_u32_e32 v50, 64, v0
	v_mul_lo_u32 v48, v19, s2
	v_lshrrev_b32_e32 v49, 1, v49
	v_mul_lo_u32 v43, v15, s18
	v_add_u32_e32 v51, 32, v0
	v_sub_u32_e32 v20, v20, v48
	v_add_u32_e32 v48, 1, v19
	v_cmp_le_u32_e32 vcc, s2, v20
	v_cndmask_b32_e32 v19, v19, v48, vcc
	v_subrev_u32_e32 v48, s2, v20
	v_cndmask_b32_e32 v20, v20, v48, vcc
	v_add_u32_e32 v48, 1, v19
	v_cmp_le_u32_e32 vcc, s2, v20
	v_cndmask_b32_e32 v19, v19, v48, vcc
	v_xor_b32_e32 v19, v19, v52
	v_sub_u32_e32 v19, v19, v52
	v_cmp_gt_i32_e32 vcc, s11, v19
	v_mul_lo_u32 v48, v19, s12
	v_mov_b32_e32 v20, s7
	v_add_co_u32_e64 v19, s[2:3], s6, v24
	v_addc_co_u32_e64 v20, s[2:3], 0, v20, s[2:3]
	s_and_b64 s[2:3], s[0:1], vcc
	v_lshlrev_b32_e32 v52, 4, v0
	v_and_b32_e32 v49, 0xfc, v49
	s_movk_i32 s0, 0x4800
	v_lshrrev_b32_e32 v50, 1, v50
	v_lshrrev_b32_e32 v23, 3, v0
	v_add3_u32 v49, v52, v49, s0
	v_and_b32_e32 v50, 0xfc, v50
	s_movk_i32 s0, 0x4600
	v_lshrrev_b32_e32 v51, 1, v51
	v_lshlrev_b32_e32 v15, 4, v15
	v_add3_u32 v50, v52, v50, s0
	v_and_b32_e32 v51, 0xfc, v51
	s_movk_i32 s0, 0x4400
	v_lshlrev_b32_e32 v53, 2, v23
	v_mov_b32_e32 v22, 0
	v_mul_u32_u24_e32 v1, 0x84, v0
	s_mov_b32 s10, 0
	v_add3_u32 v51, v52, v51, s0
	v_add3_u32 v52, v52, v53, s4
	v_add_u32_e32 v53, 0x4e40, v57
	v_add_u32_e32 v54, v45, v54
	;; [unrolled: 1-line block ×4, first 2 shown]
	v_mov_b32_e32 v45, 0
	v_mov_b32_e32 v44, 0
	;; [unrolled: 1-line block ×3, first 2 shown]
	s_branch .LBB186_5
.LBB186_4:                              ;   in Loop: Header=BB186_5 Depth=1
	s_add_i32 s10, s10, 4
	s_cmp_ge_i32 s10, s18
	s_cbranch_scc1 .LBB186_13
.LBB186_5:                              ; =>This Loop Header: Depth=1
                                        ;     Child Loop BB186_11 Depth 2
	s_mul_i32 s1, s10, 34
	s_mul_hi_u32 s0, s10, 34
	s_add_u32 s4, s8, s1
	s_addc_u32 s5, s19, s0
	v_mad_u64_u32 v[57:58], s[0:1], v23, 34, s[4:5]
	v_mad_i64_i32 v[59:60], s[0:1], v25, 34, v[57:58]
	v_mad_i64_i32 v[61:62], s[0:1], v26, 34, v[57:58]
	v_add_co_u32_e64 v59, s[0:1], v59, v24
	v_addc_co_u32_e64 v60, s[0:1], 0, v60, s[0:1]
	v_add_co_u32_e64 v61, s[0:1], v61, v24
	v_addc_co_u32_e64 v62, s[0:1], 0, v62, s[0:1]
	v_mad_i64_i32 v[63:64], s[0:1], v27, 34, v[57:58]
	v_mad_i64_i32 v[65:66], s[0:1], v28, 34, v[57:58]
	v_add_co_u32_e64 v63, s[0:1], v63, v24
	v_addc_co_u32_e64 v64, s[0:1], 0, v64, s[0:1]
	v_add_co_u32_e64 v65, s[0:1], v65, v24
	v_addc_co_u32_e64 v66, s[0:1], 0, v66, s[0:1]
	;; [unrolled: 6-line block ×4, first 2 shown]
	global_load_dword v75, v[59:60], off offset:2
	global_load_dword v76, v[61:62], off offset:2
	;; [unrolled: 1-line block ×7, first 2 shown]
	s_nop 0
	global_load_dword v73, v[73:74], off offset:2
	v_mad_i64_i32 v[59:60], s[0:1], v33, 34, v[57:58]
	v_mad_i64_i32 v[61:62], s[0:1], v34, 34, v[57:58]
	v_add_co_u32_e64 v59, s[0:1], v59, v24
	v_addc_co_u32_e64 v60, s[0:1], 0, v60, s[0:1]
	v_add_co_u32_e64 v61, s[0:1], v61, v24
	v_addc_co_u32_e64 v62, s[0:1], 0, v62, s[0:1]
	v_mad_i64_i32 v[63:64], s[0:1], v35, 34, v[57:58]
	v_mad_i64_i32 v[65:66], s[0:1], v36, 34, v[57:58]
	v_add_co_u32_e64 v63, s[0:1], v63, v24
	v_addc_co_u32_e64 v64, s[0:1], 0, v64, s[0:1]
	v_add_co_u32_e64 v65, s[0:1], v65, v24
	v_addc_co_u32_e64 v66, s[0:1], 0, v66, s[0:1]
	;; [unrolled: 6-line block ×3, first 2 shown]
	v_mad_i64_i32 v[71:72], s[0:1], v39, 34, v[57:58]
	global_load_dword v74, v[59:60], off offset:2
	global_load_dword v82, v[61:62], off offset:2
	;; [unrolled: 1-line block ×3, first 2 shown]
	s_nop 0
	global_load_dword v65, v[65:66], off offset:2
	s_nop 0
	global_load_dword v66, v[67:68], off offset:2
	;; [unrolled: 2-line block ×3, first 2 shown]
	v_add_co_u32_e64 v59, s[0:1], v71, v24
	v_addc_co_u32_e64 v60, s[0:1], 0, v72, s[0:1]
	v_mad_u64_u32 v[61:62], s[0:1], v41, 34, s[4:5]
	v_mad_i64_i32 v[57:58], s[0:1], v40, 34, v[57:58]
	v_mad_i64_i32 v[63:64], s[0:1], v42, 34, v[61:62]
	v_add_co_u32_e64 v57, s[0:1], v57, v24
	v_addc_co_u32_e64 v58, s[0:1], 0, v58, s[0:1]
	v_mad_i64_i32 v[61:62], s[0:1], v43, 34, v[61:62]
	global_load_ushort v63, v[63:64], off
	s_nop 0
	global_load_dword v59, v[59:60], off offset:2
	s_nop 0
	global_load_dword v57, v[57:58], off offset:2
	s_nop 0
	global_load_ushort v58, v[61:62], off
	s_lshl_b32 s0, s10, 5
	s_cmp_ge_i32 s0, s9
	s_waitcnt vmcnt(17)
	ds_write_b32 v2, v75
	s_waitcnt vmcnt(16)
	ds_write_b32 v3, v76
	s_waitcnt vmcnt(15)
	ds_write_b32 v4, v77
	s_waitcnt vmcnt(14)
	ds_write_b32 v5, v78
	s_waitcnt vmcnt(13)
	ds_write_b32 v6, v79
	s_waitcnt vmcnt(12)
	ds_write_b32 v7, v80
	s_waitcnt vmcnt(11)
	ds_write_b32 v8, v81
	s_waitcnt vmcnt(10)
	ds_write_b32 v9, v73
	s_waitcnt vmcnt(9)
	ds_write_b32 v10, v74
	s_waitcnt vmcnt(8)
	ds_write_b32 v11, v82
	s_waitcnt vmcnt(7)
	ds_write_b32 v12, v83
	s_waitcnt vmcnt(6)
	ds_write_b32 v13, v65
	s_waitcnt vmcnt(5)
	ds_write_b32 v14, v66
	s_waitcnt vmcnt(4)
	ds_write_b32 v16, v67
	s_waitcnt vmcnt(2)
	ds_write_b32 v17, v59
	s_waitcnt vmcnt(1)
	ds_write_b32 v18, v57
	v_cvt_f32_f16_e32 v60, v63
	s_waitcnt vmcnt(0)
	v_cvt_f32_f16_e32 v57, v58
	ds_write_b32 v54, v60
	ds_write_b32 v55, v57
	s_cbranch_scc1 .LBB186_4
; %bb.6:                                ;   in Loop: Header=BB186_5 Depth=1
	v_add_u32_e32 v57, s10, v23
	v_cmp_gt_i32_e64 s[0:1], s12, v57
	s_and_b64 s[4:5], vcc, s[0:1]
	s_and_saveexec_b64 s[0:1], s[4:5]
	s_cbranch_execz .LBB186_8
; %bb.7:                                ;   in Loop: Header=BB186_5 Depth=1
	v_add_u32_e32 v57, v48, v57
	v_mad_i64_i32 v[57:58], s[4:5], v57, 36, v[19:20]
	global_load_dword v57, v[57:58], off offset:4
	s_waitcnt vmcnt(0)
	ds_write_b32 v47, v57
.LBB186_8:                              ;   in Loop: Header=BB186_5 Depth=1
	s_or_b64 exec, exec, s[0:1]
	v_or_b32_e32 v57, s10, v0
	v_cmp_gt_i32_e64 s[0:1], s12, v57
	s_and_b64 s[4:5], s[2:3], s[0:1]
	s_and_saveexec_b64 s[0:1], s[4:5]
	s_cbranch_execz .LBB186_10
; %bb.9:                                ;   in Loop: Header=BB186_5 Depth=1
	v_add_u32_e32 v57, v48, v57
	v_mad_i64_i32 v[57:58], s[4:5], v57, 36, s[6:7]
	global_load_dword v57, v[57:58], off
	s_waitcnt vmcnt(0)
	v_cvt_f32_f16_e32 v57, v57
	ds_write_b32 v56, v57
.LBB186_10:                             ;   in Loop: Header=BB186_5 Depth=1
	s_or_b64 exec, exec, s[0:1]
	s_mov_b32 s0, -8
	v_mov_b32_e32 v57, v46
	v_mov_b32_e32 v58, v53
	;; [unrolled: 1-line block ×7, first 2 shown]
	s_waitcnt lgkmcnt(0)
	s_barrier
.LBB186_11:                             ;   Parent Loop BB186_5 Depth=1
                                        ; =>  This Inner Loop Header: Depth=2
	ds_read_b32 v74, v58
	ds_read_b128 v[64:67], v57
	ds_read_b128 v[68:71], v57 offset:16
	ds_read_b32 v75, v59
	ds_read2_b32 v[72:73], v63 offset1:1
	s_add_i32 s0, s0, 8
	v_add_u32_e32 v59, 4, v59
	v_add_u32_e32 v58, 4, v58
	;; [unrolled: 1-line block ×3, first 2 shown]
	s_waitcnt lgkmcnt(0)
	v_dot4_i32_i8 v72, v72, v64, 0
	v_dot4_i32_i8 v76, v73, v65, v72
	ds_read2_b32 v[72:73], v63 offset0:2 offset1:3
	s_cmp_lt_u32 s0, 24
	s_waitcnt lgkmcnt(0)
	v_dot4_i32_i8 v72, v72, v66, v76
	v_dot4_i32_i8 v76, v73, v67, v72
	ds_read2_b32 v[72:73], v63 offset0:4 offset1:5
	s_waitcnt lgkmcnt(0)
	v_dot4_i32_i8 v72, v72, v68, v76
	v_dot4_i32_i8 v76, v73, v69, v72
	ds_read2_b32 v[72:73], v63 offset0:6 offset1:7
	s_waitcnt lgkmcnt(0)
	v_dot4_i32_i8 v72, v72, v70, v76
	v_dot4_i32_i8 v72, v73, v71, v72
	v_cvt_f32_i32_e32 v72, v72
	v_mul_f32_e32 v73, v74, v75
	v_fmac_f32_e32 v22, v73, v72
	v_add_u32_e32 v72, 0x1080, v63
	ds_read_b32 v75, v60
	ds_read2_b32 v[72:73], v72 offset1:1
	v_add_u32_e32 v60, 4, v60
	s_waitcnt lgkmcnt(0)
	v_dot4_i32_i8 v72, v72, v64, 0
	v_dot4_i32_i8 v76, v73, v65, v72
	v_add_u32_e32 v72, 0x1088, v63
	ds_read2_b32 v[72:73], v72 offset1:1
	s_waitcnt lgkmcnt(0)
	v_dot4_i32_i8 v72, v72, v66, v76
	v_dot4_i32_i8 v76, v73, v67, v72
	v_add_u32_e32 v72, 0x1090, v63
	ds_read2_b32 v[72:73], v72 offset1:1
	s_waitcnt lgkmcnt(0)
	v_dot4_i32_i8 v72, v72, v68, v76
	v_dot4_i32_i8 v76, v73, v69, v72
	v_add_u32_e32 v72, 0x1098, v63
	ds_read2_b32 v[72:73], v72 offset1:1
	s_waitcnt lgkmcnt(0)
	v_dot4_i32_i8 v72, v72, v70, v76
	v_dot4_i32_i8 v72, v73, v71, v72
	v_cvt_f32_i32_e32 v72, v72
	v_mul_f32_e32 v73, v74, v75
	v_fmac_f32_e32 v45, v73, v72
	v_add_u32_e32 v72, 0x2100, v63
	ds_read_b32 v75, v61
	ds_read2_b32 v[72:73], v72 offset1:1
	v_add_u32_e32 v61, 4, v61
	s_waitcnt lgkmcnt(0)
	v_dot4_i32_i8 v72, v72, v64, 0
	v_dot4_i32_i8 v76, v73, v65, v72
	v_add_u32_e32 v72, 0x2108, v63
	ds_read2_b32 v[72:73], v72 offset1:1
	s_waitcnt lgkmcnt(0)
	v_dot4_i32_i8 v72, v72, v66, v76
	v_dot4_i32_i8 v76, v73, v67, v72
	v_add_u32_e32 v72, 0x2110, v63
	ds_read2_b32 v[72:73], v72 offset1:1
	s_waitcnt lgkmcnt(0)
	v_dot4_i32_i8 v72, v72, v68, v76
	v_dot4_i32_i8 v76, v73, v69, v72
	v_add_u32_e32 v72, 0x2118, v63
	ds_read2_b32 v[72:73], v72 offset1:1
	;; [unrolled: 25-line block ×3, first 2 shown]
	v_add_u32_e32 v63, 32, v63
	s_waitcnt lgkmcnt(0)
	v_dot4_i32_i8 v64, v64, v70, v66
	v_dot4_i32_i8 v64, v65, v71, v64
	v_cvt_f32_i32_e32 v64, v64
	v_mul_f32_e32 v65, v74, v75
	v_fmac_f32_e32 v15, v65, v64
	s_cbranch_scc1 .LBB186_11
; %bb.12:                               ;   in Loop: Header=BB186_5 Depth=1
	s_barrier
	s_branch .LBB186_4
.LBB186_13:
	s_mul_i32 s0, s14, s11
	s_waitcnt vmcnt(0)
	v_cmp_gt_i32_e32 vcc, s0, v21
	s_and_saveexec_b64 s[0:1], vcc
	s_cbranch_execz .LBB186_22
; %bb.14:
	v_mul_lo_u32 v1, v21, s13
	v_add_u32_e32 v0, s15, v0
	v_cmp_gt_u32_e32 vcc, s13, v0
	s_and_saveexec_b64 s[0:1], vcc
	s_cbranch_execz .LBB186_16
; %bb.15:
	v_add_u32_e32 v2, v1, v0
	v_mov_b32_e32 v3, 0
	v_lshlrev_b64 v[2:3], 2, v[2:3]
	v_mov_b32_e32 v4, s17
	v_add_co_u32_e32 v2, vcc, s16, v2
	v_addc_co_u32_e32 v3, vcc, v4, v3, vcc
	global_store_dword v[2:3], v22, off
.LBB186_16:
	s_or_b64 exec, exec, s[0:1]
	v_add_u32_e32 v2, 32, v0
	v_cmp_gt_u32_e32 vcc, s13, v2
	s_and_saveexec_b64 s[0:1], vcc
	s_cbranch_execz .LBB186_18
; %bb.17:
	v_add_u32_e32 v2, v1, v2
	v_mov_b32_e32 v3, 0
	v_lshlrev_b64 v[2:3], 2, v[2:3]
	v_mov_b32_e32 v4, s17
	v_add_co_u32_e32 v2, vcc, s16, v2
	v_addc_co_u32_e32 v3, vcc, v4, v3, vcc
	global_store_dword v[2:3], v45, off
.LBB186_18:
	s_or_b64 exec, exec, s[0:1]
	;; [unrolled: 14-line block ×3, first 2 shown]
	v_add_u32_e32 v0, 0x60, v0
	v_cmp_gt_u32_e32 vcc, s13, v0
	s_and_b64 exec, exec, vcc
	s_cbranch_execz .LBB186_22
; %bb.21:
	v_add_u32_e32 v0, v1, v0
	v_mov_b32_e32 v1, 0
	v_lshlrev_b64 v[0:1], 2, v[0:1]
	v_mov_b32_e32 v2, s17
	v_add_co_u32_e32 v0, vcc, s16, v0
	v_addc_co_u32_e32 v1, vcc, v2, v1, vcc
	global_store_dword v[0:1], v15, off
.LBB186_22:
	s_endpgm
	.section	.rodata,"a",@progbits
	.p2align	6, 0x0
	.amdhsa_kernel _ZL8moe_q8_0IfLb1EEvPKvS1_PT_PKiS5_S5_iiiiiii
		.amdhsa_group_segment_fixed_size 20160
		.amdhsa_private_segment_fixed_size 0
		.amdhsa_kernarg_size 76
		.amdhsa_user_sgpr_count 6
		.amdhsa_user_sgpr_private_segment_buffer 1
		.amdhsa_user_sgpr_dispatch_ptr 0
		.amdhsa_user_sgpr_queue_ptr 0
		.amdhsa_user_sgpr_kernarg_segment_ptr 1
		.amdhsa_user_sgpr_dispatch_id 0
		.amdhsa_user_sgpr_flat_scratch_init 0
		.amdhsa_user_sgpr_private_segment_size 0
		.amdhsa_uses_dynamic_stack 0
		.amdhsa_system_sgpr_private_segment_wavefront_offset 0
		.amdhsa_system_sgpr_workgroup_id_x 1
		.amdhsa_system_sgpr_workgroup_id_y 1
		.amdhsa_system_sgpr_workgroup_id_z 0
		.amdhsa_system_sgpr_workgroup_info 0
		.amdhsa_system_vgpr_workitem_id 1
		.amdhsa_next_free_vgpr 84
		.amdhsa_next_free_sgpr 98
		.amdhsa_reserve_vcc 1
		.amdhsa_reserve_flat_scratch 0
		.amdhsa_float_round_mode_32 0
		.amdhsa_float_round_mode_16_64 0
		.amdhsa_float_denorm_mode_32 3
		.amdhsa_float_denorm_mode_16_64 3
		.amdhsa_dx10_clamp 1
		.amdhsa_ieee_mode 1
		.amdhsa_fp16_overflow 0
		.amdhsa_exception_fp_ieee_invalid_op 0
		.amdhsa_exception_fp_denorm_src 0
		.amdhsa_exception_fp_ieee_div_zero 0
		.amdhsa_exception_fp_ieee_overflow 0
		.amdhsa_exception_fp_ieee_underflow 0
		.amdhsa_exception_fp_ieee_inexact 0
		.amdhsa_exception_int_div_zero 0
	.end_amdhsa_kernel
	.section	.text._ZL8moe_q8_0IfLb1EEvPKvS1_PT_PKiS5_S5_iiiiiii,"axG",@progbits,_ZL8moe_q8_0IfLb1EEvPKvS1_PT_PKiS5_S5_iiiiiii,comdat
.Lfunc_end186:
	.size	_ZL8moe_q8_0IfLb1EEvPKvS1_PT_PKiS5_S5_iiiiiii, .Lfunc_end186-_ZL8moe_q8_0IfLb1EEvPKvS1_PT_PKiS5_S5_iiiiiii
                                        ; -- End function
	.set _ZL8moe_q8_0IfLb1EEvPKvS1_PT_PKiS5_S5_iiiiiii.num_vgpr, 84
	.set _ZL8moe_q8_0IfLb1EEvPKvS1_PT_PKiS5_S5_iiiiiii.num_agpr, 0
	.set _ZL8moe_q8_0IfLb1EEvPKvS1_PT_PKiS5_S5_iiiiiii.numbered_sgpr, 20
	.set _ZL8moe_q8_0IfLb1EEvPKvS1_PT_PKiS5_S5_iiiiiii.num_named_barrier, 0
	.set _ZL8moe_q8_0IfLb1EEvPKvS1_PT_PKiS5_S5_iiiiiii.private_seg_size, 0
	.set _ZL8moe_q8_0IfLb1EEvPKvS1_PT_PKiS5_S5_iiiiiii.uses_vcc, 1
	.set _ZL8moe_q8_0IfLb1EEvPKvS1_PT_PKiS5_S5_iiiiiii.uses_flat_scratch, 0
	.set _ZL8moe_q8_0IfLb1EEvPKvS1_PT_PKiS5_S5_iiiiiii.has_dyn_sized_stack, 0
	.set _ZL8moe_q8_0IfLb1EEvPKvS1_PT_PKiS5_S5_iiiiiii.has_recursion, 0
	.set _ZL8moe_q8_0IfLb1EEvPKvS1_PT_PKiS5_S5_iiiiiii.has_indirect_call, 0
	.section	.AMDGPU.csdata,"",@progbits
; Kernel info:
; codeLenInByte = 3128
; TotalNumSgprs: 24
; NumVgprs: 84
; ScratchSize: 0
; MemoryBound: 0
; FloatMode: 240
; IeeeMode: 1
; LDSByteSize: 20160 bytes/workgroup (compile time only)
; SGPRBlocks: 12
; VGPRBlocks: 20
; NumSGPRsForWavesPerEU: 102
; NumVGPRsForWavesPerEU: 84
; Occupancy: 3
; WaveLimiterHint : 1
; COMPUTE_PGM_RSRC2:SCRATCH_EN: 0
; COMPUTE_PGM_RSRC2:USER_SGPR: 6
; COMPUTE_PGM_RSRC2:TRAP_HANDLER: 0
; COMPUTE_PGM_RSRC2:TGID_X_EN: 1
; COMPUTE_PGM_RSRC2:TGID_Y_EN: 1
; COMPUTE_PGM_RSRC2:TGID_Z_EN: 0
; COMPUTE_PGM_RSRC2:TIDIG_COMP_CNT: 1
	.section	.text._ZL8moe_q2_KIfLb0EEvPKvS1_PT_PKiS5_S5_iiiiiii,"axG",@progbits,_ZL8moe_q2_KIfLb0EEvPKvS1_PT_PKiS5_S5_iiiiiii,comdat
	.globl	_ZL8moe_q2_KIfLb0EEvPKvS1_PT_PKiS5_S5_iiiiiii ; -- Begin function _ZL8moe_q2_KIfLb0EEvPKvS1_PT_PKiS5_S5_iiiiiii
	.p2align	8
	.type	_ZL8moe_q2_KIfLb0EEvPKvS1_PT_PKiS5_S5_iiiiiii,@function
_ZL8moe_q2_KIfLb0EEvPKvS1_PT_PKiS5_S5_iiiiiii: ; @_ZL8moe_q2_KIfLb0EEvPKvS1_PT_PKiS5_S5_iiiiiii
; %bb.0:
	s_load_dwordx4 s[0:3], s[4:5], 0x18
	s_mov_b32 s8, s7
	s_mov_b32 s9, 0
	s_lshl_b64 s[10:11], s[8:9], 2
	s_waitcnt lgkmcnt(0)
	s_add_u32 s2, s2, s10
	s_addc_u32 s3, s3, s11
	s_load_dword s2, s[2:3], 0x0
	s_waitcnt lgkmcnt(0)
	s_cmpk_gt_u32 s2, 0xff
	s_cbranch_scc1 .LBB187_46
; %bb.1:
	s_load_dwordx2 s[10:11], s[4:5], 0x28
	s_lshl_b32 s3, s8, 3
	s_waitcnt lgkmcnt(0)
	s_load_dword s7, s[10:11], 0x0
	s_waitcnt lgkmcnt(0)
	s_cmp_gt_u32 s3, s7
	s_cbranch_scc1 .LBB187_46
; %bb.2:
	v_add_u32_e32 v8, s3, v1
	v_mov_b32_e32 v9, 0
	v_lshlrev_b64 v[2:3], 2, v[8:9]
	v_mov_b32_e32 v4, s1
	v_add_co_u32_e32 v2, vcc, s0, v2
	v_addc_co_u32_e32 v3, vcc, v4, v3, vcc
	global_load_dword v12, v[2:3], off
	s_load_dwordx2 s[14:15], s[4:5], 0x30
	s_load_dwordx2 s[12:13], s[4:5], 0x10
	s_load_dwordx4 s[8:11], s[4:5], 0x3c
	s_lshl_b32 s18, s6, 7
	v_mov_b32_e32 v60, v9
	s_waitcnt lgkmcnt(0)
	s_cmpk_lt_i32 s15, 0x100
	v_mov_b32_e32 v63, v9
	v_mov_b32_e32 v13, v9
	s_cbranch_scc1 .LBB187_37
; %bb.3:
	s_ashr_i32 s0, s15, 31
	s_lshr_b32 s0, s0, 24
	s_load_dwordx4 s[4:7], s[4:5], 0x0
	s_add_i32 s0, s15, s0
	s_ashr_i32 s19, s0, 8
	s_ashr_i32 s0, s9, 31
	s_lshr_b32 s0, s0, 27
	s_add_i32 s0, s9, s0
	s_mul_i32 s2, s2, s14
	s_ashr_i32 s9, s0, 5
	s_ashr_i32 s0, s2, 31
	s_waitcnt lgkmcnt(0)
	s_add_u32 s1, s4, s2
	s_mul_i32 s2, s19, s18
	s_addc_u32 s0, s5, s0
	s_mul_hi_i32 s3, s2, 0x54
	s_mulk_i32 s2, 0x54
	s_add_u32 s20, s1, s2
	s_addc_u32 s21, s0, s3
	v_lshlrev_b32_e32 v2, 2, v0
	s_movk_i32 s0, 0x84
	v_mad_u32_u24 v17, v1, s0, v2
	s_lshl_b32 s0, s19, 3
	v_mov_b32_e32 v3, s0
	v_mad_i32_i24 v18, s19, v1, v3
	v_add_u32_e32 v20, s0, v18
	v_add_u32_e32 v22, s0, v20
	;; [unrolled: 1-line block ×11, first 2 shown]
	v_lshlrev_b32_e32 v3, 4, v1
	v_lshrrev_b32_e32 v4, 1, v0
	v_add_u32_e32 v42, s0, v40
	v_and_b32_e32 v48, 1, v0
	v_add_u32_e32 v4, v4, v3
	v_add_u32_e32 v44, s0, v42
	v_and_b32_e32 v5, 0x7f, v4
	v_lshlrev_b32_e32 v6, 2, v48
	v_lshrrev_b32_e32 v4, 2, v4
	v_add_u32_e32 v46, s0, v44
	v_mul_i32_i24_e32 v49, s19, v5
	v_lshl_or_b32 v5, v5, 3, v6
	v_and_b32_e32 v4, 28, v4
	s_movk_i32 s0, 0x5280
	v_lshrrev_b32_e32 v51, 3, v0
	v_mov_b32_e32 v58, 0x56a0
	s_abs_i32 s2, s11
	v_mul_i32_i24_e32 v16, s19, v1
	v_add3_u32 v50, v5, v4, s0
	v_lshl_add_u32 v4, v1, 2, v51
	v_lshl_add_u32 v58, v1, 7, v58
	v_cvt_f32_u32_e32 v1, s2
	s_lshl_b32 s1, s19, 5
	v_mov_b32_e32 v9, s1
	v_and_b32_e32 v5, 7, v0
	v_rcp_iflag_f32_e32 v1, v1
	v_mul_i32_i24_e32 v54, s19, v4
	v_and_b32_e32 v6, 0x7fc, v4
	v_lshlrev_b32_e32 v7, 5, v4
	v_mul_f32_e32 v1, 0x4f7ffffe, v1
	v_cvt_u32_f32_e32 v1, v1
	v_add_u32_e32 v8, 32, v4
	v_mad_i32_i24 v55, s19, v4, v9
	v_add_u32_e32 v10, 64, v4
	v_add_u32_e32 v4, 0x60, v4
	v_cmp_lt_u32_e32 vcc, 3, v5
	v_lshlrev_b32_e32 v5, 2, v5
	s_movk_i32 s0, 0x4200
	v_and_b32_e32 v9, 0xffc, v8
	v_and_b32_e32 v11, 0xffc, v10
	v_lshlrev_b32_e32 v63, 5, v10
	v_and_b32_e32 v10, 0xffc, v4
	v_add3_u32 v6, v6, v5, s0
	v_add3_u32 v9, v9, v5, s0
	;; [unrolled: 1-line block ×4, first 2 shown]
	v_and_b32_e32 v10, 31, v0
	s_sub_i32 s0, 0, s2
	v_lshl_add_u32 v59, v10, 2, v58
	v_mul_lo_u32 v10, s0, v1
	s_waitcnt vmcnt(0)
	v_sub_u32_e32 v64, 0, v12
	v_max_i32_e32 v67, v12, v64
	v_add_u32_e32 v56, s1, v55
	v_mul_hi_u32 v10, v1, v10
	v_add_u32_e32 v57, s1, v56
	v_xor_b32_e32 v68, s11, v12
	v_ashrrev_i32_e32 v68, 31, v68
	v_add_u32_e32 v1, v1, v10
	v_mul_hi_u32 v1, v67, v1
	v_and_b32_e32 v11, 28, v2
	v_add_u32_e32 v61, 0x5aa0, v3
	v_and_b32_e32 v15, 60, v2
	v_mul_lo_u32 v10, v1, s2
	v_and_b32_e32 v53, 12, v2
	v_add_u32_e32 v62, v61, v2
	v_mul_u32_u24_e32 v2, 33, v0
	v_sub_u32_e32 v10, v67, v10
	v_add_u32_e32 v67, 1, v1
	v_cmp_le_u32_e64 s[0:1], s2, v10
	v_cndmask_b32_e64 v1, v1, v67, s[0:1]
	v_subrev_u32_e32 v67, s2, v10
	v_cndmask_b32_e64 v10, v10, v67, s[0:1]
	v_add_u32_e32 v67, 1, v1
	v_cmp_le_u32_e64 s[0:1], s2, v10
	v_cndmask_b32_e64 v1, v1, v67, s[0:1]
	v_xor_b32_e32 v1, v1, v68
	v_sub_u32_e32 v1, v1, v68
	v_add_u32_e32 v70, 0x60, v0
	v_cmp_gt_i32_e64 s[0:1], s8, v1
	v_mul_lo_u32 v67, v1, s9
	v_mov_b32_e32 v1, s7
	v_add_co_u32_e64 v10, s[2:3], s6, v11
	v_addc_co_u32_e64 v11, s[2:3], 0, v1, s[2:3]
	v_lshlrev_b32_e32 v68, 2, v2
	v_lshlrev_b32_e32 v1, 5, v0
	v_and_b32_e32 v2, 0x1fc, v70
	v_add_u32_e32 v73, 32, v0
	v_lshlrev_b32_e32 v87, 1, v70
	v_lshrrev_b32_e32 v86, 4, v70
	v_lshrrev_b32_e32 v66, 3, v70
	v_add_u32_e32 v70, v1, v2
	v_and_b32_e32 v2, 0xfc, v0
	v_add_u32_e32 v74, 64, v0
	v_add_u32_e32 v71, v1, v2
	v_and_b32_e32 v2, 0x1fc, v73
	v_cndmask_b32_e64 v52, 0, 1, vcc
	v_lshlrev_b32_e32 v8, 5, v8
	v_lshlrev_b32_e32 v4, 5, v4
	v_cmp_gt_u32_e32 vcc, 4, v0
	v_lshlrev_b32_e32 v3, 1, v0
	v_lshlrev_b32_e32 v83, 1, v73
	v_lshrrev_b32_e32 v82, 4, v73
	v_lshlrev_b32_e32 v85, 1, v74
	v_lshrrev_b32_e32 v84, 4, v74
	v_lshrrev_b32_e32 v64, 3, v73
	v_add_u32_e32 v73, v1, v2
	v_and_b32_e32 v2, 0x1fc, v74
	s_movk_i32 s14, 0x54
	v_lshrrev_b32_e32 v14, 4, v0
	s_mov_b32 s22, 0
	v_mov_b32_e32 v13, 0
	v_add_u32_e32 v19, 0x420, v17
	v_add_u32_e32 v21, 0x840, v17
	;; [unrolled: 1-line block ×15, first 2 shown]
	v_lshrrev_b32_e32 v65, 3, v74
	s_and_b64 s[4:5], vcc, s[0:1]
	v_ashrrev_i32_e32 v69, 31, v67
	v_add_u32_e32 v72, 0x4200, v71
	v_add_u32_e32 v74, v1, v2
	;; [unrolled: 1-line block ×6, first 2 shown]
	s_mov_b32 s23, 0x1010101
	v_lshlrev_b32_e32 v79, 2, v3
	v_mov_b32_e32 v80, 4
	v_mov_b32_e32 v81, 15
	v_lshlrev_b32_e32 v82, 2, v82
	v_lshlrev_b32_e32 v83, 2, v83
	;; [unrolled: 1-line block ×6, first 2 shown]
	v_mov_b32_e32 v63, 0
	v_mov_b32_e32 v60, 0
	;; [unrolled: 1-line block ×3, first 2 shown]
	s_branch .LBB187_5
.LBB187_4:                              ;   in Loop: Header=BB187_5 Depth=1
	s_add_i32 s22, s22, 2
	s_cmp_ge_i32 s22, s19
	s_cbranch_scc1 .LBB187_37
.LBB187_5:                              ; =>This Loop Header: Depth=1
                                        ;     Child Loop BB187_11 Depth 2
                                        ;     Child Loop BB187_19 Depth 2
	;; [unrolled: 1-line block ×4, first 2 shown]
	s_mul_i32 s2, s22, 0x54
	s_mul_hi_u32 s3, s22, 0x54
	s_add_u32 s2, s20, s2
	s_addc_u32 s3, s21, s3
	v_mov_b32_e32 v1, s2
	v_mov_b32_e32 v2, s3
	v_mad_u64_u32 v[3:4], s[2:3], v14, s14, v[1:2]
	s_lshl_b32 s24, s22, 8
	s_cmp_lt_i32 s24, s15
	v_mad_u64_u32 v[5:6], s[2:3], v16, s14, v[3:4]
	v_mad_u64_u32 v[7:8], s[2:3], v18, s14, v[3:4]
	v_add_co_u32_e64 v5, s[2:3], v5, v15
	v_addc_co_u32_e64 v6, s[2:3], 0, v6, s[2:3]
	v_add_co_u32_e64 v7, s[2:3], v7, v15
	v_addc_co_u32_e64 v8, s[2:3], 0, v8, s[2:3]
	v_mad_u64_u32 v[88:89], s[2:3], v20, s14, v[3:4]
	v_mad_u64_u32 v[90:91], s[2:3], v22, s14, v[3:4]
	v_add_co_u32_e64 v88, s[2:3], v88, v15
	v_addc_co_u32_e64 v89, s[2:3], 0, v89, s[2:3]
	v_add_co_u32_e64 v90, s[2:3], v90, v15
	v_addc_co_u32_e64 v91, s[2:3], 0, v91, s[2:3]
	;; [unrolled: 6-line block ×4, first 2 shown]
	global_load_dword v100, v[5:6], off offset:16
	global_load_dword v101, v[7:8], off offset:16
	;; [unrolled: 1-line block ×7, first 2 shown]
	s_nop 0
	global_load_dword v98, v[98:99], off offset:16
	v_mad_u64_u32 v[5:6], s[2:3], v32, s14, v[3:4]
	v_mad_u64_u32 v[7:8], s[2:3], v34, s14, v[3:4]
	v_add_co_u32_e64 v5, s[2:3], v5, v15
	v_addc_co_u32_e64 v6, s[2:3], 0, v6, s[2:3]
	v_add_co_u32_e64 v7, s[2:3], v7, v15
	v_addc_co_u32_e64 v8, s[2:3], 0, v8, s[2:3]
	v_mad_u64_u32 v[88:89], s[2:3], v36, s14, v[3:4]
	v_mad_u64_u32 v[90:91], s[2:3], v38, s14, v[3:4]
	v_add_co_u32_e64 v88, s[2:3], v88, v15
	v_addc_co_u32_e64 v89, s[2:3], 0, v89, s[2:3]
	v_add_co_u32_e64 v90, s[2:3], v90, v15
	v_addc_co_u32_e64 v91, s[2:3], 0, v91, s[2:3]
	;; [unrolled: 6-line block ×4, first 2 shown]
	global_load_dword v99, v[5:6], off offset:16
	global_load_dword v107, v[7:8], off offset:16
	;; [unrolled: 1-line block ×3, first 2 shown]
	s_nop 0
	global_load_dword v90, v[90:91], off offset:16
	s_nop 0
	global_load_dword v91, v[92:93], off offset:16
	;; [unrolled: 2-line block ×3, first 2 shown]
	global_load_dword v93, v[96:97], off offset:16
	s_nop 0
	global_load_dword v94, v[3:4], off offset:16
	v_mad_u64_u32 v[3:4], s[2:3], v49, s14, v[1:2]
	v_mad_u64_u32 v[1:2], s[2:3], v52, s14, v[1:2]
	;; [unrolled: 1-line block ×3, first 2 shown]
	v_add_co_u32_e64 v1, s[2:3], v1, v53
	v_addc_co_u32_e64 v2, s[2:3], 0, v2, s[2:3]
	v_mad_u64_u32 v[5:6], s[2:3], v54, s14, v[1:2]
	v_mad_u64_u32 v[7:8], s[2:3], v55, s14, v[1:2]
	;; [unrolled: 1-line block ×4, first 2 shown]
	global_load_dword v3, v[3:4], off offset:80
	s_nop 0
	global_load_dword v4, v[5:6], off
	s_nop 0
	global_load_dword v5, v[7:8], off
	global_load_dword v6, v[88:89], off
	s_nop 0
	global_load_dword v1, v[1:2], off
	s_waitcnt vmcnt(20)
	ds_write_b32 v17, v100
	s_waitcnt vmcnt(19)
	ds_write_b32 v19, v101
	;; [unrolled: 2-line block ×21, first 2 shown]
	s_cbranch_scc0 .LBB187_4
; %bb.6:                                ;   in Loop: Header=BB187_5 Depth=1
	s_lshl_b32 s25, s22, 3
	v_add_u32_e32 v1, s25, v51
	v_cmp_gt_i32_e64 s[2:3], s9, v1
	s_and_b64 s[16:17], s[0:1], s[2:3]
	s_and_saveexec_b64 s[2:3], s[16:17]
	s_cbranch_execz .LBB187_8
; %bb.7:                                ;   in Loop: Header=BB187_5 Depth=1
	v_add_u32_e32 v1, v67, v1
	v_mad_i64_i32 v[1:2], s[16:17], v1, 36, v[10:11]
	global_load_dword v1, v[1:2], off offset:4
	s_waitcnt vmcnt(0)
	ds_write_b32 v59, v1
.LBB187_8:                              ;   in Loop: Header=BB187_5 Depth=1
	s_or_b64 exec, exec, s[2:3]
	v_add_u32_e32 v89, s25, v0
	v_cmp_gt_i32_e64 s[2:3], s9, v89
	s_and_b64 s[16:17], s[4:5], s[2:3]
	s_and_saveexec_b64 s[2:3], s[16:17]
	s_cbranch_execz .LBB187_10
; %bb.9:                                ;   in Loop: Header=BB187_5 Depth=1
	v_add_u32_e32 v1, v67, v89
	v_mad_i64_i32 v[1:2], s[16:17], v1, 36, s[6:7]
	global_load_dword v1, v[1:2], off
	s_waitcnt vmcnt(0)
	v_cvt_f32_f16_e32 v1, v1
	ds_write_b32 v62, v1
.LBB187_10:                             ;   in Loop: Header=BB187_5 Depth=1
	s_or_b64 exec, exec, s[2:3]
	s_mov_b32 s2, 0
	v_mov_b32_e32 v90, v61
	v_mov_b32_e32 v91, v58
	s_waitcnt lgkmcnt(0)
	s_barrier
.LBB187_11:                             ;   Parent Loop BB187_5 Depth=1
                                        ; =>  This Inner Loop Header: Depth=2
	s_and_b32 s16, s2, 0x3ffffff8
	v_lshl_add_u32 v93, s16, 2, v68
	ds_read_b32 v92, v90
	ds_read_b128 v[5:8], v91
	ds_read_b128 v[1:4], v91 offset:16
	ds_read2_b32 v[94:95], v93 offset1:1
	s_lshr_b32 s16, s2, 2
	s_and_b32 s16, s16, 0x3ffffffc
	s_and_b32 s3, s2, -16
	s_addk_i32 s16, 0x5280
	s_waitcnt lgkmcnt(0)
	v_ashrrev_i32_e32 v88, s2, v94
	v_and_b32_e32 v96, 0x3030303, v88
	v_ashrrev_i32_e32 v88, s2, v95
	ds_read2_b32 v[94:95], v93 offset0:2 offset1:3
	v_and_b32_e32 v97, 0x3030303, v88
	s_add_i32 s3, s2, s3
	v_dot4_i32_i8 v96, v96, v5, 0
	v_dot4_i32_i8 v96, v97, v6, v96
	s_waitcnt lgkmcnt(0)
	v_ashrrev_i32_e32 v88, s2, v94
	v_and_b32_e32 v98, 0x3030303, v88
	v_ashrrev_i32_e32 v88, s2, v95
	ds_read2_b32 v[94:95], v93 offset0:4 offset1:5
	v_and_b32_e32 v99, 0x3030303, v88
	v_dot4_i32_i8 v96, v98, v7, v96
	v_dot4_i32_i8 v96, v99, v8, v96
	v_add_u32_e32 v91, 32, v91
	s_waitcnt lgkmcnt(0)
	v_ashrrev_i32_e32 v88, s2, v94
	v_and_b32_e32 v100, 0x3030303, v88
	v_ashrrev_i32_e32 v88, s2, v95
	ds_read2_b32 v[94:95], v93 offset0:6 offset1:7
	v_and_b32_e32 v101, 0x3030303, v88
	v_dot4_i32_i8 v98, v100, v1, 0
	v_dot4_i32_i8 v98, v101, v2, v98
	v_add_u32_e32 v90, 4, v90
	s_waitcnt lgkmcnt(0)
	v_ashrrev_i32_e32 v88, s2, v94
	v_and_b32_e32 v102, 0x3030303, v88
	v_ashrrev_i32_e32 v88, s2, v95
	v_and_b32_e32 v95, 0x3030303, v88
	v_lshlrev_b32_e32 v88, 2, v14
	v_add3_u32 v103, s16, v88, v79
	v_add_u32_e32 v94, s3, v72
	ds_read_b32 v103, v103
	ds_read_u16 v104, v94
	v_dot4_i32_i8 v98, v102, v3, v98
	v_dot4_i32_i8 v95, v95, v4, v98
	s_waitcnt lgkmcnt(0)
	v_bfe_u32 v94, v104, 4, 4
	v_mul_lo_u32 v94, v94, s23
	v_dot4_i32_i8 v105, v94, v5, 0
	v_dot4_i32_i8 v97, v94, v6, v105
	;; [unrolled: 1-line block ×4, first 2 shown]
	v_and_b32_e32 v94, 15, v104
	v_mul_lo_u32 v94, v94, v96
	v_lshrrev_b32_sdwa v96, v80, v104 dst_sel:DWORD dst_unused:UNUSED_PAD src0_sel:DWORD src1_sel:BYTE_1
	v_mul_lo_u32 v96, v96, s23
	v_dot4_i32_i8 v97, v96, v1, v97
	v_dot4_i32_i8 v97, v96, v2, v97
	;; [unrolled: 1-line block ×4, first 2 shown]
	v_and_b32_sdwa v97, v104, v81 dst_sel:DWORD dst_unused:UNUSED_PAD src0_sel:BYTE_1 src1_sel:DWORD
	v_mad_u64_u32 v[94:95], s[26:27], v97, v95, v[94:95]
	v_cvt_f32_f16_sdwa v95, v103 dst_sel:DWORD dst_unused:UNUSED_PAD src0_sel:WORD_1
	v_cvt_f32_i32_e32 v96, v96
	v_cvt_f32_i32_e32 v94, v94
	v_mul_f32_e32 v95, v95, v96
	v_fma_mix_f32 v94, v103, v94, -v95 op_sel_hi:[1,0,0]
	v_fmac_f32_e32 v13, v92, v94
	v_add_u32_e32 v94, 0x1080, v93
	ds_read2_b32 v[94:95], v94 offset1:1
	v_add3_u32 v103, s16, v82, v83
	s_waitcnt lgkmcnt(0)
	v_ashrrev_i32_e32 v94, s2, v94
	v_and_b32_e32 v96, 0x3030303, v94
	v_ashrrev_i32_e32 v94, s2, v95
	v_and_b32_e32 v97, 0x3030303, v94
	v_add_u32_e32 v94, 0x1088, v93
	ds_read2_b32 v[94:95], v94 offset1:1
	v_dot4_i32_i8 v96, v96, v5, 0
	v_dot4_i32_i8 v96, v97, v6, v96
	s_waitcnt lgkmcnt(0)
	v_ashrrev_i32_e32 v94, s2, v94
	v_and_b32_e32 v98, 0x3030303, v94
	v_ashrrev_i32_e32 v94, s2, v95
	v_and_b32_e32 v99, 0x3030303, v94
	v_add_u32_e32 v94, 0x1090, v93
	ds_read2_b32 v[94:95], v94 offset1:1
	v_dot4_i32_i8 v96, v98, v7, v96
	v_dot4_i32_i8 v96, v99, v8, v96
	;; [unrolled: 9-line block ×3, first 2 shown]
	s_waitcnt lgkmcnt(0)
	v_ashrrev_i32_e32 v94, s2, v94
	v_and_b32_e32 v102, 0x3030303, v94
	v_ashrrev_i32_e32 v94, s2, v95
	v_and_b32_e32 v95, 0x3030303, v94
	v_add_u32_e32 v94, s3, v73
	ds_read_b32 v103, v103
	ds_read_u16 v104, v94 offset:17920
	v_dot4_i32_i8 v98, v102, v3, v98
	v_dot4_i32_i8 v95, v95, v4, v98
	s_waitcnt lgkmcnt(0)
	v_bfe_u32 v94, v104, 4, 4
	v_mul_lo_u32 v94, v94, s23
	v_dot4_i32_i8 v105, v94, v5, 0
	v_dot4_i32_i8 v97, v94, v6, v105
	;; [unrolled: 1-line block ×4, first 2 shown]
	v_and_b32_e32 v94, 15, v104
	v_mul_lo_u32 v94, v94, v96
	v_lshrrev_b32_sdwa v96, v80, v104 dst_sel:DWORD dst_unused:UNUSED_PAD src0_sel:DWORD src1_sel:BYTE_1
	v_mul_lo_u32 v96, v96, s23
	v_dot4_i32_i8 v97, v96, v1, v97
	v_dot4_i32_i8 v97, v96, v2, v97
	;; [unrolled: 1-line block ×4, first 2 shown]
	v_and_b32_sdwa v97, v104, v81 dst_sel:DWORD dst_unused:UNUSED_PAD src0_sel:BYTE_1 src1_sel:DWORD
	v_mad_u64_u32 v[94:95], s[26:27], v97, v95, v[94:95]
	v_cvt_f32_f16_sdwa v95, v103 dst_sel:DWORD dst_unused:UNUSED_PAD src0_sel:WORD_1
	v_cvt_f32_i32_e32 v96, v96
	v_cvt_f32_i32_e32 v94, v94
	v_mul_f32_e32 v95, v95, v96
	v_fma_mix_f32 v94, v103, v94, -v95 op_sel_hi:[1,0,0]
	v_fmac_f32_e32 v63, v92, v94
	v_add_u32_e32 v94, 0x2100, v93
	ds_read2_b32 v[94:95], v94 offset1:1
	v_add3_u32 v103, s16, v84, v85
	s_waitcnt lgkmcnt(0)
	v_ashrrev_i32_e32 v94, s2, v94
	v_and_b32_e32 v96, 0x3030303, v94
	v_ashrrev_i32_e32 v94, s2, v95
	v_and_b32_e32 v97, 0x3030303, v94
	v_add_u32_e32 v94, 0x2108, v93
	ds_read2_b32 v[94:95], v94 offset1:1
	v_dot4_i32_i8 v96, v96, v5, 0
	v_dot4_i32_i8 v96, v97, v6, v96
	s_waitcnt lgkmcnt(0)
	v_ashrrev_i32_e32 v94, s2, v94
	v_and_b32_e32 v98, 0x3030303, v94
	v_ashrrev_i32_e32 v94, s2, v95
	v_and_b32_e32 v99, 0x3030303, v94
	v_add_u32_e32 v94, 0x2110, v93
	ds_read2_b32 v[94:95], v94 offset1:1
	v_dot4_i32_i8 v96, v98, v7, v96
	v_dot4_i32_i8 v96, v99, v8, v96
	;; [unrolled: 9-line block ×3, first 2 shown]
	v_add_u32_e32 v101, s3, v70
	s_waitcnt lgkmcnt(0)
	v_ashrrev_i32_e32 v94, s2, v94
	v_and_b32_e32 v102, 0x3030303, v94
	v_ashrrev_i32_e32 v94, s2, v95
	v_and_b32_e32 v95, 0x3030303, v94
	v_add_u32_e32 v94, s3, v74
	ds_read_b32 v103, v103
	ds_read_u16 v104, v94 offset:18944
	v_dot4_i32_i8 v98, v102, v3, v98
	v_dot4_i32_i8 v95, v95, v4, v98
	v_add3_u32 v102, s16, v86, v87
	s_add_i32 s3, s2, 2
	s_waitcnt lgkmcnt(0)
	v_bfe_u32 v94, v104, 4, 4
	v_mul_lo_u32 v94, v94, s23
	s_cmp_lt_u32 s2, 6
	v_dot4_i32_i8 v105, v94, v5, 0
	v_dot4_i32_i8 v97, v94, v6, v105
	;; [unrolled: 1-line block ×4, first 2 shown]
	v_and_b32_e32 v94, 15, v104
	v_mul_lo_u32 v94, v94, v96
	v_lshrrev_b32_sdwa v96, v80, v104 dst_sel:DWORD dst_unused:UNUSED_PAD src0_sel:DWORD src1_sel:BYTE_1
	v_mul_lo_u32 v96, v96, s23
	v_dot4_i32_i8 v97, v96, v1, v97
	v_dot4_i32_i8 v97, v96, v2, v97
	v_dot4_i32_i8 v97, v96, v3, v97
	v_dot4_i32_i8 v96, v96, v4, v97
	v_and_b32_sdwa v97, v104, v81 dst_sel:DWORD dst_unused:UNUSED_PAD src0_sel:BYTE_1 src1_sel:DWORD
	v_mad_u64_u32 v[94:95], s[26:27], v97, v95, v[94:95]
	v_cvt_f32_f16_sdwa v95, v103 dst_sel:DWORD dst_unused:UNUSED_PAD src0_sel:WORD_1
	v_cvt_f32_i32_e32 v96, v96
	v_cvt_f32_i32_e32 v94, v94
	v_mul_f32_e32 v95, v95, v96
	v_fma_mix_f32 v94, v103, v94, -v95 op_sel_hi:[1,0,0]
	v_fmac_f32_e32 v60, v92, v94
	v_add_u32_e32 v94, 0x3180, v93
	ds_read2_b32 v[94:95], v94 offset1:1
	s_waitcnt lgkmcnt(0)
	v_ashrrev_i32_e32 v94, s2, v94
	v_and_b32_e32 v96, 0x3030303, v94
	v_ashrrev_i32_e32 v94, s2, v95
	v_and_b32_e32 v97, 0x3030303, v94
	v_add_u32_e32 v94, 0x3188, v93
	ds_read2_b32 v[94:95], v94 offset1:1
	v_dot4_i32_i8 v96, v96, v5, 0
	v_dot4_i32_i8 v96, v97, v6, v96
	s_waitcnt lgkmcnt(0)
	v_ashrrev_i32_e32 v94, s2, v94
	v_and_b32_e32 v98, 0x3030303, v94
	v_ashrrev_i32_e32 v94, s2, v95
	v_and_b32_e32 v99, 0x3030303, v94
	v_add_u32_e32 v94, 0x3190, v93
	ds_read2_b32 v[94:95], v94 offset1:1
	v_add_u32_e32 v93, 0x3198, v93
	s_waitcnt lgkmcnt(0)
	v_ashrrev_i32_e32 v94, s2, v94
	v_and_b32_e32 v100, 0x3030303, v94
	v_ashrrev_i32_e32 v94, s2, v95
	v_and_b32_e32 v95, 0x3030303, v94
	ds_read2_b32 v[93:94], v93 offset1:1
	ds_read_b32 v102, v102
	ds_read_u16 v101, v101 offset:19968
	s_waitcnt lgkmcnt(2)
	v_ashrrev_i32_e32 v93, s2, v93
	s_waitcnt lgkmcnt(0)
	v_bfe_u32 v103, v101, 4, 4
	v_mul_lo_u32 v103, v103, s23
	v_and_b32_e32 v93, 0x3030303, v93
	v_ashrrev_i32_e32 v94, s2, v94
	v_and_b32_e32 v94, 0x3030303, v94
	v_dot4_i32_i8 v5, v103, v5, 0
	v_dot4_i32_i8 v5, v103, v6, v5
	;; [unrolled: 1-line block ×6, first 2 shown]
	v_and_b32_e32 v5, 15, v101
	v_mul_lo_u32 v5, v5, v6
	v_lshrrev_b32_sdwa v6, v80, v101 dst_sel:DWORD dst_unused:UNUSED_PAD src0_sel:DWORD src1_sel:BYTE_1
	v_mul_lo_u32 v6, v6, s23
	v_dot4_i32_i8 v8, v100, v1, 0
	s_mov_b32 s2, s3
	v_dot4_i32_i8 v1, v6, v1, v7
	v_dot4_i32_i8 v7, v95, v2, v8
	v_dot4_i32_i8 v1, v6, v2, v1
	v_dot4_i32_i8 v2, v93, v3, v7
	v_dot4_i32_i8 v1, v6, v3, v1
	v_dot4_i32_i8 v2, v94, v4, v2
	v_dot4_i32_i8 v3, v6, v4, v1
	v_and_b32_sdwa v1, v101, v81 dst_sel:DWORD dst_unused:UNUSED_PAD src0_sel:BYTE_1 src1_sel:DWORD
	v_mad_u64_u32 v[1:2], s[16:17], v1, v2, v[5:6]
	v_cvt_f32_f16_sdwa v2, v102 dst_sel:DWORD dst_unused:UNUSED_PAD src0_sel:WORD_1
	v_cvt_f32_i32_e32 v3, v3
	v_cvt_f32_i32_e32 v1, v1
	v_mul_f32_e32 v2, v2, v3
	v_fma_mix_f32 v1, v102, v1, -v2 op_sel_hi:[1,0,0]
	v_fmac_f32_e32 v9, v92, v1
	s_cbranch_scc1 .LBB187_11
; %bb.12:                               ;   in Loop: Header=BB187_5 Depth=1
	s_or_b32 s2, s24, 0x80
	s_cmp_ge_i32 s2, s15
	s_barrier
	s_cbranch_scc1 .LBB187_4
; %bb.13:                               ;   in Loop: Header=BB187_5 Depth=1
	v_add_u32_e32 v1, s25, v64
	v_cmp_gt_i32_e64 s[2:3], s9, v1
	s_and_b64 s[16:17], s[0:1], s[2:3]
	s_and_saveexec_b64 s[2:3], s[16:17]
	s_cbranch_execz .LBB187_15
; %bb.14:                               ;   in Loop: Header=BB187_5 Depth=1
	v_add_u32_e32 v1, v67, v1
	v_mad_i64_i32 v[1:2], s[16:17], v1, 36, v[10:11]
	global_load_dword v1, v[1:2], off offset:4
	s_waitcnt vmcnt(0)
	ds_write_b32 v59, v1
.LBB187_15:                             ;   in Loop: Header=BB187_5 Depth=1
	s_or_b64 exec, exec, s[2:3]
	s_and_saveexec_b64 s[16:17], vcc
	s_cbranch_execz .LBB187_18
; %bb.16:                               ;   in Loop: Header=BB187_5 Depth=1
	v_or_b32_e32 v1, 4, v89
	v_cmp_gt_i32_e64 s[2:3], s9, v1
	s_and_b64 s[2:3], s[0:1], s[2:3]
	s_and_b64 exec, exec, s[2:3]
	s_cbranch_execz .LBB187_18
; %bb.17:                               ;   in Loop: Header=BB187_5 Depth=1
	v_ashrrev_i32_e32 v1, 31, v89
	v_add_co_u32_e64 v2, s[2:3], v67, v89
	v_addc_co_u32_e64 v3, s[2:3], v69, v1, s[2:3]
	v_mad_u64_u32 v[1:2], s[2:3], v2, 36, s[6:7]
	v_mad_i32_i24 v2, v3, 36, v2
	global_load_dword v1, v[1:2], off offset:144
	s_waitcnt vmcnt(0)
	v_cvt_f32_f16_e32 v1, v1
	ds_write_b32 v62, v1
.LBB187_18:                             ;   in Loop: Header=BB187_5 Depth=1
	s_or_b64 exec, exec, s[16:17]
	s_mov_b32 s2, 8
	v_mov_b32_e32 v90, v58
	v_mov_b32_e32 v91, v61
	s_waitcnt lgkmcnt(0)
	s_barrier
.LBB187_19:                             ;   Parent Loop BB187_5 Depth=1
                                        ; =>  This Inner Loop Header: Depth=2
	s_and_b32 s17, s2, 0x3ffffff8
	v_lshl_add_u32 v93, s17, 2, v68
	ds_read_b32 v92, v91
	ds_read_b128 v[5:8], v90
	ds_read_b128 v[1:4], v90 offset:16
	ds_read2_b32 v[94:95], v93 offset1:1
	s_add_i32 s3, s2, -8
	s_lshr_b32 s17, s2, 2
	s_and_b32 s17, s17, 0x3ffffffc
	s_and_b32 s16, s2, -16
	s_waitcnt lgkmcnt(0)
	v_ashrrev_i32_e32 v94, s3, v94
	v_and_b32_e32 v96, 0x3030303, v94
	v_ashrrev_i32_e32 v94, s3, v95
	v_and_b32_e32 v97, 0x3030303, v94
	ds_read2_b32 v[94:95], v93 offset0:2 offset1:3
	s_addk_i32 s17, 0x5280
	s_add_i32 s16, s2, s16
	v_add3_u32 v103, s17, v88, v79
	v_dot4_i32_i8 v96, v96, v5, 0
	s_waitcnt lgkmcnt(0)
	v_ashrrev_i32_e32 v94, s3, v94
	v_and_b32_e32 v98, 0x3030303, v94
	v_ashrrev_i32_e32 v94, s3, v95
	v_and_b32_e32 v99, 0x3030303, v94
	ds_read2_b32 v[94:95], v93 offset0:4 offset1:5
	v_dot4_i32_i8 v96, v97, v6, v96
	v_dot4_i32_i8 v96, v98, v7, v96
	;; [unrolled: 1-line block ×3, first 2 shown]
	v_add_u32_e32 v91, 4, v91
	s_waitcnt lgkmcnt(0)
	v_ashrrev_i32_e32 v94, s3, v94
	v_and_b32_e32 v100, 0x3030303, v94
	v_ashrrev_i32_e32 v94, s3, v95
	v_and_b32_e32 v101, 0x3030303, v94
	ds_read2_b32 v[94:95], v93 offset0:6 offset1:7
	v_dot4_i32_i8 v98, v100, v1, 0
	v_dot4_i32_i8 v98, v101, v2, v98
	v_add_u32_e32 v90, 32, v90
	s_waitcnt lgkmcnt(0)
	v_ashrrev_i32_e32 v94, s3, v94
	v_and_b32_e32 v102, 0x3030303, v94
	v_ashrrev_i32_e32 v94, s3, v95
	v_and_b32_e32 v95, 0x3030303, v94
	v_add_u32_e32 v94, s16, v71
	ds_read_b32 v103, v103
	ds_read_u16 v104, v94 offset:16896
	v_dot4_i32_i8 v98, v102, v3, v98
	v_dot4_i32_i8 v95, v95, v4, v98
	s_waitcnt lgkmcnt(0)
	v_bfe_u32 v94, v104, 4, 4
	v_mul_lo_u32 v94, v94, s23
	v_dot4_i32_i8 v105, v94, v5, 0
	v_dot4_i32_i8 v97, v94, v6, v105
	v_dot4_i32_i8 v97, v94, v7, v97
	v_dot4_i32_i8 v97, v94, v8, v97
	v_and_b32_e32 v94, 15, v104
	v_mul_lo_u32 v94, v94, v96
	v_lshrrev_b32_sdwa v96, v80, v104 dst_sel:DWORD dst_unused:UNUSED_PAD src0_sel:DWORD src1_sel:BYTE_1
	v_mul_lo_u32 v96, v96, s23
	v_dot4_i32_i8 v97, v96, v1, v97
	v_dot4_i32_i8 v97, v96, v2, v97
	;; [unrolled: 1-line block ×4, first 2 shown]
	v_and_b32_sdwa v97, v104, v81 dst_sel:DWORD dst_unused:UNUSED_PAD src0_sel:BYTE_1 src1_sel:DWORD
	v_mad_u64_u32 v[94:95], s[26:27], v97, v95, v[94:95]
	v_cvt_f32_f16_sdwa v95, v103 dst_sel:DWORD dst_unused:UNUSED_PAD src0_sel:WORD_1
	v_cvt_f32_i32_e32 v96, v96
	v_cvt_f32_i32_e32 v94, v94
	v_mul_f32_e32 v95, v95, v96
	v_fma_mix_f32 v94, v103, v94, -v95 op_sel_hi:[1,0,0]
	v_fmac_f32_e32 v13, v92, v94
	v_add_u32_e32 v94, 0x1080, v93
	ds_read2_b32 v[94:95], v94 offset1:1
	v_add3_u32 v103, s17, v82, v83
	s_waitcnt lgkmcnt(0)
	v_ashrrev_i32_e32 v94, s3, v94
	v_and_b32_e32 v96, 0x3030303, v94
	v_ashrrev_i32_e32 v94, s3, v95
	v_and_b32_e32 v97, 0x3030303, v94
	v_add_u32_e32 v94, 0x1088, v93
	ds_read2_b32 v[94:95], v94 offset1:1
	v_dot4_i32_i8 v96, v96, v5, 0
	v_dot4_i32_i8 v96, v97, v6, v96
	s_waitcnt lgkmcnt(0)
	v_ashrrev_i32_e32 v94, s3, v94
	v_and_b32_e32 v98, 0x3030303, v94
	v_ashrrev_i32_e32 v94, s3, v95
	v_and_b32_e32 v99, 0x3030303, v94
	v_add_u32_e32 v94, 0x1090, v93
	ds_read2_b32 v[94:95], v94 offset1:1
	v_dot4_i32_i8 v96, v98, v7, v96
	v_dot4_i32_i8 v96, v99, v8, v96
	;; [unrolled: 9-line block ×3, first 2 shown]
	s_waitcnt lgkmcnt(0)
	v_ashrrev_i32_e32 v94, s3, v94
	v_and_b32_e32 v102, 0x3030303, v94
	v_ashrrev_i32_e32 v94, s3, v95
	v_and_b32_e32 v95, 0x3030303, v94
	v_add_u32_e32 v94, s16, v73
	ds_read_b32 v103, v103
	ds_read_u16 v104, v94 offset:17920
	v_dot4_i32_i8 v98, v102, v3, v98
	v_dot4_i32_i8 v95, v95, v4, v98
	s_waitcnt lgkmcnt(0)
	v_bfe_u32 v94, v104, 4, 4
	v_mul_lo_u32 v94, v94, s23
	v_dot4_i32_i8 v105, v94, v5, 0
	v_dot4_i32_i8 v97, v94, v6, v105
	;; [unrolled: 1-line block ×4, first 2 shown]
	v_and_b32_e32 v94, 15, v104
	v_mul_lo_u32 v94, v94, v96
	v_lshrrev_b32_sdwa v96, v80, v104 dst_sel:DWORD dst_unused:UNUSED_PAD src0_sel:DWORD src1_sel:BYTE_1
	v_mul_lo_u32 v96, v96, s23
	v_dot4_i32_i8 v97, v96, v1, v97
	v_dot4_i32_i8 v97, v96, v2, v97
	v_dot4_i32_i8 v97, v96, v3, v97
	v_dot4_i32_i8 v96, v96, v4, v97
	v_and_b32_sdwa v97, v104, v81 dst_sel:DWORD dst_unused:UNUSED_PAD src0_sel:BYTE_1 src1_sel:DWORD
	v_mad_u64_u32 v[94:95], s[26:27], v97, v95, v[94:95]
	v_cvt_f32_f16_sdwa v95, v103 dst_sel:DWORD dst_unused:UNUSED_PAD src0_sel:WORD_1
	v_cvt_f32_i32_e32 v96, v96
	v_cvt_f32_i32_e32 v94, v94
	v_mul_f32_e32 v95, v95, v96
	v_fma_mix_f32 v94, v103, v94, -v95 op_sel_hi:[1,0,0]
	v_fmac_f32_e32 v63, v92, v94
	v_add_u32_e32 v94, 0x2100, v93
	ds_read2_b32 v[94:95], v94 offset1:1
	v_add3_u32 v103, s17, v84, v85
	s_waitcnt lgkmcnt(0)
	v_ashrrev_i32_e32 v94, s3, v94
	v_and_b32_e32 v96, 0x3030303, v94
	v_ashrrev_i32_e32 v94, s3, v95
	v_and_b32_e32 v97, 0x3030303, v94
	v_add_u32_e32 v94, 0x2108, v93
	ds_read2_b32 v[94:95], v94 offset1:1
	v_dot4_i32_i8 v96, v96, v5, 0
	v_dot4_i32_i8 v96, v97, v6, v96
	s_waitcnt lgkmcnt(0)
	v_ashrrev_i32_e32 v94, s3, v94
	v_and_b32_e32 v98, 0x3030303, v94
	v_ashrrev_i32_e32 v94, s3, v95
	v_and_b32_e32 v99, 0x3030303, v94
	v_add_u32_e32 v94, 0x2110, v93
	ds_read2_b32 v[94:95], v94 offset1:1
	v_dot4_i32_i8 v96, v98, v7, v96
	v_dot4_i32_i8 v96, v99, v8, v96
	;; [unrolled: 9-line block ×3, first 2 shown]
	v_add_u32_e32 v101, s16, v70
	s_waitcnt lgkmcnt(0)
	v_ashrrev_i32_e32 v94, s3, v94
	v_and_b32_e32 v102, 0x3030303, v94
	v_ashrrev_i32_e32 v94, s3, v95
	v_and_b32_e32 v95, 0x3030303, v94
	v_add_u32_e32 v94, s16, v74
	ds_read_b32 v103, v103
	ds_read_u16 v104, v94 offset:18944
	v_dot4_i32_i8 v98, v102, v3, v98
	v_dot4_i32_i8 v95, v95, v4, v98
	v_add3_u32 v102, s17, v86, v87
	s_waitcnt lgkmcnt(0)
	v_bfe_u32 v94, v104, 4, 4
	v_mul_lo_u32 v94, v94, s23
	v_dot4_i32_i8 v105, v94, v5, 0
	v_dot4_i32_i8 v97, v94, v6, v105
	;; [unrolled: 1-line block ×4, first 2 shown]
	v_and_b32_e32 v94, 15, v104
	v_mul_lo_u32 v94, v94, v96
	v_lshrrev_b32_sdwa v96, v80, v104 dst_sel:DWORD dst_unused:UNUSED_PAD src0_sel:DWORD src1_sel:BYTE_1
	v_mul_lo_u32 v96, v96, s23
	v_dot4_i32_i8 v97, v96, v1, v97
	v_dot4_i32_i8 v97, v96, v2, v97
	v_dot4_i32_i8 v97, v96, v3, v97
	v_dot4_i32_i8 v96, v96, v4, v97
	v_and_b32_sdwa v97, v104, v81 dst_sel:DWORD dst_unused:UNUSED_PAD src0_sel:BYTE_1 src1_sel:DWORD
	v_mad_u64_u32 v[94:95], s[26:27], v97, v95, v[94:95]
	v_cvt_f32_f16_sdwa v95, v103 dst_sel:DWORD dst_unused:UNUSED_PAD src0_sel:WORD_1
	v_cvt_f32_i32_e32 v96, v96
	v_cvt_f32_i32_e32 v94, v94
	v_mul_f32_e32 v95, v95, v96
	v_fma_mix_f32 v94, v103, v94, -v95 op_sel_hi:[1,0,0]
	v_fmac_f32_e32 v60, v92, v94
	v_add_u32_e32 v94, 0x3180, v93
	ds_read2_b32 v[94:95], v94 offset1:1
	s_waitcnt lgkmcnt(0)
	v_ashrrev_i32_e32 v94, s3, v94
	v_and_b32_e32 v96, 0x3030303, v94
	v_ashrrev_i32_e32 v94, s3, v95
	v_and_b32_e32 v97, 0x3030303, v94
	v_add_u32_e32 v94, 0x3188, v93
	ds_read2_b32 v[94:95], v94 offset1:1
	v_dot4_i32_i8 v96, v96, v5, 0
	v_dot4_i32_i8 v96, v97, v6, v96
	s_waitcnt lgkmcnt(0)
	v_ashrrev_i32_e32 v94, s3, v94
	v_and_b32_e32 v98, 0x3030303, v94
	v_ashrrev_i32_e32 v94, s3, v95
	v_and_b32_e32 v99, 0x3030303, v94
	v_add_u32_e32 v94, 0x3190, v93
	ds_read2_b32 v[94:95], v94 offset1:1
	v_add_u32_e32 v93, 0x3198, v93
	s_waitcnt lgkmcnt(0)
	v_ashrrev_i32_e32 v94, s3, v94
	v_and_b32_e32 v100, 0x3030303, v94
	v_ashrrev_i32_e32 v94, s3, v95
	v_and_b32_e32 v95, 0x3030303, v94
	ds_read2_b32 v[93:94], v93 offset1:1
	ds_read_b32 v102, v102
	ds_read_u16 v101, v101 offset:19968
	s_waitcnt lgkmcnt(2)
	v_ashrrev_i32_e32 v93, s3, v93
	s_waitcnt lgkmcnt(0)
	v_bfe_u32 v103, v101, 4, 4
	v_mul_lo_u32 v103, v103, s23
	v_and_b32_e32 v93, 0x3030303, v93
	v_ashrrev_i32_e32 v94, s3, v94
	v_and_b32_e32 v94, 0x3030303, v94
	v_dot4_i32_i8 v5, v103, v5, 0
	v_dot4_i32_i8 v5, v103, v6, v5
	;; [unrolled: 1-line block ×6, first 2 shown]
	v_and_b32_e32 v5, 15, v101
	v_mul_lo_u32 v5, v5, v6
	v_lshrrev_b32_sdwa v6, v80, v101 dst_sel:DWORD dst_unused:UNUSED_PAD src0_sel:DWORD src1_sel:BYTE_1
	v_mul_lo_u32 v6, v6, s23
	v_dot4_i32_i8 v8, v100, v1, 0
	s_add_i32 s3, s2, 2
	s_cmp_lt_u32 s2, 14
	v_dot4_i32_i8 v1, v6, v1, v7
	v_dot4_i32_i8 v7, v95, v2, v8
	;; [unrolled: 1-line block ×7, first 2 shown]
	v_and_b32_sdwa v1, v101, v81 dst_sel:DWORD dst_unused:UNUSED_PAD src0_sel:BYTE_1 src1_sel:DWORD
	v_mad_u64_u32 v[1:2], s[16:17], v1, v2, v[5:6]
	v_cvt_f32_f16_sdwa v2, v102 dst_sel:DWORD dst_unused:UNUSED_PAD src0_sel:WORD_1
	v_cvt_f32_i32_e32 v3, v3
	v_cvt_f32_i32_e32 v1, v1
	s_mov_b32 s2, s3
	v_mul_f32_e32 v2, v2, v3
	v_fma_mix_f32 v1, v102, v1, -v2 op_sel_hi:[1,0,0]
	v_fmac_f32_e32 v9, v92, v1
	s_cbranch_scc1 .LBB187_19
; %bb.20:                               ;   in Loop: Header=BB187_5 Depth=1
	s_or_b32 s2, s24, 0x100
	s_cmp_ge_i32 s2, s15
	s_barrier
	s_cbranch_scc1 .LBB187_4
; %bb.21:                               ;   in Loop: Header=BB187_5 Depth=1
	v_add_u32_e32 v1, s25, v65
	v_cmp_gt_i32_e64 s[2:3], s9, v1
	s_and_b64 s[16:17], s[0:1], s[2:3]
	s_and_saveexec_b64 s[2:3], s[16:17]
	s_cbranch_execz .LBB187_23
; %bb.22:                               ;   in Loop: Header=BB187_5 Depth=1
	v_add_u32_e32 v1, v67, v1
	v_mad_i64_i32 v[1:2], s[16:17], v1, 36, v[10:11]
	global_load_dword v1, v[1:2], off offset:4
	s_waitcnt vmcnt(0)
	ds_write_b32 v59, v1
.LBB187_23:                             ;   in Loop: Header=BB187_5 Depth=1
	s_or_b64 exec, exec, s[2:3]
	s_and_saveexec_b64 s[16:17], vcc
	s_cbranch_execz .LBB187_26
; %bb.24:                               ;   in Loop: Header=BB187_5 Depth=1
	v_or_b32_e32 v1, 8, v89
	v_cmp_gt_i32_e64 s[2:3], s9, v1
	s_and_b64 s[2:3], s[0:1], s[2:3]
	s_and_b64 exec, exec, s[2:3]
	s_cbranch_execz .LBB187_26
; %bb.25:                               ;   in Loop: Header=BB187_5 Depth=1
	v_ashrrev_i32_e32 v1, 31, v89
	v_add_co_u32_e64 v2, s[2:3], v67, v89
	v_addc_co_u32_e64 v3, s[2:3], v69, v1, s[2:3]
	v_mad_u64_u32 v[1:2], s[2:3], v2, 36, s[6:7]
	v_mad_i32_i24 v2, v3, 36, v2
	global_load_dword v1, v[1:2], off offset:288
	s_waitcnt vmcnt(0)
	v_cvt_f32_f16_e32 v1, v1
	ds_write_b32 v62, v1
.LBB187_26:                             ;   in Loop: Header=BB187_5 Depth=1
	s_or_b64 exec, exec, s[16:17]
	s_mov_b32 s2, 16
	v_mov_b32_e32 v90, v58
	v_mov_b32_e32 v91, v61
	s_waitcnt lgkmcnt(0)
	s_barrier
.LBB187_27:                             ;   Parent Loop BB187_5 Depth=1
                                        ; =>  This Inner Loop Header: Depth=2
	s_and_b32 s17, s2, 0x3ffffff8
	v_lshl_add_u32 v93, s17, 2, v68
	ds_read_b32 v92, v91
	ds_read_b128 v[5:8], v90
	ds_read_b128 v[1:4], v90 offset:16
	ds_read2_b32 v[94:95], v93 offset1:1
	s_add_i32 s3, s2, -16
	s_lshr_b32 s17, s2, 2
	s_and_b32 s17, s17, 0x3ffffffc
	s_and_b32 s16, s2, -16
	s_waitcnt lgkmcnt(0)
	v_ashrrev_i32_e32 v94, s3, v94
	v_and_b32_e32 v96, 0x3030303, v94
	v_ashrrev_i32_e32 v94, s3, v95
	v_and_b32_e32 v97, 0x3030303, v94
	ds_read2_b32 v[94:95], v93 offset0:2 offset1:3
	s_addk_i32 s17, 0x5280
	s_add_i32 s16, s2, s16
	v_add3_u32 v103, s17, v88, v79
	v_dot4_i32_i8 v96, v96, v5, 0
	s_waitcnt lgkmcnt(0)
	v_ashrrev_i32_e32 v94, s3, v94
	v_and_b32_e32 v98, 0x3030303, v94
	v_ashrrev_i32_e32 v94, s3, v95
	v_and_b32_e32 v99, 0x3030303, v94
	ds_read2_b32 v[94:95], v93 offset0:4 offset1:5
	v_dot4_i32_i8 v96, v97, v6, v96
	v_dot4_i32_i8 v96, v98, v7, v96
	;; [unrolled: 1-line block ×3, first 2 shown]
	v_add_u32_e32 v91, 4, v91
	s_waitcnt lgkmcnt(0)
	v_ashrrev_i32_e32 v94, s3, v94
	v_and_b32_e32 v100, 0x3030303, v94
	v_ashrrev_i32_e32 v94, s3, v95
	v_and_b32_e32 v101, 0x3030303, v94
	ds_read2_b32 v[94:95], v93 offset0:6 offset1:7
	v_dot4_i32_i8 v98, v100, v1, 0
	v_dot4_i32_i8 v98, v101, v2, v98
	v_add_u32_e32 v90, 32, v90
	s_waitcnt lgkmcnt(0)
	v_ashrrev_i32_e32 v94, s3, v94
	v_and_b32_e32 v102, 0x3030303, v94
	v_ashrrev_i32_e32 v94, s3, v95
	v_and_b32_e32 v95, 0x3030303, v94
	v_add_u32_e32 v94, s16, v71
	ds_read_b32 v103, v103
	ds_read_u16 v104, v94 offset:16880
	v_dot4_i32_i8 v98, v102, v3, v98
	v_dot4_i32_i8 v95, v95, v4, v98
	s_waitcnt lgkmcnt(0)
	v_bfe_u32 v94, v104, 4, 4
	v_mul_lo_u32 v94, v94, s23
	v_dot4_i32_i8 v105, v94, v5, 0
	v_dot4_i32_i8 v97, v94, v6, v105
	;; [unrolled: 1-line block ×4, first 2 shown]
	v_and_b32_e32 v94, 15, v104
	v_mul_lo_u32 v94, v94, v96
	v_lshrrev_b32_sdwa v96, v80, v104 dst_sel:DWORD dst_unused:UNUSED_PAD src0_sel:DWORD src1_sel:BYTE_1
	v_mul_lo_u32 v96, v96, s23
	v_dot4_i32_i8 v97, v96, v1, v97
	v_dot4_i32_i8 v97, v96, v2, v97
	;; [unrolled: 1-line block ×4, first 2 shown]
	v_and_b32_sdwa v97, v104, v81 dst_sel:DWORD dst_unused:UNUSED_PAD src0_sel:BYTE_1 src1_sel:DWORD
	v_mad_u64_u32 v[94:95], s[26:27], v97, v95, v[94:95]
	v_cvt_f32_f16_sdwa v95, v103 dst_sel:DWORD dst_unused:UNUSED_PAD src0_sel:WORD_1
	v_cvt_f32_i32_e32 v96, v96
	v_cvt_f32_i32_e32 v94, v94
	v_mul_f32_e32 v95, v95, v96
	v_fma_mix_f32 v94, v103, v94, -v95 op_sel_hi:[1,0,0]
	v_fmac_f32_e32 v13, v92, v94
	v_add_u32_e32 v94, 0x1080, v93
	ds_read2_b32 v[94:95], v94 offset1:1
	v_add3_u32 v103, s17, v82, v83
	s_waitcnt lgkmcnt(0)
	v_ashrrev_i32_e32 v94, s3, v94
	v_and_b32_e32 v96, 0x3030303, v94
	v_ashrrev_i32_e32 v94, s3, v95
	v_and_b32_e32 v97, 0x3030303, v94
	v_add_u32_e32 v94, 0x1088, v93
	ds_read2_b32 v[94:95], v94 offset1:1
	v_dot4_i32_i8 v96, v96, v5, 0
	v_dot4_i32_i8 v96, v97, v6, v96
	s_waitcnt lgkmcnt(0)
	v_ashrrev_i32_e32 v94, s3, v94
	v_and_b32_e32 v98, 0x3030303, v94
	v_ashrrev_i32_e32 v94, s3, v95
	v_and_b32_e32 v99, 0x3030303, v94
	v_add_u32_e32 v94, 0x1090, v93
	ds_read2_b32 v[94:95], v94 offset1:1
	v_dot4_i32_i8 v96, v98, v7, v96
	v_dot4_i32_i8 v96, v99, v8, v96
	s_waitcnt lgkmcnt(0)
	v_ashrrev_i32_e32 v94, s3, v94
	v_and_b32_e32 v100, 0x3030303, v94
	v_ashrrev_i32_e32 v94, s3, v95
	v_and_b32_e32 v101, 0x3030303, v94
	v_add_u32_e32 v94, 0x1098, v93
	ds_read2_b32 v[94:95], v94 offset1:1
	v_dot4_i32_i8 v98, v100, v1, 0
	v_dot4_i32_i8 v98, v101, v2, v98
	s_waitcnt lgkmcnt(0)
	v_ashrrev_i32_e32 v94, s3, v94
	v_and_b32_e32 v102, 0x3030303, v94
	v_ashrrev_i32_e32 v94, s3, v95
	v_and_b32_e32 v95, 0x3030303, v94
	v_add_u32_e32 v94, s16, v73
	ds_read_b32 v103, v103
	ds_read_u16 v104, v94 offset:17904
	v_dot4_i32_i8 v98, v102, v3, v98
	v_dot4_i32_i8 v95, v95, v4, v98
	s_waitcnt lgkmcnt(0)
	v_bfe_u32 v94, v104, 4, 4
	v_mul_lo_u32 v94, v94, s23
	v_dot4_i32_i8 v105, v94, v5, 0
	v_dot4_i32_i8 v97, v94, v6, v105
	v_dot4_i32_i8 v97, v94, v7, v97
	v_dot4_i32_i8 v97, v94, v8, v97
	v_and_b32_e32 v94, 15, v104
	v_mul_lo_u32 v94, v94, v96
	v_lshrrev_b32_sdwa v96, v80, v104 dst_sel:DWORD dst_unused:UNUSED_PAD src0_sel:DWORD src1_sel:BYTE_1
	v_mul_lo_u32 v96, v96, s23
	v_dot4_i32_i8 v97, v96, v1, v97
	v_dot4_i32_i8 v97, v96, v2, v97
	;; [unrolled: 1-line block ×4, first 2 shown]
	v_and_b32_sdwa v97, v104, v81 dst_sel:DWORD dst_unused:UNUSED_PAD src0_sel:BYTE_1 src1_sel:DWORD
	v_mad_u64_u32 v[94:95], s[26:27], v97, v95, v[94:95]
	v_cvt_f32_f16_sdwa v95, v103 dst_sel:DWORD dst_unused:UNUSED_PAD src0_sel:WORD_1
	v_cvt_f32_i32_e32 v96, v96
	v_cvt_f32_i32_e32 v94, v94
	v_mul_f32_e32 v95, v95, v96
	v_fma_mix_f32 v94, v103, v94, -v95 op_sel_hi:[1,0,0]
	v_fmac_f32_e32 v63, v92, v94
	v_add_u32_e32 v94, 0x2100, v93
	ds_read2_b32 v[94:95], v94 offset1:1
	v_add3_u32 v103, s17, v84, v85
	s_waitcnt lgkmcnt(0)
	v_ashrrev_i32_e32 v94, s3, v94
	v_and_b32_e32 v96, 0x3030303, v94
	v_ashrrev_i32_e32 v94, s3, v95
	v_and_b32_e32 v97, 0x3030303, v94
	v_add_u32_e32 v94, 0x2108, v93
	ds_read2_b32 v[94:95], v94 offset1:1
	v_dot4_i32_i8 v96, v96, v5, 0
	v_dot4_i32_i8 v96, v97, v6, v96
	s_waitcnt lgkmcnt(0)
	v_ashrrev_i32_e32 v94, s3, v94
	v_and_b32_e32 v98, 0x3030303, v94
	v_ashrrev_i32_e32 v94, s3, v95
	v_and_b32_e32 v99, 0x3030303, v94
	v_add_u32_e32 v94, 0x2110, v93
	ds_read2_b32 v[94:95], v94 offset1:1
	v_dot4_i32_i8 v96, v98, v7, v96
	v_dot4_i32_i8 v96, v99, v8, v96
	;; [unrolled: 9-line block ×3, first 2 shown]
	v_add_u32_e32 v101, s16, v70
	s_waitcnt lgkmcnt(0)
	v_ashrrev_i32_e32 v94, s3, v94
	v_and_b32_e32 v102, 0x3030303, v94
	v_ashrrev_i32_e32 v94, s3, v95
	v_and_b32_e32 v95, 0x3030303, v94
	v_add_u32_e32 v94, s16, v74
	ds_read_b32 v103, v103
	ds_read_u16 v104, v94 offset:18928
	v_dot4_i32_i8 v98, v102, v3, v98
	v_dot4_i32_i8 v95, v95, v4, v98
	v_add3_u32 v102, s17, v86, v87
	s_waitcnt lgkmcnt(0)
	v_bfe_u32 v94, v104, 4, 4
	v_mul_lo_u32 v94, v94, s23
	v_dot4_i32_i8 v105, v94, v5, 0
	v_dot4_i32_i8 v97, v94, v6, v105
	;; [unrolled: 1-line block ×4, first 2 shown]
	v_and_b32_e32 v94, 15, v104
	v_mul_lo_u32 v94, v94, v96
	v_lshrrev_b32_sdwa v96, v80, v104 dst_sel:DWORD dst_unused:UNUSED_PAD src0_sel:DWORD src1_sel:BYTE_1
	v_mul_lo_u32 v96, v96, s23
	v_dot4_i32_i8 v97, v96, v1, v97
	v_dot4_i32_i8 v97, v96, v2, v97
	;; [unrolled: 1-line block ×4, first 2 shown]
	v_and_b32_sdwa v97, v104, v81 dst_sel:DWORD dst_unused:UNUSED_PAD src0_sel:BYTE_1 src1_sel:DWORD
	v_mad_u64_u32 v[94:95], s[26:27], v97, v95, v[94:95]
	v_cvt_f32_f16_sdwa v95, v103 dst_sel:DWORD dst_unused:UNUSED_PAD src0_sel:WORD_1
	v_cvt_f32_i32_e32 v96, v96
	v_cvt_f32_i32_e32 v94, v94
	v_mul_f32_e32 v95, v95, v96
	v_fma_mix_f32 v94, v103, v94, -v95 op_sel_hi:[1,0,0]
	v_fmac_f32_e32 v60, v92, v94
	v_add_u32_e32 v94, 0x3180, v93
	ds_read2_b32 v[94:95], v94 offset1:1
	s_waitcnt lgkmcnt(0)
	v_ashrrev_i32_e32 v94, s3, v94
	v_and_b32_e32 v96, 0x3030303, v94
	v_ashrrev_i32_e32 v94, s3, v95
	v_and_b32_e32 v97, 0x3030303, v94
	v_add_u32_e32 v94, 0x3188, v93
	ds_read2_b32 v[94:95], v94 offset1:1
	v_dot4_i32_i8 v96, v96, v5, 0
	v_dot4_i32_i8 v96, v97, v6, v96
	s_waitcnt lgkmcnt(0)
	v_ashrrev_i32_e32 v94, s3, v94
	v_and_b32_e32 v98, 0x3030303, v94
	v_ashrrev_i32_e32 v94, s3, v95
	v_and_b32_e32 v99, 0x3030303, v94
	v_add_u32_e32 v94, 0x3190, v93
	ds_read2_b32 v[94:95], v94 offset1:1
	v_add_u32_e32 v93, 0x3198, v93
	s_waitcnt lgkmcnt(0)
	v_ashrrev_i32_e32 v94, s3, v94
	v_and_b32_e32 v100, 0x3030303, v94
	v_ashrrev_i32_e32 v94, s3, v95
	v_and_b32_e32 v95, 0x3030303, v94
	ds_read2_b32 v[93:94], v93 offset1:1
	ds_read_b32 v102, v102
	ds_read_u16 v101, v101 offset:19952
	s_waitcnt lgkmcnt(2)
	v_ashrrev_i32_e32 v93, s3, v93
	s_waitcnt lgkmcnt(0)
	v_bfe_u32 v103, v101, 4, 4
	v_mul_lo_u32 v103, v103, s23
	v_and_b32_e32 v93, 0x3030303, v93
	v_ashrrev_i32_e32 v94, s3, v94
	v_and_b32_e32 v94, 0x3030303, v94
	v_dot4_i32_i8 v5, v103, v5, 0
	v_dot4_i32_i8 v5, v103, v6, v5
	;; [unrolled: 1-line block ×6, first 2 shown]
	v_and_b32_e32 v5, 15, v101
	v_mul_lo_u32 v5, v5, v6
	v_lshrrev_b32_sdwa v6, v80, v101 dst_sel:DWORD dst_unused:UNUSED_PAD src0_sel:DWORD src1_sel:BYTE_1
	v_mul_lo_u32 v6, v6, s23
	v_dot4_i32_i8 v8, v100, v1, 0
	s_add_i32 s3, s2, 2
	s_cmp_lt_u32 s2, 22
	v_dot4_i32_i8 v1, v6, v1, v7
	v_dot4_i32_i8 v7, v95, v2, v8
	;; [unrolled: 1-line block ×7, first 2 shown]
	v_and_b32_sdwa v1, v101, v81 dst_sel:DWORD dst_unused:UNUSED_PAD src0_sel:BYTE_1 src1_sel:DWORD
	v_mad_u64_u32 v[1:2], s[16:17], v1, v2, v[5:6]
	v_cvt_f32_f16_sdwa v2, v102 dst_sel:DWORD dst_unused:UNUSED_PAD src0_sel:WORD_1
	v_cvt_f32_i32_e32 v3, v3
	v_cvt_f32_i32_e32 v1, v1
	s_mov_b32 s2, s3
	v_mul_f32_e32 v2, v2, v3
	v_fma_mix_f32 v1, v102, v1, -v2 op_sel_hi:[1,0,0]
	v_fmac_f32_e32 v9, v92, v1
	s_cbranch_scc1 .LBB187_27
; %bb.28:                               ;   in Loop: Header=BB187_5 Depth=1
	s_or_b32 s2, s24, 0x180
	s_cmp_ge_i32 s2, s15
	s_barrier
	s_cbranch_scc1 .LBB187_4
; %bb.29:                               ;   in Loop: Header=BB187_5 Depth=1
	v_add_u32_e32 v1, s25, v66
	v_cmp_gt_i32_e64 s[2:3], s9, v1
	s_and_b64 s[16:17], s[0:1], s[2:3]
	s_and_saveexec_b64 s[2:3], s[16:17]
	s_cbranch_execz .LBB187_31
; %bb.30:                               ;   in Loop: Header=BB187_5 Depth=1
	v_add_u32_e32 v1, v67, v1
	v_mad_i64_i32 v[1:2], s[16:17], v1, 36, v[10:11]
	global_load_dword v1, v[1:2], off offset:4
	s_waitcnt vmcnt(0)
	ds_write_b32 v59, v1
.LBB187_31:                             ;   in Loop: Header=BB187_5 Depth=1
	s_or_b64 exec, exec, s[2:3]
	s_and_saveexec_b64 s[16:17], vcc
	s_cbranch_execz .LBB187_34
; %bb.32:                               ;   in Loop: Header=BB187_5 Depth=1
	v_or_b32_e32 v1, 12, v89
	v_cmp_gt_i32_e64 s[2:3], s9, v1
	s_and_b64 s[2:3], s[0:1], s[2:3]
	s_and_b64 exec, exec, s[2:3]
	s_cbranch_execz .LBB187_34
; %bb.33:                               ;   in Loop: Header=BB187_5 Depth=1
	v_ashrrev_i32_e32 v1, 31, v89
	v_add_co_u32_e64 v2, s[2:3], v67, v89
	v_addc_co_u32_e64 v3, s[2:3], v69, v1, s[2:3]
	v_mad_u64_u32 v[1:2], s[2:3], v2, 36, s[6:7]
	v_mad_i32_i24 v2, v3, 36, v2
	global_load_dword v1, v[1:2], off offset:432
	s_waitcnt vmcnt(0)
	v_cvt_f32_f16_e32 v1, v1
	ds_write_b32 v62, v1
.LBB187_34:                             ;   in Loop: Header=BB187_5 Depth=1
	s_or_b64 exec, exec, s[16:17]
	s_mov_b32 s2, 24
	v_mov_b32_e32 v89, v58
	v_mov_b32_e32 v90, v61
	s_waitcnt lgkmcnt(0)
	s_barrier
.LBB187_35:                             ;   Parent Loop BB187_5 Depth=1
                                        ; =>  This Inner Loop Header: Depth=2
	s_and_b32 s17, s2, 0x3ffffff8
	v_lshl_add_u32 v92, s17, 2, v68
	ds_read_b32 v91, v90
	ds_read_b128 v[5:8], v89
	ds_read_b128 v[1:4], v89 offset:16
	ds_read2_b32 v[93:94], v92 offset1:1
	s_sub_i32 s3, s2, 24
	s_lshr_b32 s17, s2, 2
	s_and_b32 s17, s17, 0x3ffffffc
	s_and_b32 s16, s2, -16
	s_waitcnt lgkmcnt(0)
	v_ashrrev_i32_e32 v93, s3, v93
	v_and_b32_e32 v95, 0x3030303, v93
	v_ashrrev_i32_e32 v93, s3, v94
	v_and_b32_e32 v96, 0x3030303, v93
	ds_read2_b32 v[93:94], v92 offset0:2 offset1:3
	s_addk_i32 s17, 0x5280
	s_add_i32 s16, s2, s16
	v_add3_u32 v102, s17, v88, v79
	v_dot4_i32_i8 v95, v95, v5, 0
	s_waitcnt lgkmcnt(0)
	v_ashrrev_i32_e32 v93, s3, v93
	v_and_b32_e32 v97, 0x3030303, v93
	v_ashrrev_i32_e32 v93, s3, v94
	v_and_b32_e32 v98, 0x3030303, v93
	ds_read2_b32 v[93:94], v92 offset0:4 offset1:5
	v_dot4_i32_i8 v95, v96, v6, v95
	v_dot4_i32_i8 v95, v97, v7, v95
	;; [unrolled: 1-line block ×3, first 2 shown]
	v_add_u32_e32 v90, 4, v90
	s_waitcnt lgkmcnt(0)
	v_ashrrev_i32_e32 v93, s3, v93
	v_and_b32_e32 v99, 0x3030303, v93
	v_ashrrev_i32_e32 v93, s3, v94
	v_and_b32_e32 v100, 0x3030303, v93
	ds_read2_b32 v[93:94], v92 offset0:6 offset1:7
	v_dot4_i32_i8 v97, v99, v1, 0
	v_dot4_i32_i8 v97, v100, v2, v97
	v_add_u32_e32 v89, 32, v89
	s_waitcnt lgkmcnt(0)
	v_ashrrev_i32_e32 v93, s3, v93
	v_and_b32_e32 v101, 0x3030303, v93
	v_ashrrev_i32_e32 v93, s3, v94
	v_and_b32_e32 v94, 0x3030303, v93
	v_add_u32_e32 v93, s16, v71
	ds_read_b32 v102, v102
	ds_read_u16 v103, v93 offset:16880
	v_dot4_i32_i8 v97, v101, v3, v97
	v_dot4_i32_i8 v94, v94, v4, v97
	s_waitcnt lgkmcnt(0)
	v_bfe_u32 v93, v103, 4, 4
	v_mul_lo_u32 v93, v93, s23
	v_dot4_i32_i8 v104, v93, v5, 0
	v_dot4_i32_i8 v96, v93, v6, v104
	;; [unrolled: 1-line block ×4, first 2 shown]
	v_and_b32_e32 v93, 15, v103
	v_mul_lo_u32 v93, v93, v95
	v_lshrrev_b32_sdwa v95, v80, v103 dst_sel:DWORD dst_unused:UNUSED_PAD src0_sel:DWORD src1_sel:BYTE_1
	v_mul_lo_u32 v95, v95, s23
	v_dot4_i32_i8 v96, v95, v1, v96
	v_dot4_i32_i8 v96, v95, v2, v96
	;; [unrolled: 1-line block ×4, first 2 shown]
	v_and_b32_sdwa v96, v103, v81 dst_sel:DWORD dst_unused:UNUSED_PAD src0_sel:BYTE_1 src1_sel:DWORD
	v_mad_u64_u32 v[93:94], s[24:25], v96, v94, v[93:94]
	v_cvt_f32_f16_sdwa v94, v102 dst_sel:DWORD dst_unused:UNUSED_PAD src0_sel:WORD_1
	v_cvt_f32_i32_e32 v95, v95
	v_cvt_f32_i32_e32 v93, v93
	v_mul_f32_e32 v94, v94, v95
	v_fma_mix_f32 v93, v102, v93, -v94 op_sel_hi:[1,0,0]
	v_fmac_f32_e32 v13, v91, v93
	v_add_u32_e32 v93, 0x1080, v92
	ds_read2_b32 v[93:94], v93 offset1:1
	v_add3_u32 v102, s17, v82, v83
	s_waitcnt lgkmcnt(0)
	v_ashrrev_i32_e32 v93, s3, v93
	v_and_b32_e32 v95, 0x3030303, v93
	v_ashrrev_i32_e32 v93, s3, v94
	v_and_b32_e32 v96, 0x3030303, v93
	v_add_u32_e32 v93, 0x1088, v92
	ds_read2_b32 v[93:94], v93 offset1:1
	v_dot4_i32_i8 v95, v95, v5, 0
	v_dot4_i32_i8 v95, v96, v6, v95
	s_waitcnt lgkmcnt(0)
	v_ashrrev_i32_e32 v93, s3, v93
	v_and_b32_e32 v97, 0x3030303, v93
	v_ashrrev_i32_e32 v93, s3, v94
	v_and_b32_e32 v98, 0x3030303, v93
	v_add_u32_e32 v93, 0x1090, v92
	ds_read2_b32 v[93:94], v93 offset1:1
	v_dot4_i32_i8 v95, v97, v7, v95
	v_dot4_i32_i8 v95, v98, v8, v95
	;; [unrolled: 9-line block ×3, first 2 shown]
	s_waitcnt lgkmcnt(0)
	v_ashrrev_i32_e32 v93, s3, v93
	v_and_b32_e32 v101, 0x3030303, v93
	v_ashrrev_i32_e32 v93, s3, v94
	v_and_b32_e32 v94, 0x3030303, v93
	v_add_u32_e32 v93, s16, v73
	ds_read_b32 v102, v102
	ds_read_u16 v103, v93 offset:17904
	v_dot4_i32_i8 v97, v101, v3, v97
	v_dot4_i32_i8 v94, v94, v4, v97
	s_waitcnt lgkmcnt(0)
	v_bfe_u32 v93, v103, 4, 4
	v_mul_lo_u32 v93, v93, s23
	v_dot4_i32_i8 v104, v93, v5, 0
	v_dot4_i32_i8 v96, v93, v6, v104
	;; [unrolled: 1-line block ×4, first 2 shown]
	v_and_b32_e32 v93, 15, v103
	v_mul_lo_u32 v93, v93, v95
	v_lshrrev_b32_sdwa v95, v80, v103 dst_sel:DWORD dst_unused:UNUSED_PAD src0_sel:DWORD src1_sel:BYTE_1
	v_mul_lo_u32 v95, v95, s23
	v_dot4_i32_i8 v96, v95, v1, v96
	v_dot4_i32_i8 v96, v95, v2, v96
	;; [unrolled: 1-line block ×4, first 2 shown]
	v_and_b32_sdwa v96, v103, v81 dst_sel:DWORD dst_unused:UNUSED_PAD src0_sel:BYTE_1 src1_sel:DWORD
	v_mad_u64_u32 v[93:94], s[24:25], v96, v94, v[93:94]
	v_cvt_f32_f16_sdwa v94, v102 dst_sel:DWORD dst_unused:UNUSED_PAD src0_sel:WORD_1
	v_cvt_f32_i32_e32 v95, v95
	v_cvt_f32_i32_e32 v93, v93
	v_mul_f32_e32 v94, v94, v95
	v_fma_mix_f32 v93, v102, v93, -v94 op_sel_hi:[1,0,0]
	v_fmac_f32_e32 v63, v91, v93
	v_add_u32_e32 v93, 0x2100, v92
	ds_read2_b32 v[93:94], v93 offset1:1
	v_add3_u32 v102, s17, v84, v85
	s_waitcnt lgkmcnt(0)
	v_ashrrev_i32_e32 v93, s3, v93
	v_and_b32_e32 v95, 0x3030303, v93
	v_ashrrev_i32_e32 v93, s3, v94
	v_and_b32_e32 v96, 0x3030303, v93
	v_add_u32_e32 v93, 0x2108, v92
	ds_read2_b32 v[93:94], v93 offset1:1
	v_dot4_i32_i8 v95, v95, v5, 0
	v_dot4_i32_i8 v95, v96, v6, v95
	s_waitcnt lgkmcnt(0)
	v_ashrrev_i32_e32 v93, s3, v93
	v_and_b32_e32 v97, 0x3030303, v93
	v_ashrrev_i32_e32 v93, s3, v94
	v_and_b32_e32 v98, 0x3030303, v93
	v_add_u32_e32 v93, 0x2110, v92
	ds_read2_b32 v[93:94], v93 offset1:1
	v_dot4_i32_i8 v95, v97, v7, v95
	v_dot4_i32_i8 v95, v98, v8, v95
	;; [unrolled: 9-line block ×3, first 2 shown]
	v_add_u32_e32 v100, s16, v70
	s_waitcnt lgkmcnt(0)
	v_ashrrev_i32_e32 v93, s3, v93
	v_and_b32_e32 v101, 0x3030303, v93
	v_ashrrev_i32_e32 v93, s3, v94
	v_and_b32_e32 v94, 0x3030303, v93
	v_add_u32_e32 v93, s16, v74
	ds_read_b32 v102, v102
	ds_read_u16 v103, v93 offset:18928
	v_dot4_i32_i8 v97, v101, v3, v97
	v_dot4_i32_i8 v94, v94, v4, v97
	v_add3_u32 v101, s17, v86, v87
	s_waitcnt lgkmcnt(0)
	v_bfe_u32 v93, v103, 4, 4
	v_mul_lo_u32 v93, v93, s23
	v_dot4_i32_i8 v104, v93, v5, 0
	v_dot4_i32_i8 v96, v93, v6, v104
	;; [unrolled: 1-line block ×4, first 2 shown]
	v_and_b32_e32 v93, 15, v103
	v_mul_lo_u32 v93, v93, v95
	v_lshrrev_b32_sdwa v95, v80, v103 dst_sel:DWORD dst_unused:UNUSED_PAD src0_sel:DWORD src1_sel:BYTE_1
	v_mul_lo_u32 v95, v95, s23
	v_dot4_i32_i8 v96, v95, v1, v96
	v_dot4_i32_i8 v96, v95, v2, v96
	;; [unrolled: 1-line block ×4, first 2 shown]
	v_and_b32_sdwa v96, v103, v81 dst_sel:DWORD dst_unused:UNUSED_PAD src0_sel:BYTE_1 src1_sel:DWORD
	v_mad_u64_u32 v[93:94], s[24:25], v96, v94, v[93:94]
	v_cvt_f32_f16_sdwa v94, v102 dst_sel:DWORD dst_unused:UNUSED_PAD src0_sel:WORD_1
	v_cvt_f32_i32_e32 v95, v95
	v_cvt_f32_i32_e32 v93, v93
	v_mul_f32_e32 v94, v94, v95
	v_fma_mix_f32 v93, v102, v93, -v94 op_sel_hi:[1,0,0]
	v_fmac_f32_e32 v60, v91, v93
	v_add_u32_e32 v93, 0x3180, v92
	ds_read2_b32 v[93:94], v93 offset1:1
	s_waitcnt lgkmcnt(0)
	v_ashrrev_i32_e32 v93, s3, v93
	v_and_b32_e32 v95, 0x3030303, v93
	v_ashrrev_i32_e32 v93, s3, v94
	v_and_b32_e32 v96, 0x3030303, v93
	v_add_u32_e32 v93, 0x3188, v92
	ds_read2_b32 v[93:94], v93 offset1:1
	v_dot4_i32_i8 v95, v95, v5, 0
	v_dot4_i32_i8 v95, v96, v6, v95
	s_waitcnt lgkmcnt(0)
	v_ashrrev_i32_e32 v93, s3, v93
	v_and_b32_e32 v97, 0x3030303, v93
	v_ashrrev_i32_e32 v93, s3, v94
	v_and_b32_e32 v98, 0x3030303, v93
	v_add_u32_e32 v93, 0x3190, v92
	ds_read2_b32 v[93:94], v93 offset1:1
	v_add_u32_e32 v92, 0x3198, v92
	s_waitcnt lgkmcnt(0)
	v_ashrrev_i32_e32 v93, s3, v93
	v_and_b32_e32 v99, 0x3030303, v93
	v_ashrrev_i32_e32 v93, s3, v94
	v_and_b32_e32 v94, 0x3030303, v93
	ds_read2_b32 v[92:93], v92 offset1:1
	ds_read_b32 v101, v101
	ds_read_u16 v100, v100 offset:19952
	s_waitcnt lgkmcnt(2)
	v_ashrrev_i32_e32 v92, s3, v92
	s_waitcnt lgkmcnt(0)
	v_bfe_u32 v102, v100, 4, 4
	v_mul_lo_u32 v102, v102, s23
	v_and_b32_e32 v92, 0x3030303, v92
	v_ashrrev_i32_e32 v93, s3, v93
	v_and_b32_e32 v93, 0x3030303, v93
	v_dot4_i32_i8 v5, v102, v5, 0
	v_dot4_i32_i8 v5, v102, v6, v5
	;; [unrolled: 1-line block ×6, first 2 shown]
	v_and_b32_e32 v5, 15, v100
	v_mul_lo_u32 v5, v5, v6
	v_lshrrev_b32_sdwa v6, v80, v100 dst_sel:DWORD dst_unused:UNUSED_PAD src0_sel:DWORD src1_sel:BYTE_1
	v_mul_lo_u32 v6, v6, s23
	v_dot4_i32_i8 v8, v99, v1, 0
	s_add_i32 s3, s2, 2
	s_cmp_lt_u32 s2, 30
	v_dot4_i32_i8 v1, v6, v1, v7
	v_dot4_i32_i8 v7, v94, v2, v8
	;; [unrolled: 1-line block ×7, first 2 shown]
	v_and_b32_sdwa v1, v100, v81 dst_sel:DWORD dst_unused:UNUSED_PAD src0_sel:BYTE_1 src1_sel:DWORD
	v_mad_u64_u32 v[1:2], s[16:17], v1, v2, v[5:6]
	v_cvt_f32_f16_sdwa v2, v101 dst_sel:DWORD dst_unused:UNUSED_PAD src0_sel:WORD_1
	v_cvt_f32_i32_e32 v3, v3
	v_cvt_f32_i32_e32 v1, v1
	s_mov_b32 s2, s3
	v_mul_f32_e32 v2, v2, v3
	v_fma_mix_f32 v1, v101, v1, -v2 op_sel_hi:[1,0,0]
	v_fmac_f32_e32 v9, v91, v1
	s_cbranch_scc1 .LBB187_35
; %bb.36:                               ;   in Loop: Header=BB187_5 Depth=1
	s_barrier
	s_branch .LBB187_4
.LBB187_37:
	s_mul_i32 s0, s11, s8
	s_waitcnt vmcnt(0)
	v_cmp_gt_i32_e32 vcc, s0, v12
	s_and_saveexec_b64 s[0:1], vcc
	s_cbranch_execz .LBB187_46
; %bb.38:
	v_mul_lo_u32 v1, v12, s10
	v_add_u32_e32 v0, s18, v0
	v_cmp_gt_u32_e32 vcc, s10, v0
	s_and_saveexec_b64 s[0:1], vcc
	s_cbranch_execz .LBB187_40
; %bb.39:
	v_add_u32_e32 v2, v1, v0
	v_mov_b32_e32 v3, 0
	v_lshlrev_b64 v[2:3], 2, v[2:3]
	v_mov_b32_e32 v4, s13
	v_add_co_u32_e32 v2, vcc, s12, v2
	v_addc_co_u32_e32 v3, vcc, v4, v3, vcc
	global_store_dword v[2:3], v13, off
.LBB187_40:
	s_or_b64 exec, exec, s[0:1]
	v_add_u32_e32 v2, 32, v0
	v_cmp_gt_u32_e32 vcc, s10, v2
	s_and_saveexec_b64 s[0:1], vcc
	s_cbranch_execz .LBB187_42
; %bb.41:
	v_add_u32_e32 v2, v1, v2
	v_mov_b32_e32 v3, 0
	v_lshlrev_b64 v[2:3], 2, v[2:3]
	v_mov_b32_e32 v4, s13
	v_add_co_u32_e32 v2, vcc, s12, v2
	v_addc_co_u32_e32 v3, vcc, v4, v3, vcc
	global_store_dword v[2:3], v63, off
.LBB187_42:
	s_or_b64 exec, exec, s[0:1]
	;; [unrolled: 14-line block ×3, first 2 shown]
	v_add_u32_e32 v0, 0x60, v0
	v_cmp_gt_u32_e32 vcc, s10, v0
	s_and_b64 exec, exec, vcc
	s_cbranch_execz .LBB187_46
; %bb.45:
	v_add_u32_e32 v0, v1, v0
	v_mov_b32_e32 v1, 0
	v_lshlrev_b64 v[0:1], 2, v[0:1]
	v_mov_b32_e32 v2, s13
	v_add_co_u32_e32 v0, vcc, s12, v0
	v_addc_co_u32_e32 v1, vcc, v2, v1, vcc
	global_store_dword v[0:1], v9, off
.LBB187_46:
	s_endpgm
	.section	.rodata,"a",@progbits
	.p2align	6, 0x0
	.amdhsa_kernel _ZL8moe_q2_KIfLb0EEvPKvS1_PT_PKiS5_S5_iiiiiii
		.amdhsa_group_segment_fixed_size 23328
		.amdhsa_private_segment_fixed_size 0
		.amdhsa_kernarg_size 76
		.amdhsa_user_sgpr_count 6
		.amdhsa_user_sgpr_private_segment_buffer 1
		.amdhsa_user_sgpr_dispatch_ptr 0
		.amdhsa_user_sgpr_queue_ptr 0
		.amdhsa_user_sgpr_kernarg_segment_ptr 1
		.amdhsa_user_sgpr_dispatch_id 0
		.amdhsa_user_sgpr_flat_scratch_init 0
		.amdhsa_user_sgpr_private_segment_size 0
		.amdhsa_uses_dynamic_stack 0
		.amdhsa_system_sgpr_private_segment_wavefront_offset 0
		.amdhsa_system_sgpr_workgroup_id_x 1
		.amdhsa_system_sgpr_workgroup_id_y 1
		.amdhsa_system_sgpr_workgroup_id_z 0
		.amdhsa_system_sgpr_workgroup_info 0
		.amdhsa_system_vgpr_workitem_id 1
		.amdhsa_next_free_vgpr 109
		.amdhsa_next_free_sgpr 98
		.amdhsa_reserve_vcc 1
		.amdhsa_reserve_flat_scratch 0
		.amdhsa_float_round_mode_32 0
		.amdhsa_float_round_mode_16_64 0
		.amdhsa_float_denorm_mode_32 3
		.amdhsa_float_denorm_mode_16_64 3
		.amdhsa_dx10_clamp 1
		.amdhsa_ieee_mode 1
		.amdhsa_fp16_overflow 0
		.amdhsa_exception_fp_ieee_invalid_op 0
		.amdhsa_exception_fp_denorm_src 0
		.amdhsa_exception_fp_ieee_div_zero 0
		.amdhsa_exception_fp_ieee_overflow 0
		.amdhsa_exception_fp_ieee_underflow 0
		.amdhsa_exception_fp_ieee_inexact 0
		.amdhsa_exception_int_div_zero 0
	.end_amdhsa_kernel
	.section	.text._ZL8moe_q2_KIfLb0EEvPKvS1_PT_PKiS5_S5_iiiiiii,"axG",@progbits,_ZL8moe_q2_KIfLb0EEvPKvS1_PT_PKiS5_S5_iiiiiii,comdat
.Lfunc_end187:
	.size	_ZL8moe_q2_KIfLb0EEvPKvS1_PT_PKiS5_S5_iiiiiii, .Lfunc_end187-_ZL8moe_q2_KIfLb0EEvPKvS1_PT_PKiS5_S5_iiiiiii
                                        ; -- End function
	.set _ZL8moe_q2_KIfLb0EEvPKvS1_PT_PKiS5_S5_iiiiiii.num_vgpr, 109
	.set _ZL8moe_q2_KIfLb0EEvPKvS1_PT_PKiS5_S5_iiiiiii.num_agpr, 0
	.set _ZL8moe_q2_KIfLb0EEvPKvS1_PT_PKiS5_S5_iiiiiii.numbered_sgpr, 28
	.set _ZL8moe_q2_KIfLb0EEvPKvS1_PT_PKiS5_S5_iiiiiii.num_named_barrier, 0
	.set _ZL8moe_q2_KIfLb0EEvPKvS1_PT_PKiS5_S5_iiiiiii.private_seg_size, 0
	.set _ZL8moe_q2_KIfLb0EEvPKvS1_PT_PKiS5_S5_iiiiiii.uses_vcc, 1
	.set _ZL8moe_q2_KIfLb0EEvPKvS1_PT_PKiS5_S5_iiiiiii.uses_flat_scratch, 0
	.set _ZL8moe_q2_KIfLb0EEvPKvS1_PT_PKiS5_S5_iiiiiii.has_dyn_sized_stack, 0
	.set _ZL8moe_q2_KIfLb0EEvPKvS1_PT_PKiS5_S5_iiiiiii.has_recursion, 0
	.set _ZL8moe_q2_KIfLb0EEvPKvS1_PT_PKiS5_S5_iiiiiii.has_indirect_call, 0
	.section	.AMDGPU.csdata,"",@progbits
; Kernel info:
; codeLenInByte = 10216
; TotalNumSgprs: 32
; NumVgprs: 109
; ScratchSize: 0
; MemoryBound: 0
; FloatMode: 240
; IeeeMode: 1
; LDSByteSize: 23328 bytes/workgroup (compile time only)
; SGPRBlocks: 12
; VGPRBlocks: 27
; NumSGPRsForWavesPerEU: 102
; NumVGPRsForWavesPerEU: 109
; Occupancy: 2
; WaveLimiterHint : 1
; COMPUTE_PGM_RSRC2:SCRATCH_EN: 0
; COMPUTE_PGM_RSRC2:USER_SGPR: 6
; COMPUTE_PGM_RSRC2:TRAP_HANDLER: 0
; COMPUTE_PGM_RSRC2:TGID_X_EN: 1
; COMPUTE_PGM_RSRC2:TGID_Y_EN: 1
; COMPUTE_PGM_RSRC2:TGID_Z_EN: 0
; COMPUTE_PGM_RSRC2:TIDIG_COMP_CNT: 1
	.section	.text._ZL8moe_q2_KIfLb1EEvPKvS1_PT_PKiS5_S5_iiiiiii,"axG",@progbits,_ZL8moe_q2_KIfLb1EEvPKvS1_PT_PKiS5_S5_iiiiiii,comdat
	.globl	_ZL8moe_q2_KIfLb1EEvPKvS1_PT_PKiS5_S5_iiiiiii ; -- Begin function _ZL8moe_q2_KIfLb1EEvPKvS1_PT_PKiS5_S5_iiiiiii
	.p2align	8
	.type	_ZL8moe_q2_KIfLb1EEvPKvS1_PT_PKiS5_S5_iiiiiii,@function
_ZL8moe_q2_KIfLb1EEvPKvS1_PT_PKiS5_S5_iiiiiii: ; @_ZL8moe_q2_KIfLb1EEvPKvS1_PT_PKiS5_S5_iiiiiii
; %bb.0:
	s_load_dwordx4 s[0:3], s[4:5], 0x18
	s_mov_b32 s8, s7
	s_mov_b32 s9, 0
	s_lshl_b64 s[10:11], s[8:9], 2
	s_waitcnt lgkmcnt(0)
	s_add_u32 s2, s2, s10
	s_addc_u32 s3, s3, s11
	s_load_dword s2, s[2:3], 0x0
	s_waitcnt lgkmcnt(0)
	s_cmpk_gt_u32 s2, 0xff
	s_cbranch_scc1 .LBB188_46
; %bb.1:
	s_load_dwordx2 s[10:11], s[4:5], 0x28
	s_lshl_b32 s3, s8, 3
	s_waitcnt lgkmcnt(0)
	s_load_dword s7, s[10:11], 0x0
	s_waitcnt lgkmcnt(0)
	s_cmp_gt_u32 s3, s7
	s_cbranch_scc1 .LBB188_46
; %bb.2:
	v_add_u32_e32 v24, s3, v1
	v_mov_b32_e32 v25, 0
	v_lshlrev_b64 v[2:3], 2, v[24:25]
	v_mov_b32_e32 v4, s1
	v_add_co_u32_e32 v2, vcc, s0, v2
	v_addc_co_u32_e32 v3, vcc, v4, v3, vcc
	global_load_dword v28, v[2:3], off
	s_load_dwordx8 s[8:15], s[4:5], 0x30
	s_load_dwordx2 s[16:17], s[4:5], 0x10
	s_waitcnt lgkmcnt(0)
	s_lshl_b32 s15, s6, 7
	v_mov_b32_e32 v59, v25
	v_mov_b32_e32 v62, v25
	s_cmpk_lt_i32 s9, 0x100
	v_mov_b32_e32 v29, v25
	s_cbranch_scc1 .LBB188_37
; %bb.3:
	s_ashr_i32 s0, s9, 31
	s_lshr_b32 s0, s0, 24
	s_load_dwordx4 s[4:7], s[4:5], 0x0
	s_add_i32 s0, s9, s0
	s_ashr_i32 s20, s0, 8
	s_ashr_i32 s0, s12, 31
	s_lshr_b32 s0, s0, 27
	s_add_i32 s0, s12, s0
	s_mul_i32 s2, s2, s8
	s_ashr_i32 s12, s0, 5
	s_ashr_i32 s0, s2, 31
	s_waitcnt lgkmcnt(0)
	s_add_u32 s1, s4, s2
	s_mul_i32 s2, s20, s15
	s_addc_u32 s0, s5, s0
	s_mul_hi_i32 s3, s2, 0x54
	s_mulk_i32 s2, 0x54
	s_add_u32 s21, s1, s2
	s_addc_u32 s22, s0, s3
	s_not_b32 s0, s15
	s_add_i32 s2, s10, s0
	v_lshlrev_b32_e32 v2, 2, v0
	v_min_i32_e32 v3, s2, v1
	s_movk_i32 s3, 0x84
	v_mul_lo_u32 v32, v3, s20
	v_mad_u64_u32 v[9:10], s[0:1], v3, s3, v[2:3]
	v_add_u32_e32 v3, 8, v1
	v_min_i32_e32 v3, s2, v3
	v_mul_lo_u32 v33, v3, s20
	v_mad_u64_u32 v[10:11], s[0:1], v3, s3, v[2:3]
	v_add_u32_e32 v3, 16, v1
	v_min_i32_e32 v3, s2, v3
	;; [unrolled: 4-line block ×15, first 2 shown]
	v_mul_lo_u32 v47, v3, s20
	v_mad_u64_u32 v[24:25], s[0:1], v3, s3, v[2:3]
	v_lshlrev_b32_e32 v3, 4, v1
	v_lshrrev_b32_e32 v4, 1, v0
	v_add_u32_e32 v4, v4, v3
	v_and_b32_e32 v4, 0x7f, v4
	v_min_i32_e32 v4, s2, v4
	v_ashrrev_i32_e32 v5, 31, v4
	v_lshrrev_b32_e32 v5, 28, v5
	v_add_u32_e32 v5, v4, v5
	v_and_b32_e32 v48, 1, v0
	v_ashrrev_i32_e32 v5, 4, v5
	v_lshlrev_b32_e32 v5, 2, v5
	v_lshlrev_b32_e32 v6, 2, v48
	s_movk_i32 s0, 0x5280
	v_lshrrev_b32_e32 v50, 3, v0
	v_add3_u32 v5, v5, v6, s0
	v_lshl_add_u32 v6, v1, 2, v50
	v_add_u32_e32 v26, 32, v6
	v_min_i32_e32 v26, s2, v26
	v_ashrrev_i32_e32 v27, 31, v26
	v_lshrrev_b32_e32 v27, 30, v27
	v_min_i32_e32 v8, s2, v6
	v_mul_lo_u32 v54, v26, s20
	v_add_u32_e32 v27, v26, v27
	v_lshlrev_b32_e32 v62, 5, v26
	v_add_u32_e32 v26, 64, v6
	v_add_u32_e32 v6, 0x60, v6
	v_min_i32_e32 v26, s2, v26
	v_min_i32_e32 v6, s2, v6
	v_mov_b32_e32 v57, 0x56a0
	s_abs_i32 s2, s14
	v_lshl_add_u32 v57, v1, 7, v57
	v_cvt_f32_u32_e32 v1, s2
	v_and_b32_e32 v7, 7, v0
	v_cmp_lt_u32_e32 vcc, 3, v7
	v_lshlrev_b32_e32 v7, 2, v7
	v_rcp_iflag_f32_e32 v1, v1
	s_movk_i32 s0, 0x4200
	v_and_b32_e32 v27, -4, v27
	v_add3_u32 v59, v27, v7, s0
	v_ashrrev_i32_e32 v27, 31, v26
	v_lshrrev_b32_e32 v27, 30, v27
	v_ashrrev_i32_e32 v25, 31, v8
	v_mul_lo_u32 v55, v26, s20
	v_add_u32_e32 v27, v26, v27
	v_lshlrev_b32_e32 v78, 5, v26
	v_ashrrev_i32_e32 v26, 31, v6
	v_mul_f32_e32 v1, 0x4f7ffffe, v1
	v_lshrrev_b32_e32 v25, 30, v25
	v_lshrrev_b32_e32 v26, 30, v26
	v_cvt_u32_f32_e32 v1, v1
	v_add_u32_e32 v25, v8, v25
	v_add_u32_e32 v26, v6, v26
	v_and_b32_e32 v25, -4, v25
	v_and_b32_e32 v27, -4, v27
	;; [unrolled: 1-line block ×3, first 2 shown]
	v_add3_u32 v25, v25, v7, s0
	v_add3_u32 v77, v27, v7, s0
	;; [unrolled: 1-line block ×3, first 2 shown]
	v_and_b32_e32 v26, 31, v0
	s_sub_i32 s0, 0, s2
	v_lshl_add_u32 v58, v26, 2, v57
	v_mul_lo_u32 v26, s0, v1
	s_waitcnt vmcnt(0)
	v_sub_u32_e32 v63, 0, v28
	v_max_i32_e32 v66, v28, v63
	v_xor_b32_e32 v67, s14, v28
	v_mul_hi_u32 v26, v1, v26
	v_ashrrev_i32_e32 v67, 31, v67
	v_and_b32_e32 v27, 28, v2
	v_add_u32_e32 v60, 0x5aa0, v3
	v_add_u32_e32 v1, v1, v26
	v_mul_hi_u32 v1, v66, v1
	v_and_b32_e32 v31, 60, v2
	v_and_b32_e32 v52, 12, v2
	v_add_u32_e32 v61, v60, v2
	v_mul_lo_u32 v26, v1, s2
	v_mul_u32_u24_e32 v2, 33, v0
	v_add_u32_e32 v69, 0x60, v0
	v_mul_lo_u32 v49, v4, s20
	v_sub_u32_e32 v26, v66, v26
	v_add_u32_e32 v66, 1, v1
	v_cmp_le_u32_e64 s[0:1], s2, v26
	v_cndmask_b32_e64 v1, v1, v66, s[0:1]
	v_subrev_u32_e32 v66, s2, v26
	v_cndmask_b32_e64 v26, v26, v66, s[0:1]
	v_add_u32_e32 v66, 1, v1
	v_cmp_le_u32_e64 s[0:1], s2, v26
	v_cndmask_b32_e64 v1, v1, v66, s[0:1]
	v_xor_b32_e32 v1, v1, v67
	v_sub_u32_e32 v1, v1, v67
	v_cmp_gt_i32_e64 s[0:1], s11, v1
	v_mul_lo_u32 v66, v1, s12
	v_mov_b32_e32 v1, s7
	v_add_co_u32_e64 v26, s[2:3], s6, v27
	v_addc_co_u32_e64 v27, s[2:3], 0, v1, s[2:3]
	v_lshlrev_b32_e32 v67, 2, v2
	v_lshlrev_b32_e32 v1, 5, v0
	v_and_b32_e32 v2, 0x1fc, v69
	v_mul_lo_u32 v53, v8, s20
	v_mul_lo_u32 v56, v6, s20
	v_add_u32_e32 v72, 32, v0
	v_lshlrev_b32_e32 v87, 1, v69
	v_lshrrev_b32_e32 v86, 4, v69
	v_lshrrev_b32_e32 v65, 3, v69
	v_add_u32_e32 v69, v1, v2
	v_and_b32_e32 v2, 0xfc, v0
	v_add_u32_e32 v73, 64, v0
	v_add_u32_e32 v70, v1, v2
	v_and_b32_e32 v2, 0x1fc, v72
	v_lshlrev_b32_e32 v4, 3, v4
	v_cndmask_b32_e64 v51, 0, 1, vcc
	v_lshlrev_b32_e32 v8, 5, v8
	v_lshlrev_b32_e32 v6, 5, v6
	v_cmp_gt_u32_e32 vcc, 4, v0
	v_lshlrev_b32_e32 v3, 1, v0
	v_lshlrev_b32_e32 v83, 1, v72
	v_lshrrev_b32_e32 v82, 4, v72
	v_lshlrev_b32_e32 v85, 1, v73
	v_lshrrev_b32_e32 v84, 4, v73
	v_lshrrev_b32_e32 v63, 3, v72
	v_add_u32_e32 v72, v1, v2
	v_and_b32_e32 v2, 0x1fc, v73
	s_movk_i32 s8, 0x54
	v_lshrrev_b32_e32 v30, 4, v0
	s_mov_b32 s10, 0
	v_mov_b32_e32 v29, 0
	v_lshrrev_b32_e32 v64, 3, v73
	s_and_b64 s[4:5], vcc, s[0:1]
	v_ashrrev_i32_e32 v68, 31, v66
	v_add_u32_e32 v71, 0x4200, v70
	v_add_u32_e32 v73, v1, v2
	;; [unrolled: 1-line block ×7, first 2 shown]
	s_mov_b32 s23, 0x1010101
	v_lshlrev_b32_e32 v79, 2, v3
	v_mov_b32_e32 v80, 4
	v_mov_b32_e32 v81, 15
	v_lshlrev_b32_e32 v82, 2, v82
	v_lshlrev_b32_e32 v83, 2, v83
	;; [unrolled: 1-line block ×6, first 2 shown]
	v_mov_b32_e32 v62, 0
	v_mov_b32_e32 v59, 0
	;; [unrolled: 1-line block ×3, first 2 shown]
	s_branch .LBB188_5
.LBB188_4:                              ;   in Loop: Header=BB188_5 Depth=1
	s_add_i32 s10, s10, 2
	s_cmp_ge_i32 s10, s20
	s_cbranch_scc1 .LBB188_37
.LBB188_5:                              ; =>This Loop Header: Depth=1
                                        ;     Child Loop BB188_11 Depth 2
                                        ;     Child Loop BB188_19 Depth 2
	;; [unrolled: 1-line block ×4, first 2 shown]
	s_mul_i32 s2, s10, 0x54
	s_mul_hi_u32 s3, s10, 0x54
	s_add_u32 s2, s21, s2
	s_addc_u32 s3, s22, s3
	v_mov_b32_e32 v1, s2
	v_mov_b32_e32 v2, s3
	v_mad_u64_u32 v[3:4], s[2:3], v30, s8, v[1:2]
	s_lshl_b32 s24, s10, 8
	s_cmp_lt_i32 s24, s9
	v_mad_i64_i32 v[5:6], s[2:3], v32, s8, v[3:4]
	v_mad_i64_i32 v[7:8], s[2:3], v33, s8, v[3:4]
	v_add_co_u32_e64 v5, s[2:3], v5, v31
	v_addc_co_u32_e64 v6, s[2:3], 0, v6, s[2:3]
	v_add_co_u32_e64 v7, s[2:3], v7, v31
	v_addc_co_u32_e64 v8, s[2:3], 0, v8, s[2:3]
	v_mad_i64_i32 v[88:89], s[2:3], v34, s8, v[3:4]
	v_mad_i64_i32 v[90:91], s[2:3], v35, s8, v[3:4]
	v_add_co_u32_e64 v88, s[2:3], v88, v31
	v_addc_co_u32_e64 v89, s[2:3], 0, v89, s[2:3]
	v_add_co_u32_e64 v90, s[2:3], v90, v31
	v_addc_co_u32_e64 v91, s[2:3], 0, v91, s[2:3]
	;; [unrolled: 6-line block ×4, first 2 shown]
	global_load_dword v100, v[5:6], off offset:16
	global_load_dword v101, v[7:8], off offset:16
	;; [unrolled: 1-line block ×7, first 2 shown]
	s_nop 0
	global_load_dword v98, v[98:99], off offset:16
	v_mad_i64_i32 v[5:6], s[2:3], v40, s8, v[3:4]
	v_mad_i64_i32 v[7:8], s[2:3], v41, s8, v[3:4]
	v_add_co_u32_e64 v5, s[2:3], v5, v31
	v_addc_co_u32_e64 v6, s[2:3], 0, v6, s[2:3]
	v_add_co_u32_e64 v7, s[2:3], v7, v31
	v_addc_co_u32_e64 v8, s[2:3], 0, v8, s[2:3]
	v_mad_i64_i32 v[88:89], s[2:3], v42, s8, v[3:4]
	v_mad_i64_i32 v[90:91], s[2:3], v43, s8, v[3:4]
	v_add_co_u32_e64 v88, s[2:3], v88, v31
	v_addc_co_u32_e64 v89, s[2:3], 0, v89, s[2:3]
	v_add_co_u32_e64 v90, s[2:3], v90, v31
	v_addc_co_u32_e64 v91, s[2:3], 0, v91, s[2:3]
	;; [unrolled: 6-line block ×4, first 2 shown]
	global_load_dword v99, v[5:6], off offset:16
	global_load_dword v107, v[7:8], off offset:16
	;; [unrolled: 1-line block ×3, first 2 shown]
	s_nop 0
	global_load_dword v90, v[90:91], off offset:16
	s_nop 0
	global_load_dword v91, v[92:93], off offset:16
	;; [unrolled: 2-line block ×3, first 2 shown]
	global_load_dword v93, v[96:97], off offset:16
	s_nop 0
	global_load_dword v94, v[3:4], off offset:16
	v_mad_i64_i32 v[3:4], s[2:3], v49, s8, v[1:2]
	v_mad_u64_u32 v[1:2], s[2:3], v51, s8, v[1:2]
	v_mad_u64_u32 v[3:4], s[2:3], v48, s8, v[3:4]
	v_add_co_u32_e64 v1, s[2:3], v1, v52
	v_addc_co_u32_e64 v2, s[2:3], 0, v2, s[2:3]
	v_mad_i64_i32 v[5:6], s[2:3], v53, s8, v[1:2]
	v_mad_i64_i32 v[7:8], s[2:3], v54, s8, v[1:2]
	v_mad_i64_i32 v[88:89], s[2:3], v55, s8, v[1:2]
	v_mad_i64_i32 v[1:2], s[2:3], v56, s8, v[1:2]
	global_load_dword v3, v[3:4], off offset:80
	s_nop 0
	global_load_dword v4, v[5:6], off
	s_nop 0
	global_load_dword v5, v[7:8], off
	global_load_dword v6, v[88:89], off
	s_nop 0
	global_load_dword v1, v[1:2], off
	s_waitcnt vmcnt(20)
	ds_write_b32 v9, v100
	s_waitcnt vmcnt(19)
	ds_write_b32 v10, v101
	;; [unrolled: 2-line block ×21, first 2 shown]
	s_cbranch_scc0 .LBB188_4
; %bb.6:                                ;   in Loop: Header=BB188_5 Depth=1
	s_lshl_b32 s25, s10, 3
	v_add_u32_e32 v1, s25, v50
	v_cmp_gt_i32_e64 s[2:3], s12, v1
	s_and_b64 s[18:19], s[0:1], s[2:3]
	s_and_saveexec_b64 s[2:3], s[18:19]
	s_cbranch_execz .LBB188_8
; %bb.7:                                ;   in Loop: Header=BB188_5 Depth=1
	v_add_u32_e32 v1, v66, v1
	v_mad_i64_i32 v[1:2], s[18:19], v1, 36, v[26:27]
	global_load_dword v1, v[1:2], off offset:4
	s_waitcnt vmcnt(0)
	ds_write_b32 v58, v1
.LBB188_8:                              ;   in Loop: Header=BB188_5 Depth=1
	s_or_b64 exec, exec, s[2:3]
	v_add_u32_e32 v89, s25, v0
	v_cmp_gt_i32_e64 s[2:3], s12, v89
	s_and_b64 s[18:19], s[4:5], s[2:3]
	s_and_saveexec_b64 s[2:3], s[18:19]
	s_cbranch_execz .LBB188_10
; %bb.9:                                ;   in Loop: Header=BB188_5 Depth=1
	v_add_u32_e32 v1, v66, v89
	v_mad_i64_i32 v[1:2], s[18:19], v1, 36, s[6:7]
	global_load_dword v1, v[1:2], off
	s_waitcnt vmcnt(0)
	v_cvt_f32_f16_e32 v1, v1
	ds_write_b32 v61, v1
.LBB188_10:                             ;   in Loop: Header=BB188_5 Depth=1
	s_or_b64 exec, exec, s[2:3]
	s_mov_b32 s2, 0
	v_mov_b32_e32 v90, v60
	v_mov_b32_e32 v91, v57
	s_waitcnt lgkmcnt(0)
	s_barrier
.LBB188_11:                             ;   Parent Loop BB188_5 Depth=1
                                        ; =>  This Inner Loop Header: Depth=2
	s_and_b32 s18, s2, 0x3ffffff8
	v_lshl_add_u32 v93, s18, 2, v67
	ds_read_b32 v92, v90
	ds_read_b128 v[5:8], v91
	ds_read_b128 v[1:4], v91 offset:16
	ds_read2_b32 v[94:95], v93 offset1:1
	s_lshr_b32 s18, s2, 2
	s_and_b32 s18, s18, 0x3ffffffc
	s_and_b32 s3, s2, -16
	s_addk_i32 s18, 0x5280
	s_waitcnt lgkmcnt(0)
	v_ashrrev_i32_e32 v88, s2, v94
	v_and_b32_e32 v96, 0x3030303, v88
	v_ashrrev_i32_e32 v88, s2, v95
	ds_read2_b32 v[94:95], v93 offset0:2 offset1:3
	v_and_b32_e32 v97, 0x3030303, v88
	s_add_i32 s3, s2, s3
	v_dot4_i32_i8 v96, v96, v5, 0
	v_dot4_i32_i8 v96, v97, v6, v96
	s_waitcnt lgkmcnt(0)
	v_ashrrev_i32_e32 v88, s2, v94
	v_and_b32_e32 v98, 0x3030303, v88
	v_ashrrev_i32_e32 v88, s2, v95
	ds_read2_b32 v[94:95], v93 offset0:4 offset1:5
	v_and_b32_e32 v99, 0x3030303, v88
	v_dot4_i32_i8 v96, v98, v7, v96
	v_dot4_i32_i8 v96, v99, v8, v96
	v_add_u32_e32 v91, 32, v91
	s_waitcnt lgkmcnt(0)
	v_ashrrev_i32_e32 v88, s2, v94
	v_and_b32_e32 v100, 0x3030303, v88
	v_ashrrev_i32_e32 v88, s2, v95
	ds_read2_b32 v[94:95], v93 offset0:6 offset1:7
	v_and_b32_e32 v101, 0x3030303, v88
	v_dot4_i32_i8 v98, v100, v1, 0
	v_dot4_i32_i8 v98, v101, v2, v98
	v_add_u32_e32 v90, 4, v90
	s_waitcnt lgkmcnt(0)
	v_ashrrev_i32_e32 v88, s2, v94
	v_and_b32_e32 v102, 0x3030303, v88
	v_ashrrev_i32_e32 v88, s2, v95
	v_and_b32_e32 v95, 0x3030303, v88
	v_lshlrev_b32_e32 v88, 2, v30
	v_add3_u32 v103, s18, v88, v79
	v_add_u32_e32 v94, s3, v71
	ds_read_b32 v103, v103
	ds_read_u16 v104, v94
	v_dot4_i32_i8 v98, v102, v3, v98
	v_dot4_i32_i8 v95, v95, v4, v98
	s_waitcnt lgkmcnt(0)
	v_bfe_u32 v94, v104, 4, 4
	v_mul_lo_u32 v94, v94, s23
	v_dot4_i32_i8 v105, v94, v5, 0
	v_dot4_i32_i8 v97, v94, v6, v105
	;; [unrolled: 1-line block ×4, first 2 shown]
	v_and_b32_e32 v94, 15, v104
	v_mul_lo_u32 v94, v94, v96
	v_lshrrev_b32_sdwa v96, v80, v104 dst_sel:DWORD dst_unused:UNUSED_PAD src0_sel:DWORD src1_sel:BYTE_1
	v_mul_lo_u32 v96, v96, s23
	v_dot4_i32_i8 v97, v96, v1, v97
	v_dot4_i32_i8 v97, v96, v2, v97
	;; [unrolled: 1-line block ×4, first 2 shown]
	v_and_b32_sdwa v97, v104, v81 dst_sel:DWORD dst_unused:UNUSED_PAD src0_sel:BYTE_1 src1_sel:DWORD
	v_mad_u64_u32 v[94:95], s[26:27], v97, v95, v[94:95]
	v_cvt_f32_f16_sdwa v95, v103 dst_sel:DWORD dst_unused:UNUSED_PAD src0_sel:WORD_1
	v_cvt_f32_i32_e32 v96, v96
	v_cvt_f32_i32_e32 v94, v94
	v_mul_f32_e32 v95, v95, v96
	v_fma_mix_f32 v94, v103, v94, -v95 op_sel_hi:[1,0,0]
	v_fmac_f32_e32 v29, v92, v94
	v_add_u32_e32 v94, 0x1080, v93
	ds_read2_b32 v[94:95], v94 offset1:1
	v_add3_u32 v103, s18, v82, v83
	s_waitcnt lgkmcnt(0)
	v_ashrrev_i32_e32 v94, s2, v94
	v_and_b32_e32 v96, 0x3030303, v94
	v_ashrrev_i32_e32 v94, s2, v95
	v_and_b32_e32 v97, 0x3030303, v94
	v_add_u32_e32 v94, 0x1088, v93
	ds_read2_b32 v[94:95], v94 offset1:1
	v_dot4_i32_i8 v96, v96, v5, 0
	v_dot4_i32_i8 v96, v97, v6, v96
	s_waitcnt lgkmcnt(0)
	v_ashrrev_i32_e32 v94, s2, v94
	v_and_b32_e32 v98, 0x3030303, v94
	v_ashrrev_i32_e32 v94, s2, v95
	v_and_b32_e32 v99, 0x3030303, v94
	v_add_u32_e32 v94, 0x1090, v93
	ds_read2_b32 v[94:95], v94 offset1:1
	v_dot4_i32_i8 v96, v98, v7, v96
	v_dot4_i32_i8 v96, v99, v8, v96
	;; [unrolled: 9-line block ×3, first 2 shown]
	s_waitcnt lgkmcnt(0)
	v_ashrrev_i32_e32 v94, s2, v94
	v_and_b32_e32 v102, 0x3030303, v94
	v_ashrrev_i32_e32 v94, s2, v95
	v_and_b32_e32 v95, 0x3030303, v94
	v_add_u32_e32 v94, s3, v72
	ds_read_b32 v103, v103
	ds_read_u16 v104, v94 offset:17920
	v_dot4_i32_i8 v98, v102, v3, v98
	v_dot4_i32_i8 v95, v95, v4, v98
	s_waitcnt lgkmcnt(0)
	v_bfe_u32 v94, v104, 4, 4
	v_mul_lo_u32 v94, v94, s23
	v_dot4_i32_i8 v105, v94, v5, 0
	v_dot4_i32_i8 v97, v94, v6, v105
	;; [unrolled: 1-line block ×4, first 2 shown]
	v_and_b32_e32 v94, 15, v104
	v_mul_lo_u32 v94, v94, v96
	v_lshrrev_b32_sdwa v96, v80, v104 dst_sel:DWORD dst_unused:UNUSED_PAD src0_sel:DWORD src1_sel:BYTE_1
	v_mul_lo_u32 v96, v96, s23
	v_dot4_i32_i8 v97, v96, v1, v97
	v_dot4_i32_i8 v97, v96, v2, v97
	v_dot4_i32_i8 v97, v96, v3, v97
	v_dot4_i32_i8 v96, v96, v4, v97
	v_and_b32_sdwa v97, v104, v81 dst_sel:DWORD dst_unused:UNUSED_PAD src0_sel:BYTE_1 src1_sel:DWORD
	v_mad_u64_u32 v[94:95], s[26:27], v97, v95, v[94:95]
	v_cvt_f32_f16_sdwa v95, v103 dst_sel:DWORD dst_unused:UNUSED_PAD src0_sel:WORD_1
	v_cvt_f32_i32_e32 v96, v96
	v_cvt_f32_i32_e32 v94, v94
	v_mul_f32_e32 v95, v95, v96
	v_fma_mix_f32 v94, v103, v94, -v95 op_sel_hi:[1,0,0]
	v_fmac_f32_e32 v62, v92, v94
	v_add_u32_e32 v94, 0x2100, v93
	ds_read2_b32 v[94:95], v94 offset1:1
	v_add3_u32 v103, s18, v84, v85
	s_waitcnt lgkmcnt(0)
	v_ashrrev_i32_e32 v94, s2, v94
	v_and_b32_e32 v96, 0x3030303, v94
	v_ashrrev_i32_e32 v94, s2, v95
	v_and_b32_e32 v97, 0x3030303, v94
	v_add_u32_e32 v94, 0x2108, v93
	ds_read2_b32 v[94:95], v94 offset1:1
	v_dot4_i32_i8 v96, v96, v5, 0
	v_dot4_i32_i8 v96, v97, v6, v96
	s_waitcnt lgkmcnt(0)
	v_ashrrev_i32_e32 v94, s2, v94
	v_and_b32_e32 v98, 0x3030303, v94
	v_ashrrev_i32_e32 v94, s2, v95
	v_and_b32_e32 v99, 0x3030303, v94
	v_add_u32_e32 v94, 0x2110, v93
	ds_read2_b32 v[94:95], v94 offset1:1
	v_dot4_i32_i8 v96, v98, v7, v96
	v_dot4_i32_i8 v96, v99, v8, v96
	;; [unrolled: 9-line block ×3, first 2 shown]
	v_add_u32_e32 v101, s3, v69
	s_waitcnt lgkmcnt(0)
	v_ashrrev_i32_e32 v94, s2, v94
	v_and_b32_e32 v102, 0x3030303, v94
	v_ashrrev_i32_e32 v94, s2, v95
	v_and_b32_e32 v95, 0x3030303, v94
	v_add_u32_e32 v94, s3, v73
	ds_read_b32 v103, v103
	ds_read_u16 v104, v94 offset:18944
	v_dot4_i32_i8 v98, v102, v3, v98
	v_dot4_i32_i8 v95, v95, v4, v98
	v_add3_u32 v102, s18, v86, v87
	s_add_i32 s3, s2, 2
	s_waitcnt lgkmcnt(0)
	v_bfe_u32 v94, v104, 4, 4
	v_mul_lo_u32 v94, v94, s23
	s_cmp_lt_u32 s2, 6
	v_dot4_i32_i8 v105, v94, v5, 0
	v_dot4_i32_i8 v97, v94, v6, v105
	;; [unrolled: 1-line block ×4, first 2 shown]
	v_and_b32_e32 v94, 15, v104
	v_mul_lo_u32 v94, v94, v96
	v_lshrrev_b32_sdwa v96, v80, v104 dst_sel:DWORD dst_unused:UNUSED_PAD src0_sel:DWORD src1_sel:BYTE_1
	v_mul_lo_u32 v96, v96, s23
	v_dot4_i32_i8 v97, v96, v1, v97
	v_dot4_i32_i8 v97, v96, v2, v97
	;; [unrolled: 1-line block ×4, first 2 shown]
	v_and_b32_sdwa v97, v104, v81 dst_sel:DWORD dst_unused:UNUSED_PAD src0_sel:BYTE_1 src1_sel:DWORD
	v_mad_u64_u32 v[94:95], s[26:27], v97, v95, v[94:95]
	v_cvt_f32_f16_sdwa v95, v103 dst_sel:DWORD dst_unused:UNUSED_PAD src0_sel:WORD_1
	v_cvt_f32_i32_e32 v96, v96
	v_cvt_f32_i32_e32 v94, v94
	v_mul_f32_e32 v95, v95, v96
	v_fma_mix_f32 v94, v103, v94, -v95 op_sel_hi:[1,0,0]
	v_fmac_f32_e32 v59, v92, v94
	v_add_u32_e32 v94, 0x3180, v93
	ds_read2_b32 v[94:95], v94 offset1:1
	s_waitcnt lgkmcnt(0)
	v_ashrrev_i32_e32 v94, s2, v94
	v_and_b32_e32 v96, 0x3030303, v94
	v_ashrrev_i32_e32 v94, s2, v95
	v_and_b32_e32 v97, 0x3030303, v94
	v_add_u32_e32 v94, 0x3188, v93
	ds_read2_b32 v[94:95], v94 offset1:1
	v_dot4_i32_i8 v96, v96, v5, 0
	v_dot4_i32_i8 v96, v97, v6, v96
	s_waitcnt lgkmcnt(0)
	v_ashrrev_i32_e32 v94, s2, v94
	v_and_b32_e32 v98, 0x3030303, v94
	v_ashrrev_i32_e32 v94, s2, v95
	v_and_b32_e32 v99, 0x3030303, v94
	v_add_u32_e32 v94, 0x3190, v93
	ds_read2_b32 v[94:95], v94 offset1:1
	v_add_u32_e32 v93, 0x3198, v93
	s_waitcnt lgkmcnt(0)
	v_ashrrev_i32_e32 v94, s2, v94
	v_and_b32_e32 v100, 0x3030303, v94
	v_ashrrev_i32_e32 v94, s2, v95
	v_and_b32_e32 v95, 0x3030303, v94
	ds_read2_b32 v[93:94], v93 offset1:1
	ds_read_b32 v102, v102
	ds_read_u16 v101, v101 offset:19968
	s_waitcnt lgkmcnt(2)
	v_ashrrev_i32_e32 v93, s2, v93
	s_waitcnt lgkmcnt(0)
	v_bfe_u32 v103, v101, 4, 4
	v_mul_lo_u32 v103, v103, s23
	v_and_b32_e32 v93, 0x3030303, v93
	v_ashrrev_i32_e32 v94, s2, v94
	v_and_b32_e32 v94, 0x3030303, v94
	v_dot4_i32_i8 v5, v103, v5, 0
	v_dot4_i32_i8 v5, v103, v6, v5
	;; [unrolled: 1-line block ×6, first 2 shown]
	v_and_b32_e32 v5, 15, v101
	v_mul_lo_u32 v5, v5, v6
	v_lshrrev_b32_sdwa v6, v80, v101 dst_sel:DWORD dst_unused:UNUSED_PAD src0_sel:DWORD src1_sel:BYTE_1
	v_mul_lo_u32 v6, v6, s23
	v_dot4_i32_i8 v8, v100, v1, 0
	s_mov_b32 s2, s3
	v_dot4_i32_i8 v1, v6, v1, v7
	v_dot4_i32_i8 v7, v95, v2, v8
	;; [unrolled: 1-line block ×7, first 2 shown]
	v_and_b32_sdwa v1, v101, v81 dst_sel:DWORD dst_unused:UNUSED_PAD src0_sel:BYTE_1 src1_sel:DWORD
	v_mad_u64_u32 v[1:2], s[18:19], v1, v2, v[5:6]
	v_cvt_f32_f16_sdwa v2, v102 dst_sel:DWORD dst_unused:UNUSED_PAD src0_sel:WORD_1
	v_cvt_f32_i32_e32 v3, v3
	v_cvt_f32_i32_e32 v1, v1
	v_mul_f32_e32 v2, v2, v3
	v_fma_mix_f32 v1, v102, v1, -v2 op_sel_hi:[1,0,0]
	v_fmac_f32_e32 v25, v92, v1
	s_cbranch_scc1 .LBB188_11
; %bb.12:                               ;   in Loop: Header=BB188_5 Depth=1
	s_or_b32 s2, s24, 0x80
	s_cmp_ge_i32 s2, s9
	s_barrier
	s_cbranch_scc1 .LBB188_4
; %bb.13:                               ;   in Loop: Header=BB188_5 Depth=1
	v_add_u32_e32 v1, s25, v63
	v_cmp_gt_i32_e64 s[2:3], s12, v1
	s_and_b64 s[18:19], s[0:1], s[2:3]
	s_and_saveexec_b64 s[2:3], s[18:19]
	s_cbranch_execz .LBB188_15
; %bb.14:                               ;   in Loop: Header=BB188_5 Depth=1
	v_add_u32_e32 v1, v66, v1
	v_mad_i64_i32 v[1:2], s[18:19], v1, 36, v[26:27]
	global_load_dword v1, v[1:2], off offset:4
	s_waitcnt vmcnt(0)
	ds_write_b32 v58, v1
.LBB188_15:                             ;   in Loop: Header=BB188_5 Depth=1
	s_or_b64 exec, exec, s[2:3]
	s_and_saveexec_b64 s[18:19], vcc
	s_cbranch_execz .LBB188_18
; %bb.16:                               ;   in Loop: Header=BB188_5 Depth=1
	v_or_b32_e32 v1, 4, v89
	v_cmp_gt_i32_e64 s[2:3], s12, v1
	s_and_b64 s[2:3], s[0:1], s[2:3]
	s_and_b64 exec, exec, s[2:3]
	s_cbranch_execz .LBB188_18
; %bb.17:                               ;   in Loop: Header=BB188_5 Depth=1
	v_ashrrev_i32_e32 v1, 31, v89
	v_add_co_u32_e64 v2, s[2:3], v66, v89
	v_addc_co_u32_e64 v3, s[2:3], v68, v1, s[2:3]
	v_mad_u64_u32 v[1:2], s[2:3], v2, 36, s[6:7]
	v_mad_i32_i24 v2, v3, 36, v2
	global_load_dword v1, v[1:2], off offset:144
	s_waitcnt vmcnt(0)
	v_cvt_f32_f16_e32 v1, v1
	ds_write_b32 v61, v1
.LBB188_18:                             ;   in Loop: Header=BB188_5 Depth=1
	s_or_b64 exec, exec, s[18:19]
	s_mov_b32 s2, 8
	v_mov_b32_e32 v90, v57
	v_mov_b32_e32 v91, v60
	s_waitcnt lgkmcnt(0)
	s_barrier
.LBB188_19:                             ;   Parent Loop BB188_5 Depth=1
                                        ; =>  This Inner Loop Header: Depth=2
	s_and_b32 s19, s2, 0x3ffffff8
	v_lshl_add_u32 v93, s19, 2, v67
	ds_read_b32 v92, v91
	ds_read_b128 v[5:8], v90
	ds_read_b128 v[1:4], v90 offset:16
	ds_read2_b32 v[94:95], v93 offset1:1
	s_add_i32 s3, s2, -8
	s_lshr_b32 s19, s2, 2
	s_and_b32 s19, s19, 0x3ffffffc
	s_and_b32 s18, s2, -16
	s_waitcnt lgkmcnt(0)
	v_ashrrev_i32_e32 v94, s3, v94
	v_and_b32_e32 v96, 0x3030303, v94
	v_ashrrev_i32_e32 v94, s3, v95
	v_and_b32_e32 v97, 0x3030303, v94
	ds_read2_b32 v[94:95], v93 offset0:2 offset1:3
	s_addk_i32 s19, 0x5280
	s_add_i32 s18, s2, s18
	v_add3_u32 v103, s19, v88, v79
	v_dot4_i32_i8 v96, v96, v5, 0
	s_waitcnt lgkmcnt(0)
	v_ashrrev_i32_e32 v94, s3, v94
	v_and_b32_e32 v98, 0x3030303, v94
	v_ashrrev_i32_e32 v94, s3, v95
	v_and_b32_e32 v99, 0x3030303, v94
	ds_read2_b32 v[94:95], v93 offset0:4 offset1:5
	v_dot4_i32_i8 v96, v97, v6, v96
	v_dot4_i32_i8 v96, v98, v7, v96
	;; [unrolled: 1-line block ×3, first 2 shown]
	v_add_u32_e32 v91, 4, v91
	s_waitcnt lgkmcnt(0)
	v_ashrrev_i32_e32 v94, s3, v94
	v_and_b32_e32 v100, 0x3030303, v94
	v_ashrrev_i32_e32 v94, s3, v95
	v_and_b32_e32 v101, 0x3030303, v94
	ds_read2_b32 v[94:95], v93 offset0:6 offset1:7
	v_dot4_i32_i8 v98, v100, v1, 0
	v_dot4_i32_i8 v98, v101, v2, v98
	v_add_u32_e32 v90, 32, v90
	s_waitcnt lgkmcnt(0)
	v_ashrrev_i32_e32 v94, s3, v94
	v_and_b32_e32 v102, 0x3030303, v94
	v_ashrrev_i32_e32 v94, s3, v95
	v_and_b32_e32 v95, 0x3030303, v94
	v_add_u32_e32 v94, s18, v70
	ds_read_b32 v103, v103
	ds_read_u16 v104, v94 offset:16896
	v_dot4_i32_i8 v98, v102, v3, v98
	v_dot4_i32_i8 v95, v95, v4, v98
	s_waitcnt lgkmcnt(0)
	v_bfe_u32 v94, v104, 4, 4
	v_mul_lo_u32 v94, v94, s23
	v_dot4_i32_i8 v105, v94, v5, 0
	v_dot4_i32_i8 v97, v94, v6, v105
	;; [unrolled: 1-line block ×4, first 2 shown]
	v_and_b32_e32 v94, 15, v104
	v_mul_lo_u32 v94, v94, v96
	v_lshrrev_b32_sdwa v96, v80, v104 dst_sel:DWORD dst_unused:UNUSED_PAD src0_sel:DWORD src1_sel:BYTE_1
	v_mul_lo_u32 v96, v96, s23
	v_dot4_i32_i8 v97, v96, v1, v97
	v_dot4_i32_i8 v97, v96, v2, v97
	;; [unrolled: 1-line block ×4, first 2 shown]
	v_and_b32_sdwa v97, v104, v81 dst_sel:DWORD dst_unused:UNUSED_PAD src0_sel:BYTE_1 src1_sel:DWORD
	v_mad_u64_u32 v[94:95], s[26:27], v97, v95, v[94:95]
	v_cvt_f32_f16_sdwa v95, v103 dst_sel:DWORD dst_unused:UNUSED_PAD src0_sel:WORD_1
	v_cvt_f32_i32_e32 v96, v96
	v_cvt_f32_i32_e32 v94, v94
	v_mul_f32_e32 v95, v95, v96
	v_fma_mix_f32 v94, v103, v94, -v95 op_sel_hi:[1,0,0]
	v_fmac_f32_e32 v29, v92, v94
	v_add_u32_e32 v94, 0x1080, v93
	ds_read2_b32 v[94:95], v94 offset1:1
	v_add3_u32 v103, s19, v82, v83
	s_waitcnt lgkmcnt(0)
	v_ashrrev_i32_e32 v94, s3, v94
	v_and_b32_e32 v96, 0x3030303, v94
	v_ashrrev_i32_e32 v94, s3, v95
	v_and_b32_e32 v97, 0x3030303, v94
	v_add_u32_e32 v94, 0x1088, v93
	ds_read2_b32 v[94:95], v94 offset1:1
	v_dot4_i32_i8 v96, v96, v5, 0
	v_dot4_i32_i8 v96, v97, v6, v96
	s_waitcnt lgkmcnt(0)
	v_ashrrev_i32_e32 v94, s3, v94
	v_and_b32_e32 v98, 0x3030303, v94
	v_ashrrev_i32_e32 v94, s3, v95
	v_and_b32_e32 v99, 0x3030303, v94
	v_add_u32_e32 v94, 0x1090, v93
	ds_read2_b32 v[94:95], v94 offset1:1
	v_dot4_i32_i8 v96, v98, v7, v96
	v_dot4_i32_i8 v96, v99, v8, v96
	;; [unrolled: 9-line block ×3, first 2 shown]
	s_waitcnt lgkmcnt(0)
	v_ashrrev_i32_e32 v94, s3, v94
	v_and_b32_e32 v102, 0x3030303, v94
	v_ashrrev_i32_e32 v94, s3, v95
	v_and_b32_e32 v95, 0x3030303, v94
	v_add_u32_e32 v94, s18, v72
	ds_read_b32 v103, v103
	ds_read_u16 v104, v94 offset:17920
	v_dot4_i32_i8 v98, v102, v3, v98
	v_dot4_i32_i8 v95, v95, v4, v98
	s_waitcnt lgkmcnt(0)
	v_bfe_u32 v94, v104, 4, 4
	v_mul_lo_u32 v94, v94, s23
	v_dot4_i32_i8 v105, v94, v5, 0
	v_dot4_i32_i8 v97, v94, v6, v105
	;; [unrolled: 1-line block ×4, first 2 shown]
	v_and_b32_e32 v94, 15, v104
	v_mul_lo_u32 v94, v94, v96
	v_lshrrev_b32_sdwa v96, v80, v104 dst_sel:DWORD dst_unused:UNUSED_PAD src0_sel:DWORD src1_sel:BYTE_1
	v_mul_lo_u32 v96, v96, s23
	v_dot4_i32_i8 v97, v96, v1, v97
	v_dot4_i32_i8 v97, v96, v2, v97
	;; [unrolled: 1-line block ×4, first 2 shown]
	v_and_b32_sdwa v97, v104, v81 dst_sel:DWORD dst_unused:UNUSED_PAD src0_sel:BYTE_1 src1_sel:DWORD
	v_mad_u64_u32 v[94:95], s[26:27], v97, v95, v[94:95]
	v_cvt_f32_f16_sdwa v95, v103 dst_sel:DWORD dst_unused:UNUSED_PAD src0_sel:WORD_1
	v_cvt_f32_i32_e32 v96, v96
	v_cvt_f32_i32_e32 v94, v94
	v_mul_f32_e32 v95, v95, v96
	v_fma_mix_f32 v94, v103, v94, -v95 op_sel_hi:[1,0,0]
	v_fmac_f32_e32 v62, v92, v94
	v_add_u32_e32 v94, 0x2100, v93
	ds_read2_b32 v[94:95], v94 offset1:1
	v_add3_u32 v103, s19, v84, v85
	s_waitcnt lgkmcnt(0)
	v_ashrrev_i32_e32 v94, s3, v94
	v_and_b32_e32 v96, 0x3030303, v94
	v_ashrrev_i32_e32 v94, s3, v95
	v_and_b32_e32 v97, 0x3030303, v94
	v_add_u32_e32 v94, 0x2108, v93
	ds_read2_b32 v[94:95], v94 offset1:1
	v_dot4_i32_i8 v96, v96, v5, 0
	v_dot4_i32_i8 v96, v97, v6, v96
	s_waitcnt lgkmcnt(0)
	v_ashrrev_i32_e32 v94, s3, v94
	v_and_b32_e32 v98, 0x3030303, v94
	v_ashrrev_i32_e32 v94, s3, v95
	v_and_b32_e32 v99, 0x3030303, v94
	v_add_u32_e32 v94, 0x2110, v93
	ds_read2_b32 v[94:95], v94 offset1:1
	v_dot4_i32_i8 v96, v98, v7, v96
	v_dot4_i32_i8 v96, v99, v8, v96
	;; [unrolled: 9-line block ×3, first 2 shown]
	v_add_u32_e32 v101, s18, v69
	s_waitcnt lgkmcnt(0)
	v_ashrrev_i32_e32 v94, s3, v94
	v_and_b32_e32 v102, 0x3030303, v94
	v_ashrrev_i32_e32 v94, s3, v95
	v_and_b32_e32 v95, 0x3030303, v94
	v_add_u32_e32 v94, s18, v73
	ds_read_b32 v103, v103
	ds_read_u16 v104, v94 offset:18944
	v_dot4_i32_i8 v98, v102, v3, v98
	v_dot4_i32_i8 v95, v95, v4, v98
	v_add3_u32 v102, s19, v86, v87
	s_waitcnt lgkmcnt(0)
	v_bfe_u32 v94, v104, 4, 4
	v_mul_lo_u32 v94, v94, s23
	v_dot4_i32_i8 v105, v94, v5, 0
	v_dot4_i32_i8 v97, v94, v6, v105
	;; [unrolled: 1-line block ×4, first 2 shown]
	v_and_b32_e32 v94, 15, v104
	v_mul_lo_u32 v94, v94, v96
	v_lshrrev_b32_sdwa v96, v80, v104 dst_sel:DWORD dst_unused:UNUSED_PAD src0_sel:DWORD src1_sel:BYTE_1
	v_mul_lo_u32 v96, v96, s23
	v_dot4_i32_i8 v97, v96, v1, v97
	v_dot4_i32_i8 v97, v96, v2, v97
	;; [unrolled: 1-line block ×4, first 2 shown]
	v_and_b32_sdwa v97, v104, v81 dst_sel:DWORD dst_unused:UNUSED_PAD src0_sel:BYTE_1 src1_sel:DWORD
	v_mad_u64_u32 v[94:95], s[26:27], v97, v95, v[94:95]
	v_cvt_f32_f16_sdwa v95, v103 dst_sel:DWORD dst_unused:UNUSED_PAD src0_sel:WORD_1
	v_cvt_f32_i32_e32 v96, v96
	v_cvt_f32_i32_e32 v94, v94
	v_mul_f32_e32 v95, v95, v96
	v_fma_mix_f32 v94, v103, v94, -v95 op_sel_hi:[1,0,0]
	v_fmac_f32_e32 v59, v92, v94
	v_add_u32_e32 v94, 0x3180, v93
	ds_read2_b32 v[94:95], v94 offset1:1
	s_waitcnt lgkmcnt(0)
	v_ashrrev_i32_e32 v94, s3, v94
	v_and_b32_e32 v96, 0x3030303, v94
	v_ashrrev_i32_e32 v94, s3, v95
	v_and_b32_e32 v97, 0x3030303, v94
	v_add_u32_e32 v94, 0x3188, v93
	ds_read2_b32 v[94:95], v94 offset1:1
	v_dot4_i32_i8 v96, v96, v5, 0
	v_dot4_i32_i8 v96, v97, v6, v96
	s_waitcnt lgkmcnt(0)
	v_ashrrev_i32_e32 v94, s3, v94
	v_and_b32_e32 v98, 0x3030303, v94
	v_ashrrev_i32_e32 v94, s3, v95
	v_and_b32_e32 v99, 0x3030303, v94
	v_add_u32_e32 v94, 0x3190, v93
	ds_read2_b32 v[94:95], v94 offset1:1
	v_add_u32_e32 v93, 0x3198, v93
	s_waitcnt lgkmcnt(0)
	v_ashrrev_i32_e32 v94, s3, v94
	v_and_b32_e32 v100, 0x3030303, v94
	v_ashrrev_i32_e32 v94, s3, v95
	v_and_b32_e32 v95, 0x3030303, v94
	ds_read2_b32 v[93:94], v93 offset1:1
	ds_read_b32 v102, v102
	ds_read_u16 v101, v101 offset:19968
	s_waitcnt lgkmcnt(2)
	v_ashrrev_i32_e32 v93, s3, v93
	s_waitcnt lgkmcnt(0)
	v_bfe_u32 v103, v101, 4, 4
	v_mul_lo_u32 v103, v103, s23
	v_and_b32_e32 v93, 0x3030303, v93
	v_ashrrev_i32_e32 v94, s3, v94
	v_and_b32_e32 v94, 0x3030303, v94
	v_dot4_i32_i8 v5, v103, v5, 0
	v_dot4_i32_i8 v5, v103, v6, v5
	;; [unrolled: 1-line block ×6, first 2 shown]
	v_and_b32_e32 v5, 15, v101
	v_mul_lo_u32 v5, v5, v6
	v_lshrrev_b32_sdwa v6, v80, v101 dst_sel:DWORD dst_unused:UNUSED_PAD src0_sel:DWORD src1_sel:BYTE_1
	v_mul_lo_u32 v6, v6, s23
	v_dot4_i32_i8 v8, v100, v1, 0
	s_add_i32 s3, s2, 2
	s_cmp_lt_u32 s2, 14
	v_dot4_i32_i8 v1, v6, v1, v7
	v_dot4_i32_i8 v7, v95, v2, v8
	;; [unrolled: 1-line block ×7, first 2 shown]
	v_and_b32_sdwa v1, v101, v81 dst_sel:DWORD dst_unused:UNUSED_PAD src0_sel:BYTE_1 src1_sel:DWORD
	v_mad_u64_u32 v[1:2], s[18:19], v1, v2, v[5:6]
	v_cvt_f32_f16_sdwa v2, v102 dst_sel:DWORD dst_unused:UNUSED_PAD src0_sel:WORD_1
	v_cvt_f32_i32_e32 v3, v3
	v_cvt_f32_i32_e32 v1, v1
	s_mov_b32 s2, s3
	v_mul_f32_e32 v2, v2, v3
	v_fma_mix_f32 v1, v102, v1, -v2 op_sel_hi:[1,0,0]
	v_fmac_f32_e32 v25, v92, v1
	s_cbranch_scc1 .LBB188_19
; %bb.20:                               ;   in Loop: Header=BB188_5 Depth=1
	s_or_b32 s2, s24, 0x100
	s_cmp_ge_i32 s2, s9
	s_barrier
	s_cbranch_scc1 .LBB188_4
; %bb.21:                               ;   in Loop: Header=BB188_5 Depth=1
	v_add_u32_e32 v1, s25, v64
	v_cmp_gt_i32_e64 s[2:3], s12, v1
	s_and_b64 s[18:19], s[0:1], s[2:3]
	s_and_saveexec_b64 s[2:3], s[18:19]
	s_cbranch_execz .LBB188_23
; %bb.22:                               ;   in Loop: Header=BB188_5 Depth=1
	v_add_u32_e32 v1, v66, v1
	v_mad_i64_i32 v[1:2], s[18:19], v1, 36, v[26:27]
	global_load_dword v1, v[1:2], off offset:4
	s_waitcnt vmcnt(0)
	ds_write_b32 v58, v1
.LBB188_23:                             ;   in Loop: Header=BB188_5 Depth=1
	s_or_b64 exec, exec, s[2:3]
	s_and_saveexec_b64 s[18:19], vcc
	s_cbranch_execz .LBB188_26
; %bb.24:                               ;   in Loop: Header=BB188_5 Depth=1
	v_or_b32_e32 v1, 8, v89
	v_cmp_gt_i32_e64 s[2:3], s12, v1
	s_and_b64 s[2:3], s[0:1], s[2:3]
	s_and_b64 exec, exec, s[2:3]
	s_cbranch_execz .LBB188_26
; %bb.25:                               ;   in Loop: Header=BB188_5 Depth=1
	v_ashrrev_i32_e32 v1, 31, v89
	v_add_co_u32_e64 v2, s[2:3], v66, v89
	v_addc_co_u32_e64 v3, s[2:3], v68, v1, s[2:3]
	v_mad_u64_u32 v[1:2], s[2:3], v2, 36, s[6:7]
	v_mad_i32_i24 v2, v3, 36, v2
	global_load_dword v1, v[1:2], off offset:288
	s_waitcnt vmcnt(0)
	v_cvt_f32_f16_e32 v1, v1
	ds_write_b32 v61, v1
.LBB188_26:                             ;   in Loop: Header=BB188_5 Depth=1
	s_or_b64 exec, exec, s[18:19]
	s_mov_b32 s2, 16
	v_mov_b32_e32 v90, v57
	v_mov_b32_e32 v91, v60
	s_waitcnt lgkmcnt(0)
	s_barrier
.LBB188_27:                             ;   Parent Loop BB188_5 Depth=1
                                        ; =>  This Inner Loop Header: Depth=2
	s_and_b32 s19, s2, 0x3ffffff8
	v_lshl_add_u32 v93, s19, 2, v67
	ds_read_b32 v92, v91
	ds_read_b128 v[5:8], v90
	ds_read_b128 v[1:4], v90 offset:16
	ds_read2_b32 v[94:95], v93 offset1:1
	s_add_i32 s3, s2, -16
	s_lshr_b32 s19, s2, 2
	s_and_b32 s19, s19, 0x3ffffffc
	s_and_b32 s18, s2, -16
	s_waitcnt lgkmcnt(0)
	v_ashrrev_i32_e32 v94, s3, v94
	v_and_b32_e32 v96, 0x3030303, v94
	v_ashrrev_i32_e32 v94, s3, v95
	v_and_b32_e32 v97, 0x3030303, v94
	ds_read2_b32 v[94:95], v93 offset0:2 offset1:3
	s_addk_i32 s19, 0x5280
	s_add_i32 s18, s2, s18
	v_add3_u32 v103, s19, v88, v79
	v_dot4_i32_i8 v96, v96, v5, 0
	s_waitcnt lgkmcnt(0)
	v_ashrrev_i32_e32 v94, s3, v94
	v_and_b32_e32 v98, 0x3030303, v94
	v_ashrrev_i32_e32 v94, s3, v95
	v_and_b32_e32 v99, 0x3030303, v94
	ds_read2_b32 v[94:95], v93 offset0:4 offset1:5
	v_dot4_i32_i8 v96, v97, v6, v96
	v_dot4_i32_i8 v96, v98, v7, v96
	;; [unrolled: 1-line block ×3, first 2 shown]
	v_add_u32_e32 v91, 4, v91
	s_waitcnt lgkmcnt(0)
	v_ashrrev_i32_e32 v94, s3, v94
	v_and_b32_e32 v100, 0x3030303, v94
	v_ashrrev_i32_e32 v94, s3, v95
	v_and_b32_e32 v101, 0x3030303, v94
	ds_read2_b32 v[94:95], v93 offset0:6 offset1:7
	v_dot4_i32_i8 v98, v100, v1, 0
	v_dot4_i32_i8 v98, v101, v2, v98
	v_add_u32_e32 v90, 32, v90
	s_waitcnt lgkmcnt(0)
	v_ashrrev_i32_e32 v94, s3, v94
	v_and_b32_e32 v102, 0x3030303, v94
	v_ashrrev_i32_e32 v94, s3, v95
	v_and_b32_e32 v95, 0x3030303, v94
	v_add_u32_e32 v94, s18, v70
	ds_read_b32 v103, v103
	ds_read_u16 v104, v94 offset:16880
	v_dot4_i32_i8 v98, v102, v3, v98
	v_dot4_i32_i8 v95, v95, v4, v98
	s_waitcnt lgkmcnt(0)
	v_bfe_u32 v94, v104, 4, 4
	v_mul_lo_u32 v94, v94, s23
	v_dot4_i32_i8 v105, v94, v5, 0
	v_dot4_i32_i8 v97, v94, v6, v105
	;; [unrolled: 1-line block ×4, first 2 shown]
	v_and_b32_e32 v94, 15, v104
	v_mul_lo_u32 v94, v94, v96
	v_lshrrev_b32_sdwa v96, v80, v104 dst_sel:DWORD dst_unused:UNUSED_PAD src0_sel:DWORD src1_sel:BYTE_1
	v_mul_lo_u32 v96, v96, s23
	v_dot4_i32_i8 v97, v96, v1, v97
	v_dot4_i32_i8 v97, v96, v2, v97
	;; [unrolled: 1-line block ×4, first 2 shown]
	v_and_b32_sdwa v97, v104, v81 dst_sel:DWORD dst_unused:UNUSED_PAD src0_sel:BYTE_1 src1_sel:DWORD
	v_mad_u64_u32 v[94:95], s[26:27], v97, v95, v[94:95]
	v_cvt_f32_f16_sdwa v95, v103 dst_sel:DWORD dst_unused:UNUSED_PAD src0_sel:WORD_1
	v_cvt_f32_i32_e32 v96, v96
	v_cvt_f32_i32_e32 v94, v94
	v_mul_f32_e32 v95, v95, v96
	v_fma_mix_f32 v94, v103, v94, -v95 op_sel_hi:[1,0,0]
	v_fmac_f32_e32 v29, v92, v94
	v_add_u32_e32 v94, 0x1080, v93
	ds_read2_b32 v[94:95], v94 offset1:1
	v_add3_u32 v103, s19, v82, v83
	s_waitcnt lgkmcnt(0)
	v_ashrrev_i32_e32 v94, s3, v94
	v_and_b32_e32 v96, 0x3030303, v94
	v_ashrrev_i32_e32 v94, s3, v95
	v_and_b32_e32 v97, 0x3030303, v94
	v_add_u32_e32 v94, 0x1088, v93
	ds_read2_b32 v[94:95], v94 offset1:1
	v_dot4_i32_i8 v96, v96, v5, 0
	v_dot4_i32_i8 v96, v97, v6, v96
	s_waitcnt lgkmcnt(0)
	v_ashrrev_i32_e32 v94, s3, v94
	v_and_b32_e32 v98, 0x3030303, v94
	v_ashrrev_i32_e32 v94, s3, v95
	v_and_b32_e32 v99, 0x3030303, v94
	v_add_u32_e32 v94, 0x1090, v93
	ds_read2_b32 v[94:95], v94 offset1:1
	v_dot4_i32_i8 v96, v98, v7, v96
	v_dot4_i32_i8 v96, v99, v8, v96
	s_waitcnt lgkmcnt(0)
	v_ashrrev_i32_e32 v94, s3, v94
	v_and_b32_e32 v100, 0x3030303, v94
	v_ashrrev_i32_e32 v94, s3, v95
	v_and_b32_e32 v101, 0x3030303, v94
	v_add_u32_e32 v94, 0x1098, v93
	ds_read2_b32 v[94:95], v94 offset1:1
	v_dot4_i32_i8 v98, v100, v1, 0
	v_dot4_i32_i8 v98, v101, v2, v98
	s_waitcnt lgkmcnt(0)
	v_ashrrev_i32_e32 v94, s3, v94
	v_and_b32_e32 v102, 0x3030303, v94
	v_ashrrev_i32_e32 v94, s3, v95
	v_and_b32_e32 v95, 0x3030303, v94
	v_add_u32_e32 v94, s18, v72
	ds_read_b32 v103, v103
	ds_read_u16 v104, v94 offset:17904
	v_dot4_i32_i8 v98, v102, v3, v98
	v_dot4_i32_i8 v95, v95, v4, v98
	s_waitcnt lgkmcnt(0)
	v_bfe_u32 v94, v104, 4, 4
	v_mul_lo_u32 v94, v94, s23
	v_dot4_i32_i8 v105, v94, v5, 0
	v_dot4_i32_i8 v97, v94, v6, v105
	;; [unrolled: 1-line block ×4, first 2 shown]
	v_and_b32_e32 v94, 15, v104
	v_mul_lo_u32 v94, v94, v96
	v_lshrrev_b32_sdwa v96, v80, v104 dst_sel:DWORD dst_unused:UNUSED_PAD src0_sel:DWORD src1_sel:BYTE_1
	v_mul_lo_u32 v96, v96, s23
	v_dot4_i32_i8 v97, v96, v1, v97
	v_dot4_i32_i8 v97, v96, v2, v97
	;; [unrolled: 1-line block ×4, first 2 shown]
	v_and_b32_sdwa v97, v104, v81 dst_sel:DWORD dst_unused:UNUSED_PAD src0_sel:BYTE_1 src1_sel:DWORD
	v_mad_u64_u32 v[94:95], s[26:27], v97, v95, v[94:95]
	v_cvt_f32_f16_sdwa v95, v103 dst_sel:DWORD dst_unused:UNUSED_PAD src0_sel:WORD_1
	v_cvt_f32_i32_e32 v96, v96
	v_cvt_f32_i32_e32 v94, v94
	v_mul_f32_e32 v95, v95, v96
	v_fma_mix_f32 v94, v103, v94, -v95 op_sel_hi:[1,0,0]
	v_fmac_f32_e32 v62, v92, v94
	v_add_u32_e32 v94, 0x2100, v93
	ds_read2_b32 v[94:95], v94 offset1:1
	v_add3_u32 v103, s19, v84, v85
	s_waitcnt lgkmcnt(0)
	v_ashrrev_i32_e32 v94, s3, v94
	v_and_b32_e32 v96, 0x3030303, v94
	v_ashrrev_i32_e32 v94, s3, v95
	v_and_b32_e32 v97, 0x3030303, v94
	v_add_u32_e32 v94, 0x2108, v93
	ds_read2_b32 v[94:95], v94 offset1:1
	v_dot4_i32_i8 v96, v96, v5, 0
	v_dot4_i32_i8 v96, v97, v6, v96
	s_waitcnt lgkmcnt(0)
	v_ashrrev_i32_e32 v94, s3, v94
	v_and_b32_e32 v98, 0x3030303, v94
	v_ashrrev_i32_e32 v94, s3, v95
	v_and_b32_e32 v99, 0x3030303, v94
	v_add_u32_e32 v94, 0x2110, v93
	ds_read2_b32 v[94:95], v94 offset1:1
	v_dot4_i32_i8 v96, v98, v7, v96
	v_dot4_i32_i8 v96, v99, v8, v96
	;; [unrolled: 9-line block ×3, first 2 shown]
	v_add_u32_e32 v101, s18, v69
	s_waitcnt lgkmcnt(0)
	v_ashrrev_i32_e32 v94, s3, v94
	v_and_b32_e32 v102, 0x3030303, v94
	v_ashrrev_i32_e32 v94, s3, v95
	v_and_b32_e32 v95, 0x3030303, v94
	v_add_u32_e32 v94, s18, v73
	ds_read_b32 v103, v103
	ds_read_u16 v104, v94 offset:18928
	v_dot4_i32_i8 v98, v102, v3, v98
	v_dot4_i32_i8 v95, v95, v4, v98
	v_add3_u32 v102, s19, v86, v87
	s_waitcnt lgkmcnt(0)
	v_bfe_u32 v94, v104, 4, 4
	v_mul_lo_u32 v94, v94, s23
	v_dot4_i32_i8 v105, v94, v5, 0
	v_dot4_i32_i8 v97, v94, v6, v105
	;; [unrolled: 1-line block ×4, first 2 shown]
	v_and_b32_e32 v94, 15, v104
	v_mul_lo_u32 v94, v94, v96
	v_lshrrev_b32_sdwa v96, v80, v104 dst_sel:DWORD dst_unused:UNUSED_PAD src0_sel:DWORD src1_sel:BYTE_1
	v_mul_lo_u32 v96, v96, s23
	v_dot4_i32_i8 v97, v96, v1, v97
	v_dot4_i32_i8 v97, v96, v2, v97
	v_dot4_i32_i8 v97, v96, v3, v97
	v_dot4_i32_i8 v96, v96, v4, v97
	v_and_b32_sdwa v97, v104, v81 dst_sel:DWORD dst_unused:UNUSED_PAD src0_sel:BYTE_1 src1_sel:DWORD
	v_mad_u64_u32 v[94:95], s[26:27], v97, v95, v[94:95]
	v_cvt_f32_f16_sdwa v95, v103 dst_sel:DWORD dst_unused:UNUSED_PAD src0_sel:WORD_1
	v_cvt_f32_i32_e32 v96, v96
	v_cvt_f32_i32_e32 v94, v94
	v_mul_f32_e32 v95, v95, v96
	v_fma_mix_f32 v94, v103, v94, -v95 op_sel_hi:[1,0,0]
	v_fmac_f32_e32 v59, v92, v94
	v_add_u32_e32 v94, 0x3180, v93
	ds_read2_b32 v[94:95], v94 offset1:1
	s_waitcnt lgkmcnt(0)
	v_ashrrev_i32_e32 v94, s3, v94
	v_and_b32_e32 v96, 0x3030303, v94
	v_ashrrev_i32_e32 v94, s3, v95
	v_and_b32_e32 v97, 0x3030303, v94
	v_add_u32_e32 v94, 0x3188, v93
	ds_read2_b32 v[94:95], v94 offset1:1
	v_dot4_i32_i8 v96, v96, v5, 0
	v_dot4_i32_i8 v96, v97, v6, v96
	s_waitcnt lgkmcnt(0)
	v_ashrrev_i32_e32 v94, s3, v94
	v_and_b32_e32 v98, 0x3030303, v94
	v_ashrrev_i32_e32 v94, s3, v95
	v_and_b32_e32 v99, 0x3030303, v94
	v_add_u32_e32 v94, 0x3190, v93
	ds_read2_b32 v[94:95], v94 offset1:1
	v_add_u32_e32 v93, 0x3198, v93
	s_waitcnt lgkmcnt(0)
	v_ashrrev_i32_e32 v94, s3, v94
	v_and_b32_e32 v100, 0x3030303, v94
	v_ashrrev_i32_e32 v94, s3, v95
	v_and_b32_e32 v95, 0x3030303, v94
	ds_read2_b32 v[93:94], v93 offset1:1
	ds_read_b32 v102, v102
	ds_read_u16 v101, v101 offset:19952
	s_waitcnt lgkmcnt(2)
	v_ashrrev_i32_e32 v93, s3, v93
	s_waitcnt lgkmcnt(0)
	v_bfe_u32 v103, v101, 4, 4
	v_mul_lo_u32 v103, v103, s23
	v_and_b32_e32 v93, 0x3030303, v93
	v_ashrrev_i32_e32 v94, s3, v94
	v_and_b32_e32 v94, 0x3030303, v94
	v_dot4_i32_i8 v5, v103, v5, 0
	v_dot4_i32_i8 v5, v103, v6, v5
	;; [unrolled: 1-line block ×6, first 2 shown]
	v_and_b32_e32 v5, 15, v101
	v_mul_lo_u32 v5, v5, v6
	v_lshrrev_b32_sdwa v6, v80, v101 dst_sel:DWORD dst_unused:UNUSED_PAD src0_sel:DWORD src1_sel:BYTE_1
	v_mul_lo_u32 v6, v6, s23
	v_dot4_i32_i8 v8, v100, v1, 0
	s_add_i32 s3, s2, 2
	s_cmp_lt_u32 s2, 22
	v_dot4_i32_i8 v1, v6, v1, v7
	v_dot4_i32_i8 v7, v95, v2, v8
	;; [unrolled: 1-line block ×7, first 2 shown]
	v_and_b32_sdwa v1, v101, v81 dst_sel:DWORD dst_unused:UNUSED_PAD src0_sel:BYTE_1 src1_sel:DWORD
	v_mad_u64_u32 v[1:2], s[18:19], v1, v2, v[5:6]
	v_cvt_f32_f16_sdwa v2, v102 dst_sel:DWORD dst_unused:UNUSED_PAD src0_sel:WORD_1
	v_cvt_f32_i32_e32 v3, v3
	v_cvt_f32_i32_e32 v1, v1
	s_mov_b32 s2, s3
	v_mul_f32_e32 v2, v2, v3
	v_fma_mix_f32 v1, v102, v1, -v2 op_sel_hi:[1,0,0]
	v_fmac_f32_e32 v25, v92, v1
	s_cbranch_scc1 .LBB188_27
; %bb.28:                               ;   in Loop: Header=BB188_5 Depth=1
	s_or_b32 s2, s24, 0x180
	s_cmp_ge_i32 s2, s9
	s_barrier
	s_cbranch_scc1 .LBB188_4
; %bb.29:                               ;   in Loop: Header=BB188_5 Depth=1
	v_add_u32_e32 v1, s25, v65
	v_cmp_gt_i32_e64 s[2:3], s12, v1
	s_and_b64 s[18:19], s[0:1], s[2:3]
	s_and_saveexec_b64 s[2:3], s[18:19]
	s_cbranch_execz .LBB188_31
; %bb.30:                               ;   in Loop: Header=BB188_5 Depth=1
	v_add_u32_e32 v1, v66, v1
	v_mad_i64_i32 v[1:2], s[18:19], v1, 36, v[26:27]
	global_load_dword v1, v[1:2], off offset:4
	s_waitcnt vmcnt(0)
	ds_write_b32 v58, v1
.LBB188_31:                             ;   in Loop: Header=BB188_5 Depth=1
	s_or_b64 exec, exec, s[2:3]
	s_and_saveexec_b64 s[18:19], vcc
	s_cbranch_execz .LBB188_34
; %bb.32:                               ;   in Loop: Header=BB188_5 Depth=1
	v_or_b32_e32 v1, 12, v89
	v_cmp_gt_i32_e64 s[2:3], s12, v1
	s_and_b64 s[2:3], s[0:1], s[2:3]
	s_and_b64 exec, exec, s[2:3]
	s_cbranch_execz .LBB188_34
; %bb.33:                               ;   in Loop: Header=BB188_5 Depth=1
	v_ashrrev_i32_e32 v1, 31, v89
	v_add_co_u32_e64 v2, s[2:3], v66, v89
	v_addc_co_u32_e64 v3, s[2:3], v68, v1, s[2:3]
	v_mad_u64_u32 v[1:2], s[2:3], v2, 36, s[6:7]
	v_mad_i32_i24 v2, v3, 36, v2
	global_load_dword v1, v[1:2], off offset:432
	s_waitcnt vmcnt(0)
	v_cvt_f32_f16_e32 v1, v1
	ds_write_b32 v61, v1
.LBB188_34:                             ;   in Loop: Header=BB188_5 Depth=1
	s_or_b64 exec, exec, s[18:19]
	s_mov_b32 s2, 24
	v_mov_b32_e32 v89, v57
	v_mov_b32_e32 v90, v60
	s_waitcnt lgkmcnt(0)
	s_barrier
.LBB188_35:                             ;   Parent Loop BB188_5 Depth=1
                                        ; =>  This Inner Loop Header: Depth=2
	s_and_b32 s19, s2, 0x3ffffff8
	v_lshl_add_u32 v92, s19, 2, v67
	ds_read_b32 v91, v90
	ds_read_b128 v[5:8], v89
	ds_read_b128 v[1:4], v89 offset:16
	ds_read2_b32 v[93:94], v92 offset1:1
	s_sub_i32 s3, s2, 24
	s_lshr_b32 s19, s2, 2
	s_and_b32 s19, s19, 0x3ffffffc
	s_and_b32 s18, s2, -16
	s_waitcnt lgkmcnt(0)
	v_ashrrev_i32_e32 v93, s3, v93
	v_and_b32_e32 v95, 0x3030303, v93
	v_ashrrev_i32_e32 v93, s3, v94
	v_and_b32_e32 v96, 0x3030303, v93
	ds_read2_b32 v[93:94], v92 offset0:2 offset1:3
	s_addk_i32 s19, 0x5280
	s_add_i32 s18, s2, s18
	v_add3_u32 v102, s19, v88, v79
	v_dot4_i32_i8 v95, v95, v5, 0
	s_waitcnt lgkmcnt(0)
	v_ashrrev_i32_e32 v93, s3, v93
	v_and_b32_e32 v97, 0x3030303, v93
	v_ashrrev_i32_e32 v93, s3, v94
	v_and_b32_e32 v98, 0x3030303, v93
	ds_read2_b32 v[93:94], v92 offset0:4 offset1:5
	v_dot4_i32_i8 v95, v96, v6, v95
	v_dot4_i32_i8 v95, v97, v7, v95
	;; [unrolled: 1-line block ×3, first 2 shown]
	v_add_u32_e32 v90, 4, v90
	s_waitcnt lgkmcnt(0)
	v_ashrrev_i32_e32 v93, s3, v93
	v_and_b32_e32 v99, 0x3030303, v93
	v_ashrrev_i32_e32 v93, s3, v94
	v_and_b32_e32 v100, 0x3030303, v93
	ds_read2_b32 v[93:94], v92 offset0:6 offset1:7
	v_dot4_i32_i8 v97, v99, v1, 0
	v_dot4_i32_i8 v97, v100, v2, v97
	v_add_u32_e32 v89, 32, v89
	s_waitcnt lgkmcnt(0)
	v_ashrrev_i32_e32 v93, s3, v93
	v_and_b32_e32 v101, 0x3030303, v93
	v_ashrrev_i32_e32 v93, s3, v94
	v_and_b32_e32 v94, 0x3030303, v93
	v_add_u32_e32 v93, s18, v70
	ds_read_b32 v102, v102
	ds_read_u16 v103, v93 offset:16880
	v_dot4_i32_i8 v97, v101, v3, v97
	v_dot4_i32_i8 v94, v94, v4, v97
	s_waitcnt lgkmcnt(0)
	v_bfe_u32 v93, v103, 4, 4
	v_mul_lo_u32 v93, v93, s23
	v_dot4_i32_i8 v104, v93, v5, 0
	v_dot4_i32_i8 v96, v93, v6, v104
	;; [unrolled: 1-line block ×4, first 2 shown]
	v_and_b32_e32 v93, 15, v103
	v_mul_lo_u32 v93, v93, v95
	v_lshrrev_b32_sdwa v95, v80, v103 dst_sel:DWORD dst_unused:UNUSED_PAD src0_sel:DWORD src1_sel:BYTE_1
	v_mul_lo_u32 v95, v95, s23
	v_dot4_i32_i8 v96, v95, v1, v96
	v_dot4_i32_i8 v96, v95, v2, v96
	;; [unrolled: 1-line block ×4, first 2 shown]
	v_and_b32_sdwa v96, v103, v81 dst_sel:DWORD dst_unused:UNUSED_PAD src0_sel:BYTE_1 src1_sel:DWORD
	v_mad_u64_u32 v[93:94], s[24:25], v96, v94, v[93:94]
	v_cvt_f32_f16_sdwa v94, v102 dst_sel:DWORD dst_unused:UNUSED_PAD src0_sel:WORD_1
	v_cvt_f32_i32_e32 v95, v95
	v_cvt_f32_i32_e32 v93, v93
	v_mul_f32_e32 v94, v94, v95
	v_fma_mix_f32 v93, v102, v93, -v94 op_sel_hi:[1,0,0]
	v_fmac_f32_e32 v29, v91, v93
	v_add_u32_e32 v93, 0x1080, v92
	ds_read2_b32 v[93:94], v93 offset1:1
	v_add3_u32 v102, s19, v82, v83
	s_waitcnt lgkmcnt(0)
	v_ashrrev_i32_e32 v93, s3, v93
	v_and_b32_e32 v95, 0x3030303, v93
	v_ashrrev_i32_e32 v93, s3, v94
	v_and_b32_e32 v96, 0x3030303, v93
	v_add_u32_e32 v93, 0x1088, v92
	ds_read2_b32 v[93:94], v93 offset1:1
	v_dot4_i32_i8 v95, v95, v5, 0
	v_dot4_i32_i8 v95, v96, v6, v95
	s_waitcnt lgkmcnt(0)
	v_ashrrev_i32_e32 v93, s3, v93
	v_and_b32_e32 v97, 0x3030303, v93
	v_ashrrev_i32_e32 v93, s3, v94
	v_and_b32_e32 v98, 0x3030303, v93
	v_add_u32_e32 v93, 0x1090, v92
	ds_read2_b32 v[93:94], v93 offset1:1
	v_dot4_i32_i8 v95, v97, v7, v95
	v_dot4_i32_i8 v95, v98, v8, v95
	;; [unrolled: 9-line block ×3, first 2 shown]
	s_waitcnt lgkmcnt(0)
	v_ashrrev_i32_e32 v93, s3, v93
	v_and_b32_e32 v101, 0x3030303, v93
	v_ashrrev_i32_e32 v93, s3, v94
	v_and_b32_e32 v94, 0x3030303, v93
	v_add_u32_e32 v93, s18, v72
	ds_read_b32 v102, v102
	ds_read_u16 v103, v93 offset:17904
	v_dot4_i32_i8 v97, v101, v3, v97
	v_dot4_i32_i8 v94, v94, v4, v97
	s_waitcnt lgkmcnt(0)
	v_bfe_u32 v93, v103, 4, 4
	v_mul_lo_u32 v93, v93, s23
	v_dot4_i32_i8 v104, v93, v5, 0
	v_dot4_i32_i8 v96, v93, v6, v104
	;; [unrolled: 1-line block ×4, first 2 shown]
	v_and_b32_e32 v93, 15, v103
	v_mul_lo_u32 v93, v93, v95
	v_lshrrev_b32_sdwa v95, v80, v103 dst_sel:DWORD dst_unused:UNUSED_PAD src0_sel:DWORD src1_sel:BYTE_1
	v_mul_lo_u32 v95, v95, s23
	v_dot4_i32_i8 v96, v95, v1, v96
	v_dot4_i32_i8 v96, v95, v2, v96
	;; [unrolled: 1-line block ×4, first 2 shown]
	v_and_b32_sdwa v96, v103, v81 dst_sel:DWORD dst_unused:UNUSED_PAD src0_sel:BYTE_1 src1_sel:DWORD
	v_mad_u64_u32 v[93:94], s[24:25], v96, v94, v[93:94]
	v_cvt_f32_f16_sdwa v94, v102 dst_sel:DWORD dst_unused:UNUSED_PAD src0_sel:WORD_1
	v_cvt_f32_i32_e32 v95, v95
	v_cvt_f32_i32_e32 v93, v93
	v_mul_f32_e32 v94, v94, v95
	v_fma_mix_f32 v93, v102, v93, -v94 op_sel_hi:[1,0,0]
	v_fmac_f32_e32 v62, v91, v93
	v_add_u32_e32 v93, 0x2100, v92
	ds_read2_b32 v[93:94], v93 offset1:1
	v_add3_u32 v102, s19, v84, v85
	s_waitcnt lgkmcnt(0)
	v_ashrrev_i32_e32 v93, s3, v93
	v_and_b32_e32 v95, 0x3030303, v93
	v_ashrrev_i32_e32 v93, s3, v94
	v_and_b32_e32 v96, 0x3030303, v93
	v_add_u32_e32 v93, 0x2108, v92
	ds_read2_b32 v[93:94], v93 offset1:1
	v_dot4_i32_i8 v95, v95, v5, 0
	v_dot4_i32_i8 v95, v96, v6, v95
	s_waitcnt lgkmcnt(0)
	v_ashrrev_i32_e32 v93, s3, v93
	v_and_b32_e32 v97, 0x3030303, v93
	v_ashrrev_i32_e32 v93, s3, v94
	v_and_b32_e32 v98, 0x3030303, v93
	v_add_u32_e32 v93, 0x2110, v92
	ds_read2_b32 v[93:94], v93 offset1:1
	v_dot4_i32_i8 v95, v97, v7, v95
	v_dot4_i32_i8 v95, v98, v8, v95
	s_waitcnt lgkmcnt(0)
	v_ashrrev_i32_e32 v93, s3, v93
	v_and_b32_e32 v99, 0x3030303, v93
	v_ashrrev_i32_e32 v93, s3, v94
	v_and_b32_e32 v100, 0x3030303, v93
	v_add_u32_e32 v93, 0x2118, v92
	ds_read2_b32 v[93:94], v93 offset1:1
	v_dot4_i32_i8 v97, v99, v1, 0
	v_dot4_i32_i8 v97, v100, v2, v97
	v_add_u32_e32 v100, s18, v69
	s_waitcnt lgkmcnt(0)
	v_ashrrev_i32_e32 v93, s3, v93
	v_and_b32_e32 v101, 0x3030303, v93
	v_ashrrev_i32_e32 v93, s3, v94
	v_and_b32_e32 v94, 0x3030303, v93
	v_add_u32_e32 v93, s18, v73
	ds_read_b32 v102, v102
	ds_read_u16 v103, v93 offset:18928
	v_dot4_i32_i8 v97, v101, v3, v97
	v_dot4_i32_i8 v94, v94, v4, v97
	v_add3_u32 v101, s19, v86, v87
	s_waitcnt lgkmcnt(0)
	v_bfe_u32 v93, v103, 4, 4
	v_mul_lo_u32 v93, v93, s23
	v_dot4_i32_i8 v104, v93, v5, 0
	v_dot4_i32_i8 v96, v93, v6, v104
	v_dot4_i32_i8 v96, v93, v7, v96
	v_dot4_i32_i8 v96, v93, v8, v96
	v_and_b32_e32 v93, 15, v103
	v_mul_lo_u32 v93, v93, v95
	v_lshrrev_b32_sdwa v95, v80, v103 dst_sel:DWORD dst_unused:UNUSED_PAD src0_sel:DWORD src1_sel:BYTE_1
	v_mul_lo_u32 v95, v95, s23
	v_dot4_i32_i8 v96, v95, v1, v96
	v_dot4_i32_i8 v96, v95, v2, v96
	;; [unrolled: 1-line block ×4, first 2 shown]
	v_and_b32_sdwa v96, v103, v81 dst_sel:DWORD dst_unused:UNUSED_PAD src0_sel:BYTE_1 src1_sel:DWORD
	v_mad_u64_u32 v[93:94], s[24:25], v96, v94, v[93:94]
	v_cvt_f32_f16_sdwa v94, v102 dst_sel:DWORD dst_unused:UNUSED_PAD src0_sel:WORD_1
	v_cvt_f32_i32_e32 v95, v95
	v_cvt_f32_i32_e32 v93, v93
	v_mul_f32_e32 v94, v94, v95
	v_fma_mix_f32 v93, v102, v93, -v94 op_sel_hi:[1,0,0]
	v_fmac_f32_e32 v59, v91, v93
	v_add_u32_e32 v93, 0x3180, v92
	ds_read2_b32 v[93:94], v93 offset1:1
	s_waitcnt lgkmcnt(0)
	v_ashrrev_i32_e32 v93, s3, v93
	v_and_b32_e32 v95, 0x3030303, v93
	v_ashrrev_i32_e32 v93, s3, v94
	v_and_b32_e32 v96, 0x3030303, v93
	v_add_u32_e32 v93, 0x3188, v92
	ds_read2_b32 v[93:94], v93 offset1:1
	v_dot4_i32_i8 v95, v95, v5, 0
	v_dot4_i32_i8 v95, v96, v6, v95
	s_waitcnt lgkmcnt(0)
	v_ashrrev_i32_e32 v93, s3, v93
	v_and_b32_e32 v97, 0x3030303, v93
	v_ashrrev_i32_e32 v93, s3, v94
	v_and_b32_e32 v98, 0x3030303, v93
	v_add_u32_e32 v93, 0x3190, v92
	ds_read2_b32 v[93:94], v93 offset1:1
	v_add_u32_e32 v92, 0x3198, v92
	s_waitcnt lgkmcnt(0)
	v_ashrrev_i32_e32 v93, s3, v93
	v_and_b32_e32 v99, 0x3030303, v93
	v_ashrrev_i32_e32 v93, s3, v94
	v_and_b32_e32 v94, 0x3030303, v93
	ds_read2_b32 v[92:93], v92 offset1:1
	ds_read_b32 v101, v101
	ds_read_u16 v100, v100 offset:19952
	s_waitcnt lgkmcnt(2)
	v_ashrrev_i32_e32 v92, s3, v92
	s_waitcnt lgkmcnt(0)
	v_bfe_u32 v102, v100, 4, 4
	v_mul_lo_u32 v102, v102, s23
	v_and_b32_e32 v92, 0x3030303, v92
	v_ashrrev_i32_e32 v93, s3, v93
	v_and_b32_e32 v93, 0x3030303, v93
	v_dot4_i32_i8 v5, v102, v5, 0
	v_dot4_i32_i8 v5, v102, v6, v5
	;; [unrolled: 1-line block ×6, first 2 shown]
	v_and_b32_e32 v5, 15, v100
	v_mul_lo_u32 v5, v5, v6
	v_lshrrev_b32_sdwa v6, v80, v100 dst_sel:DWORD dst_unused:UNUSED_PAD src0_sel:DWORD src1_sel:BYTE_1
	v_mul_lo_u32 v6, v6, s23
	v_dot4_i32_i8 v8, v99, v1, 0
	s_add_i32 s3, s2, 2
	s_cmp_lt_u32 s2, 30
	v_dot4_i32_i8 v1, v6, v1, v7
	v_dot4_i32_i8 v7, v94, v2, v8
	v_dot4_i32_i8 v1, v6, v2, v1
	v_dot4_i32_i8 v2, v92, v3, v7
	v_dot4_i32_i8 v1, v6, v3, v1
	v_dot4_i32_i8 v2, v93, v4, v2
	v_dot4_i32_i8 v3, v6, v4, v1
	v_and_b32_sdwa v1, v100, v81 dst_sel:DWORD dst_unused:UNUSED_PAD src0_sel:BYTE_1 src1_sel:DWORD
	v_mad_u64_u32 v[1:2], s[18:19], v1, v2, v[5:6]
	v_cvt_f32_f16_sdwa v2, v101 dst_sel:DWORD dst_unused:UNUSED_PAD src0_sel:WORD_1
	v_cvt_f32_i32_e32 v3, v3
	v_cvt_f32_i32_e32 v1, v1
	s_mov_b32 s2, s3
	v_mul_f32_e32 v2, v2, v3
	v_fma_mix_f32 v1, v101, v1, -v2 op_sel_hi:[1,0,0]
	v_fmac_f32_e32 v25, v91, v1
	s_cbranch_scc1 .LBB188_35
; %bb.36:                               ;   in Loop: Header=BB188_5 Depth=1
	s_barrier
	s_branch .LBB188_4
.LBB188_37:
	s_mul_i32 s0, s14, s11
	s_waitcnt vmcnt(0)
	v_cmp_gt_i32_e32 vcc, s0, v28
	s_and_saveexec_b64 s[0:1], vcc
	s_cbranch_execz .LBB188_46
; %bb.38:
	v_mul_lo_u32 v1, v28, s13
	v_add_u32_e32 v0, s15, v0
	v_cmp_gt_u32_e32 vcc, s13, v0
	s_and_saveexec_b64 s[0:1], vcc
	s_cbranch_execz .LBB188_40
; %bb.39:
	v_add_u32_e32 v2, v1, v0
	v_mov_b32_e32 v3, 0
	v_lshlrev_b64 v[2:3], 2, v[2:3]
	v_mov_b32_e32 v4, s17
	v_add_co_u32_e32 v2, vcc, s16, v2
	v_addc_co_u32_e32 v3, vcc, v4, v3, vcc
	global_store_dword v[2:3], v29, off
.LBB188_40:
	s_or_b64 exec, exec, s[0:1]
	v_add_u32_e32 v2, 32, v0
	v_cmp_gt_u32_e32 vcc, s13, v2
	s_and_saveexec_b64 s[0:1], vcc
	s_cbranch_execz .LBB188_42
; %bb.41:
	v_add_u32_e32 v2, v1, v2
	v_mov_b32_e32 v3, 0
	v_lshlrev_b64 v[2:3], 2, v[2:3]
	v_mov_b32_e32 v4, s17
	v_add_co_u32_e32 v2, vcc, s16, v2
	v_addc_co_u32_e32 v3, vcc, v4, v3, vcc
	global_store_dword v[2:3], v62, off
.LBB188_42:
	s_or_b64 exec, exec, s[0:1]
	;; [unrolled: 14-line block ×3, first 2 shown]
	v_add_u32_e32 v0, 0x60, v0
	v_cmp_gt_u32_e32 vcc, s13, v0
	s_and_b64 exec, exec, vcc
	s_cbranch_execz .LBB188_46
; %bb.45:
	v_add_u32_e32 v0, v1, v0
	v_mov_b32_e32 v1, 0
	v_lshlrev_b64 v[0:1], 2, v[0:1]
	v_mov_b32_e32 v2, s17
	v_add_co_u32_e32 v0, vcc, s16, v0
	v_addc_co_u32_e32 v1, vcc, v2, v1, vcc
	global_store_dword v[0:1], v25, off
.LBB188_46:
	s_endpgm
	.section	.rodata,"a",@progbits
	.p2align	6, 0x0
	.amdhsa_kernel _ZL8moe_q2_KIfLb1EEvPKvS1_PT_PKiS5_S5_iiiiiii
		.amdhsa_group_segment_fixed_size 23328
		.amdhsa_private_segment_fixed_size 0
		.amdhsa_kernarg_size 76
		.amdhsa_user_sgpr_count 6
		.amdhsa_user_sgpr_private_segment_buffer 1
		.amdhsa_user_sgpr_dispatch_ptr 0
		.amdhsa_user_sgpr_queue_ptr 0
		.amdhsa_user_sgpr_kernarg_segment_ptr 1
		.amdhsa_user_sgpr_dispatch_id 0
		.amdhsa_user_sgpr_flat_scratch_init 0
		.amdhsa_user_sgpr_private_segment_size 0
		.amdhsa_uses_dynamic_stack 0
		.amdhsa_system_sgpr_private_segment_wavefront_offset 0
		.amdhsa_system_sgpr_workgroup_id_x 1
		.amdhsa_system_sgpr_workgroup_id_y 1
		.amdhsa_system_sgpr_workgroup_id_z 0
		.amdhsa_system_sgpr_workgroup_info 0
		.amdhsa_system_vgpr_workitem_id 1
		.amdhsa_next_free_vgpr 109
		.amdhsa_next_free_sgpr 98
		.amdhsa_reserve_vcc 1
		.amdhsa_reserve_flat_scratch 0
		.amdhsa_float_round_mode_32 0
		.amdhsa_float_round_mode_16_64 0
		.amdhsa_float_denorm_mode_32 3
		.amdhsa_float_denorm_mode_16_64 3
		.amdhsa_dx10_clamp 1
		.amdhsa_ieee_mode 1
		.amdhsa_fp16_overflow 0
		.amdhsa_exception_fp_ieee_invalid_op 0
		.amdhsa_exception_fp_denorm_src 0
		.amdhsa_exception_fp_ieee_div_zero 0
		.amdhsa_exception_fp_ieee_overflow 0
		.amdhsa_exception_fp_ieee_underflow 0
		.amdhsa_exception_fp_ieee_inexact 0
		.amdhsa_exception_int_div_zero 0
	.end_amdhsa_kernel
	.section	.text._ZL8moe_q2_KIfLb1EEvPKvS1_PT_PKiS5_S5_iiiiiii,"axG",@progbits,_ZL8moe_q2_KIfLb1EEvPKvS1_PT_PKiS5_S5_iiiiiii,comdat
.Lfunc_end188:
	.size	_ZL8moe_q2_KIfLb1EEvPKvS1_PT_PKiS5_S5_iiiiiii, .Lfunc_end188-_ZL8moe_q2_KIfLb1EEvPKvS1_PT_PKiS5_S5_iiiiiii
                                        ; -- End function
	.set _ZL8moe_q2_KIfLb1EEvPKvS1_PT_PKiS5_S5_iiiiiii.num_vgpr, 109
	.set _ZL8moe_q2_KIfLb1EEvPKvS1_PT_PKiS5_S5_iiiiiii.num_agpr, 0
	.set _ZL8moe_q2_KIfLb1EEvPKvS1_PT_PKiS5_S5_iiiiiii.numbered_sgpr, 28
	.set _ZL8moe_q2_KIfLb1EEvPKvS1_PT_PKiS5_S5_iiiiiii.num_named_barrier, 0
	.set _ZL8moe_q2_KIfLb1EEvPKvS1_PT_PKiS5_S5_iiiiiii.private_seg_size, 0
	.set _ZL8moe_q2_KIfLb1EEvPKvS1_PT_PKiS5_S5_iiiiiii.uses_vcc, 1
	.set _ZL8moe_q2_KIfLb1EEvPKvS1_PT_PKiS5_S5_iiiiiii.uses_flat_scratch, 0
	.set _ZL8moe_q2_KIfLb1EEvPKvS1_PT_PKiS5_S5_iiiiiii.has_dyn_sized_stack, 0
	.set _ZL8moe_q2_KIfLb1EEvPKvS1_PT_PKiS5_S5_iiiiiii.has_recursion, 0
	.set _ZL8moe_q2_KIfLb1EEvPKvS1_PT_PKiS5_S5_iiiiiii.has_indirect_call, 0
	.section	.AMDGPU.csdata,"",@progbits
; Kernel info:
; codeLenInByte = 10492
; TotalNumSgprs: 32
; NumVgprs: 109
; ScratchSize: 0
; MemoryBound: 0
; FloatMode: 240
; IeeeMode: 1
; LDSByteSize: 23328 bytes/workgroup (compile time only)
; SGPRBlocks: 12
; VGPRBlocks: 27
; NumSGPRsForWavesPerEU: 102
; NumVGPRsForWavesPerEU: 109
; Occupancy: 2
; WaveLimiterHint : 1
; COMPUTE_PGM_RSRC2:SCRATCH_EN: 0
; COMPUTE_PGM_RSRC2:USER_SGPR: 6
; COMPUTE_PGM_RSRC2:TRAP_HANDLER: 0
; COMPUTE_PGM_RSRC2:TGID_X_EN: 1
; COMPUTE_PGM_RSRC2:TGID_Y_EN: 1
; COMPUTE_PGM_RSRC2:TGID_Z_EN: 0
; COMPUTE_PGM_RSRC2:TIDIG_COMP_CNT: 1
	.section	.text._ZL8moe_q3_KIfLb0EEvPKvS1_PT_PKiS5_S5_iiiiiii,"axG",@progbits,_ZL8moe_q3_KIfLb0EEvPKvS1_PT_PKiS5_S5_iiiiiii,comdat
	.globl	_ZL8moe_q3_KIfLb0EEvPKvS1_PT_PKiS5_S5_iiiiiii ; -- Begin function _ZL8moe_q3_KIfLb0EEvPKvS1_PT_PKiS5_S5_iiiiiii
	.p2align	8
	.type	_ZL8moe_q3_KIfLb0EEvPKvS1_PT_PKiS5_S5_iiiiiii,@function
_ZL8moe_q3_KIfLb0EEvPKvS1_PT_PKiS5_S5_iiiiiii: ; @_ZL8moe_q3_KIfLb0EEvPKvS1_PT_PKiS5_S5_iiiiiii
; %bb.0:
	s_load_dwordx4 s[0:3], s[4:5], 0x18
	s_mov_b32 s8, s7
	s_mov_b32 s9, 0
	s_lshl_b64 s[10:11], s[8:9], 2
	s_waitcnt lgkmcnt(0)
	s_add_u32 s2, s2, s10
	s_addc_u32 s3, s3, s11
	s_load_dword s2, s[2:3], 0x0
	s_waitcnt lgkmcnt(0)
	s_cmpk_gt_u32 s2, 0xff
	s_cbranch_scc1 .LBB189_46
; %bb.1:
	s_load_dwordx2 s[10:11], s[4:5], 0x28
	s_lshl_b32 s3, s8, 3
	s_waitcnt lgkmcnt(0)
	s_load_dword s7, s[10:11], 0x0
	s_waitcnt lgkmcnt(0)
	s_cmp_gt_u32 s3, s7
	s_cbranch_scc1 .LBB189_46
; %bb.2:
	v_add_u32_e32 v8, s3, v1
	v_mov_b32_e32 v9, 0
	v_lshlrev_b64 v[2:3], 2, v[8:9]
	v_mov_b32_e32 v4, s1
	v_add_co_u32_e32 v2, vcc, s0, v2
	v_addc_co_u32_e32 v3, vcc, v4, v3, vcc
	global_load_dword v12, v[2:3], off
	s_load_dwordx2 s[14:15], s[4:5], 0x30
	s_load_dwordx2 s[12:13], s[4:5], 0x10
	s_load_dwordx4 s[8:11], s[4:5], 0x3c
	s_lshl_b32 s18, s6, 7
	v_mov_b32_e32 v64, v9
	s_waitcnt lgkmcnt(0)
	s_cmpk_lt_i32 s15, 0x100
	v_mov_b32_e32 v68, v9
	v_mov_b32_e32 v13, v9
	s_cbranch_scc1 .LBB189_37
; %bb.3:
	s_ashr_i32 s0, s15, 31
	s_lshr_b32 s0, s0, 24
	s_load_dwordx4 s[4:7], s[4:5], 0x0
	s_add_i32 s0, s15, s0
	s_ashr_i32 s19, s0, 8
	s_ashr_i32 s0, s9, 31
	s_lshr_b32 s0, s0, 27
	s_add_i32 s0, s9, s0
	s_mul_i32 s2, s2, s14
	s_ashr_i32 s9, s0, 5
	s_ashr_i32 s0, s2, 31
	s_waitcnt lgkmcnt(0)
	s_add_u32 s1, s4, s2
	s_mul_i32 s2, s19, s18
	s_addc_u32 s0, s5, s0
	s_mul_hi_i32 s3, s2, 0x6e
	s_mulk_i32 s2, 0x6e
	s_add_u32 s20, s1, s2
	s_addc_u32 s21, s0, s3
	v_lshlrev_b32_e32 v3, 2, v0
	s_movk_i32 s0, 0x84
	v_mad_u32_u24 v17, v1, s0, v3
	s_lshl_b32 s0, s19, 3
	v_mov_b32_e32 v4, s0
	v_mad_i32_i24 v18, s19, v1, v4
	v_add_u32_e32 v19, s0, v18
	v_add_u32_e32 v20, s0, v19
	;; [unrolled: 1-line block ×11, first 2 shown]
	v_lshlrev_b32_e32 v4, 4, v1
	v_lshrrev_b32_e32 v37, 1, v0
	v_add_u32_e32 v30, s0, v29
	v_and_b32_e32 v36, 1, v0
	v_add_u32_e32 v5, v37, v4
	v_add_u32_e32 v32, s0, v30
	v_and_b32_e32 v6, 0x7f, v5
	v_lshlrev_b32_e32 v7, 2, v36
	v_lshrrev_b32_e32 v5, 2, v5
	v_add_u32_e32 v34, s0, v32
	v_mul_i32_i24_e32 v38, s19, v6
	v_lshl_or_b32 v6, v6, 3, v7
	v_and_b32_e32 v5, 28, v5
	s_movk_i32 s0, 0x7380
	v_lshrrev_b32_e32 v14, 4, v0
	v_add3_u32 v39, v6, v5, s0
	v_lshlrev_b32_e32 v5, 1, v1
	v_add_u32_e32 v6, v14, v5
	v_add_u32_e32 v10, 32, v6
	v_and_b32_e32 v2, 15, v0
	v_lshlrev_b32_e32 v11, 1, v10
	v_lshlrev_b32_e32 v15, 2, v2
	s_movk_i32 s0, 0x4200
	v_and_b32_e32 v11, 0xffc, v11
	v_lshlrev_b32_e32 v68, 6, v10
	v_add_u32_e32 v10, 48, v6
	v_add3_u32 v64, v11, v15, s0
	v_lshlrev_b32_e32 v11, 1, v10
	s_lshl_b32 s1, s19, 4
	v_and_b32_e32 v11, 0xffc, v11
	v_lshlrev_b32_e32 v84, 6, v10
	v_add_u32_e32 v10, 64, v6
	v_mov_b32_e32 v9, s1
	v_add3_u32 v83, v11, v15, s0
	v_lshlrev_b32_e32 v11, 1, v10
	v_mad_i32_i24 v43, s19, v6, v9
	v_and_b32_e32 v11, 0xffc, v11
	v_lshlrev_b32_e32 v86, 6, v10
	v_add_u32_e32 v10, 0x50, v6
	v_add_u32_e32 v44, s1, v43
	v_add3_u32 v85, v11, v15, s0
	v_lshlrev_b32_e32 v11, 1, v10
	v_add_u32_e32 v45, s1, v44
	v_and_b32_e32 v11, 0xffc, v11
	v_lshlrev_b32_e32 v88, 6, v10
	v_add_u32_e32 v10, 0x60, v6
	v_cmp_lt_u32_e32 vcc, 7, v2
	v_and_b32_e32 v2, 7, v0
	v_mul_i32_i24_e32 v42, s19, v6
	v_lshlrev_b32_e32 v7, 6, v6
	v_add_u32_e32 v8, 16, v6
	v_add_u32_e32 v46, s1, v45
	v_add3_u32 v87, v11, v15, s0
	v_lshlrev_b32_e32 v11, 1, v10
	v_add_u32_e32 v6, 0x70, v6
	v_cndmask_b32_e64 v40, 0, 1, vcc
	v_lshlrev_b32_e32 v41, 2, v2
	v_add_u32_e32 v47, s1, v46
	v_and_b32_e32 v11, 0xffc, v11
	v_lshlrev_b32_e32 v90, 6, v10
	v_lshlrev_b32_e32 v10, 1, v6
	v_cmp_lt_u32_e32 vcc, 3, v2
	v_and_b32_e32 v2, 3, v0
	v_add_u32_e32 v48, s1, v47
	v_add3_u32 v89, v11, v15, s0
	v_and_b32_e32 v10, 0xffc, v10
	v_lshrrev_b32_e32 v50, 3, v0
	v_cndmask_b32_e64 v51, 0, 1, vcc
	v_add_u16_e32 v11, -2, v2
	v_cmp_gt_u32_e32 vcc, 2, v2
	v_add_u32_e32 v49, s1, v48
	v_add3_u32 v91, v10, v15, s0
	v_lshl_add_u32 v10, v1, 2, v50
	v_cndmask_b32_e32 v11, v11, v2, vcc
	v_mov_b32_e32 v54, 2
	s_lshl_b32 s1, s19, 5
	v_lshlrev_b32_sdwa v54, v54, v11 dst_sel:DWORD dst_unused:UNUSED_PAD src0_sel:DWORD src1_sel:BYTE_0
	v_add_u32_e32 v11, 32, v10
	v_mov_b32_e32 v57, s1
	v_lshlrev_b32_e32 v55, 1, v2
	v_mul_i32_i24_e32 v56, s19, v10
	v_and_b32_e32 v2, 0x7fc, v10
	v_lshlrev_b32_e32 v92, 5, v10
	v_mad_i32_i24 v57, s19, v10, v57
	v_and_b32_e32 v58, 0xffc, v11
	v_lshlrev_b32_e32 v94, 5, v11
	v_add_u32_e32 v11, 64, v10
	v_add_u32_e32 v10, 0x60, v10
	v_mov_b32_e32 v60, 0x77a0
	v_and_b32_e32 v59, 0xffc, v11
	v_lshlrev_b32_e32 v96, 5, v11
	v_and_b32_e32 v11, 0xffc, v10
	v_lshlrev_b32_e32 v98, 5, v10
	v_and_b32_e32 v10, 31, v0
	v_lshl_add_u32 v60, v1, 7, v60
	s_abs_i32 s2, s11
	v_lshl_add_u32 v61, v10, 2, v60
	v_cvt_f32_u32_e32 v10, s2
	v_add_u16_e32 v5, v14, v5
	v_lshrrev_b16_e32 v5, 1, v5
	v_lshlrev_b32_e32 v9, 1, v8
	v_rcp_iflag_f32_e32 v10, v10
	v_lshlrev_b32_e32 v5, 2, v5
	v_and_b32_e32 v9, 0xffc, v9
	v_add3_u32 v5, v5, v15, s0
	v_mul_f32_e32 v10, 0x4f7ffffe, v10
	v_cvt_u32_f32_e32 v10, v10
	v_add3_u32 v9, v9, v15, s0
	s_movk_i32 s0, 0x6300
	v_add3_u32 v2, v2, v41, s0
	v_add3_u32 v93, v58, v41, s0
	;; [unrolled: 1-line block ×4, first 2 shown]
	s_sub_i32 s0, 0, s2
	v_mul_lo_u32 v65, s0, v10
	s_waitcnt vmcnt(0)
	v_sub_u32_e32 v66, 0, v12
	v_max_i32_e32 v69, v12, v66
	v_add_u32_e32 v58, s1, v57
	v_mul_hi_u32 v65, v10, v65
	v_add_u32_e32 v59, s1, v58
	v_xor_b32_e32 v71, s11, v12
	v_ashrrev_i32_e32 v71, 31, v71
	v_add_u32_e32 v10, v10, v65
	v_mul_hi_u32 v10, v69, v10
	v_and_b32_e32 v11, 28, v3
	v_mul_i32_i24_e32 v16, s19, v1
	v_mul_u32_u24_e32 v1, 33, v0
	v_mul_lo_u32 v70, v10, s2
	v_add_u32_e32 v72, 0x60, v0
	v_add_u32_e32 v62, 0x7ba0, v4
	v_lshlrev_b32_e32 v4, 5, v0
	v_sub_u32_e32 v69, v69, v70
	v_add_u32_e32 v70, 1, v10
	v_cmp_le_u32_e64 s[0:1], s2, v69
	v_cndmask_b32_e64 v10, v10, v70, s[0:1]
	v_subrev_u32_e32 v70, s2, v69
	v_cndmask_b32_e64 v69, v69, v70, s[0:1]
	v_add_u32_e32 v70, 1, v10
	v_cmp_le_u32_e64 s[0:1], s2, v69
	v_cndmask_b32_e64 v10, v10, v70, s[0:1]
	v_xor_b32_e32 v10, v10, v71
	v_sub_u32_e32 v10, v10, v71
	v_cmp_gt_i32_e64 s[0:1], s8, v10
	v_mul_lo_u32 v69, v10, s9
	v_mov_b32_e32 v70, s7
	v_add_co_u32_e64 v10, s[2:3], s6, v11
	v_add_u32_e32 v74, 64, v0
	v_addc_co_u32_e64 v11, s[2:3], 0, v70, s[2:3]
	v_lshlrev_b32_e32 v70, 2, v1
	v_and_b32_e32 v1, 0x1fc, v72
	v_add_u32_e32 v76, 32, v0
	v_lshlrev_b32_e32 v107, 4, v72
	v_lshrrev_b32_e32 v108, 1, v72
	v_lshlrev_b32_e32 v109, 1, v72
	v_lshrrev_b32_e32 v110, 4, v72
	v_lshrrev_b32_e32 v67, 3, v72
	v_add_u32_e32 v72, v4, v1
	v_and_b32_e32 v1, 0x1fc, v74
	v_lshlrev_b32_e32 v103, 4, v74
	v_lshrrev_b32_e32 v104, 1, v74
	v_lshlrev_b32_e32 v105, 1, v74
	v_lshrrev_b32_e32 v106, 4, v74
	v_lshrrev_b32_e32 v66, 3, v74
	v_add_u32_e32 v74, v4, v1
	v_and_b32_e32 v1, 0x1fc, v76
	v_lshlrev_b32_e32 v99, 4, v76
	v_lshrrev_b32_e32 v100, 1, v76
	v_lshlrev_b32_e32 v101, 1, v76
	v_lshrrev_b32_e32 v102, 4, v76
	v_lshrrev_b32_e32 v65, 3, v76
	v_add_u32_e32 v76, v4, v1
	v_and_b32_e32 v1, 0xfc, v0
	v_lshlrev_b32_e32 v8, 6, v8
	v_lshlrev_b32_e32 v6, 6, v6
	v_lshlrev_b32_e32 v52, 1, v0
	v_cmp_gt_u32_e32 vcc, 4, v0
	v_add_u32_e32 v63, v62, v3
	v_lshlrev_b32_e32 v3, 4, v0
	v_add_u32_e32 v78, v4, v1
	s_movk_i32 s14, 0x6e
	s_mov_b32 s22, 0
	v_mov_b32_e32 v13, 0
	v_add_u32_e32 v31, 0x35a0, v17
	v_add_u32_e32 v33, 0x39c0, v17
	;; [unrolled: 1-line block ×3, first 2 shown]
	v_and_b32_e32 v53, 4, v52
	s_and_b64 s[4:5], vcc, s[0:1]
	v_ashrrev_i32_e32 v71, 31, v69
	v_add_u32_e32 v73, 0x6f00, v72
	v_add_u32_e32 v75, 0x6b00, v74
	;; [unrolled: 1-line block ×12, first 2 shown]
	s_mov_b32 s23, 0x30303030
	s_movk_i32 s24, 0x3f00
	s_movk_i32 s25, 0xe000
	v_add_u32_e32 v88, v2, v92
	v_add_u32_e32 v89, v93, v94
	;; [unrolled: 1-line block ×4, first 2 shown]
	v_mov_b32_e32 v92, 8
	v_lshlrev_b32_e32 v93, 2, v3
	v_lshlrev_b32_e32 v94, 2, v100
	;; [unrolled: 1-line block ×13, first 2 shown]
	v_mov_b32_e32 v68, 0
	v_mov_b32_e32 v64, 0
	;; [unrolled: 1-line block ×3, first 2 shown]
	s_branch .LBB189_5
.LBB189_4:                              ;   in Loop: Header=BB189_5 Depth=1
	s_add_i32 s22, s22, 2
	s_cmp_ge_i32 s22, s19
	s_cbranch_scc1 .LBB189_37
.LBB189_5:                              ; =>This Loop Header: Depth=1
                                        ;     Child Loop BB189_11 Depth 2
                                        ;     Child Loop BB189_19 Depth 2
	;; [unrolled: 1-line block ×4, first 2 shown]
	s_mul_i32 s2, s22, 0x6e
	s_mul_hi_u32 s3, s22, 0x6e
	s_add_u32 s2, s20, s2
	s_addc_u32 s3, s21, s3
	v_mov_b32_e32 v1, s2
	v_mov_b32_e32 v2, s3
	v_mad_u64_u32 v[3:4], s[2:3], v14, s14, v[1:2]
	s_lshl_b32 s26, s22, 8
	s_cmp_lt_i32 s26, s15
	v_mad_u64_u32 v[5:6], s[2:3], v16, s14, v[3:4]
	v_add_co_u32_e64 v5, s[2:3], v5, v15
	v_addc_co_u32_e64 v6, s[2:3], 0, v6, s[2:3]
	global_load_dword v5, v[5:6], off offset:32
	s_waitcnt vmcnt(0)
	ds_write_b32 v17, v5
	v_mad_u64_u32 v[5:6], s[2:3], v18, s14, v[3:4]
	v_add_co_u32_e64 v5, s[2:3], v5, v15
	v_addc_co_u32_e64 v6, s[2:3], 0, v6, s[2:3]
	global_load_dword v5, v[5:6], off offset:32
	v_add_u32_e32 v6, 0x420, v17
	s_waitcnt vmcnt(0)
	ds_write_b32 v6, v5
	v_mad_u64_u32 v[5:6], s[2:3], v19, s14, v[3:4]
	v_add_co_u32_e64 v5, s[2:3], v5, v15
	v_addc_co_u32_e64 v6, s[2:3], 0, v6, s[2:3]
	global_load_dword v5, v[5:6], off offset:32
	v_add_u32_e32 v6, 0x840, v17
	;; [unrolled: 7-line block ×12, first 2 shown]
	s_waitcnt vmcnt(0)
	ds_write_b32 v6, v5
	v_mad_u64_u32 v[5:6], s[2:3], v30, s14, v[3:4]
	v_add_co_u32_e64 v5, s[2:3], v5, v15
	v_addc_co_u32_e64 v6, s[2:3], 0, v6, s[2:3]
	global_load_dword v5, v[5:6], off offset:32
	s_waitcnt vmcnt(0)
	ds_write_b32 v31, v5
	v_mad_u64_u32 v[5:6], s[2:3], v32, s14, v[3:4]
	v_add_co_u32_e64 v5, s[2:3], v5, v15
	v_addc_co_u32_e64 v6, s[2:3], 0, v6, s[2:3]
	v_mad_u64_u32 v[3:4], s[2:3], v34, s14, v[3:4]
	global_load_dword v5, v[5:6], off offset:32
	v_add_co_u32_e64 v3, s[2:3], v3, v15
	v_addc_co_u32_e64 v4, s[2:3], 0, v4, s[2:3]
	global_load_dword v3, v[3:4], off offset:32
	s_waitcnt vmcnt(1)
	ds_write_b32 v33, v5
	s_waitcnt vmcnt(0)
	ds_write_b32 v35, v3
	v_mad_u64_u32 v[3:4], s[2:3], v38, s14, v[1:2]
	v_mad_u64_u32 v[3:4], s[2:3], v36, s14, v[3:4]
	global_load_ushort v3, v[3:4], off offset:108
	s_waitcnt vmcnt(0)
	v_cvt_f32_f16_e32 v3, v3
	ds_write_b32 v39, v3
	v_mad_u64_u32 v[3:4], s[2:3], v40, s14, v[1:2]
	v_add_co_u32_e64 v3, s[2:3], v3, v41
	v_addc_co_u32_e64 v4, s[2:3], 0, v4, s[2:3]
	v_mad_u64_u32 v[5:6], s[2:3], v42, s14, v[3:4]
	v_mad_u64_u32 v[1:2], s[2:3], v51, s14, v[1:2]
	global_load_dword v5, v[5:6], off
	s_waitcnt vmcnt(0)
	v_not_b32_e32 v5, v5
	ds_write_b32 v80, v5
	v_mad_u64_u32 v[5:6], s[2:3], v43, s14, v[3:4]
	global_load_dword v5, v[5:6], off
	s_waitcnt vmcnt(0)
	v_not_b32_e32 v5, v5
	ds_write_b32 v81, v5
	;; [unrolled: 5-line block ×6, first 2 shown]
	v_mad_u64_u32 v[5:6], s[2:3], v48, s14, v[3:4]
	v_mad_u64_u32 v[3:4], s[2:3], v49, s14, v[3:4]
	global_load_dword v5, v[5:6], off
	s_nop 0
	global_load_dword v3, v[3:4], off
	s_waitcnt vmcnt(1)
	v_not_b32_e32 v5, v5
	ds_write_b32 v86, v5
	s_waitcnt vmcnt(0)
	v_not_b32_e32 v3, v3
	ds_write_b32 v87, v3
	v_mad_u64_u32 v[3:4], s[2:3], v56, s14, v[1:2]
	v_add_co_u32_e64 v5, s[2:3], v3, v54
	v_addc_co_u32_e64 v6, s[2:3], 0, v4, s[2:3]
	global_load_dword v5, v[5:6], off offset:96
	s_nop 0
	global_load_dword v3, v[3:4], off offset:104
	s_waitcnt vmcnt(1)
	v_ashrrev_i32_e32 v5, v53, v5
	v_and_b32_e32 v5, 0xf0f0f0f, v5
	s_waitcnt vmcnt(0)
	v_ashrrev_i32_e32 v3, v55, v3
	v_lshlrev_b32_e32 v3, 4, v3
	v_and_or_b32 v3, v3, s23, v5
	v_lshlrev_b16_e32 v5, 8, v3
	v_and_b32_e32 v4, 0x3f00, v3
	v_add_u16_e32 v5, 0xe000, v5
	v_or_b32_sdwa v4, v4, v5 dst_sel:DWORD dst_unused:UNUSED_PAD src0_sel:DWORD src1_sel:BYTE_1
	v_and_b32_sdwa v5, v3, s24 dst_sel:DWORD dst_unused:UNUSED_PAD src0_sel:WORD_1 src1_sel:DWORD
	v_lshlrev_b16_sdwa v3, v92, v3 dst_sel:DWORD dst_unused:UNUSED_PAD src0_sel:DWORD src1_sel:WORD_1
	v_add_u16_e32 v3, 0xe000, v3
	v_or_b32_sdwa v3, v5, v3 dst_sel:DWORD dst_unused:UNUSED_PAD src0_sel:DWORD src1_sel:BYTE_1
	v_add_u16_e32 v4, 0xe000, v4
	v_add_u16_sdwa v3, v3, s25 dst_sel:WORD_1 dst_unused:UNUSED_PAD src0_sel:DWORD src1_sel:DWORD
	v_or_b32_e32 v3, v4, v3
	ds_write_b32 v88, v3
	v_mad_u64_u32 v[3:4], s[2:3], v57, s14, v[1:2]
	v_add_co_u32_e64 v5, s[2:3], v3, v54
	v_addc_co_u32_e64 v6, s[2:3], 0, v4, s[2:3]
	global_load_dword v5, v[5:6], off offset:96
	s_nop 0
	global_load_dword v3, v[3:4], off offset:104
	s_waitcnt vmcnt(1)
	v_ashrrev_i32_e32 v5, v53, v5
	v_and_b32_e32 v5, 0xf0f0f0f, v5
	s_waitcnt vmcnt(0)
	v_ashrrev_i32_e32 v3, v55, v3
	v_lshlrev_b32_e32 v3, 4, v3
	v_and_or_b32 v3, v3, s23, v5
	v_lshlrev_b16_e32 v5, 8, v3
	v_and_b32_e32 v4, 0x3f00, v3
	v_add_u16_e32 v5, 0xe000, v5
	v_or_b32_sdwa v4, v4, v5 dst_sel:DWORD dst_unused:UNUSED_PAD src0_sel:DWORD src1_sel:BYTE_1
	v_and_b32_sdwa v5, v3, s24 dst_sel:DWORD dst_unused:UNUSED_PAD src0_sel:WORD_1 src1_sel:DWORD
	v_lshlrev_b16_sdwa v3, v92, v3 dst_sel:DWORD dst_unused:UNUSED_PAD src0_sel:DWORD src1_sel:WORD_1
	v_add_u16_e32 v3, 0xe000, v3
	v_or_b32_sdwa v3, v5, v3 dst_sel:DWORD dst_unused:UNUSED_PAD src0_sel:DWORD src1_sel:BYTE_1
	v_add_u16_e32 v4, 0xe000, v4
	v_add_u16_sdwa v3, v3, s25 dst_sel:WORD_1 dst_unused:UNUSED_PAD src0_sel:DWORD src1_sel:DWORD
	v_or_b32_e32 v3, v4, v3
	;; [unrolled: 25-line block ×4, first 2 shown]
	ds_write_b32 v91, v1
	s_cbranch_scc0 .LBB189_4
; %bb.6:                                ;   in Loop: Header=BB189_5 Depth=1
	s_lshl_b32 s27, s22, 3
	v_add_u32_e32 v1, s27, v50
	v_cmp_gt_i32_e64 s[2:3], s9, v1
	s_and_b64 s[16:17], s[0:1], s[2:3]
	s_and_saveexec_b64 s[2:3], s[16:17]
	s_cbranch_execz .LBB189_8
; %bb.7:                                ;   in Loop: Header=BB189_5 Depth=1
	v_add_u32_e32 v1, v69, v1
	v_mad_i64_i32 v[1:2], s[16:17], v1, 36, v[10:11]
	global_load_dword v1, v[1:2], off offset:4
	s_waitcnt vmcnt(0)
	ds_write_b32 v61, v1
.LBB189_8:                              ;   in Loop: Header=BB189_5 Depth=1
	s_or_b64 exec, exec, s[2:3]
	v_add_u32_e32 v109, s27, v0
	v_cmp_gt_i32_e64 s[2:3], s9, v109
	s_and_b64 s[16:17], s[4:5], s[2:3]
	s_and_saveexec_b64 s[2:3], s[16:17]
	s_cbranch_execz .LBB189_10
; %bb.9:                                ;   in Loop: Header=BB189_5 Depth=1
	v_add_u32_e32 v1, v69, v109
	v_mad_i64_i32 v[1:2], s[16:17], v1, 36, s[6:7]
	global_load_dword v1, v[1:2], off
	s_waitcnt vmcnt(0)
	v_cvt_f32_f16_e32 v1, v1
	ds_write_b32 v63, v1
.LBB189_10:                             ;   in Loop: Header=BB189_5 Depth=1
	s_or_b64 exec, exec, s[2:3]
	s_mov_b32 s17, -2
	s_mov_b32 s2, 0
	v_mov_b32_e32 v110, v62
	v_mov_b32_e32 v111, v60
	s_mov_b32 s3, 0
	s_waitcnt lgkmcnt(0)
	s_barrier
.LBB189_11:                             ;   Parent Loop BB189_5 Depth=1
                                        ; =>  This Inner Loop Header: Depth=2
	s_add_i32 s16, s17, 2
	s_and_b32 s29, s16, 0x3ffffff8
	v_lshl_add_u32 v113, s29, 2, v70
	ds_read_b32 v112, v110
	ds_read_b128 v[5:8], v111
	ds_read_b128 v[1:4], v111 offset:16
	ds_read2_b32 v[106:107], v113 offset1:1
	s_lshr_b32 s30, s16, 4
	s_lshl_b32 s29, s30, 5
	s_addk_i32 s29, 0x4200
	s_and_b32 s28, s3, -16
	s_waitcnt lgkmcnt(0)
	v_ashrrev_i32_e32 v106, s16, v106
	v_and_b32_e32 v108, 0x3030303, v106
	v_bfe_u32 v116, v106, 24, 2
	v_lshlrev_b32_e32 v106, 2, v37
	v_add3_u32 v120, s29, v106, v93
	ds_read2_b32 v[114:115], v120 offset1:1
	v_ashrrev_i32_e32 v107, s16, v107
	s_add_i32 s28, s17, s28
	s_lshl_b32 s17, s30, 2
	s_addk_i32 s17, 0x7380
	s_waitcnt lgkmcnt(0)
	v_ashrrev_i32_e32 v114, s2, v114
	v_lshlrev_b32_e32 v114, 2, v114
	v_and_b32_e32 v114, 0x4040404, v114
	v_sub_u16_e32 v117, v108, v114
	v_sub_u16_sdwa v118, v108, v114 dst_sel:BYTE_1 dst_unused:UNUSED_PAD src0_sel:BYTE_1 src1_sel:BYTE_1
	v_sub_u16_sdwa v116, v116, v114 dst_sel:BYTE_1 dst_unused:UNUSED_PAD src0_sel:DWORD src1_sel:BYTE_3
	v_sub_u16_sdwa v108, v108, v114 dst_sel:DWORD dst_unused:UNUSED_PAD src0_sel:WORD_1 src1_sel:WORD_1
	v_ashrrev_i32_e32 v115, s2, v115
	v_or_b32_sdwa v117, v117, v118 dst_sel:DWORD dst_unused:UNUSED_PAD src0_sel:BYTE_0 src1_sel:DWORD
	v_or_b32_sdwa v108, v108, v116 dst_sel:WORD_1 dst_unused:UNUSED_PAD src0_sel:BYTE_0 src1_sel:DWORD
	v_lshlrev_b32_e32 v115, 2, v115
	v_or_b32_sdwa v114, v117, v108 dst_sel:DWORD dst_unused:UNUSED_PAD src0_sel:WORD_0 src1_sel:DWORD
	v_and_b32_e32 v108, 0x3030303, v107
	v_bfe_u32 v107, v107, 24, 2
	v_and_b32_e32 v115, 0x4040404, v115
	v_sub_u16_e32 v116, v108, v115
	v_sub_u16_sdwa v117, v108, v115 dst_sel:BYTE_1 dst_unused:UNUSED_PAD src0_sel:BYTE_1 src1_sel:BYTE_1
	v_sub_u16_sdwa v107, v107, v115 dst_sel:BYTE_1 dst_unused:UNUSED_PAD src0_sel:DWORD src1_sel:BYTE_3
	v_sub_u16_sdwa v108, v108, v115 dst_sel:DWORD dst_unused:UNUSED_PAD src0_sel:WORD_1 src1_sel:WORD_1
	v_or_b32_sdwa v116, v116, v117 dst_sel:DWORD dst_unused:UNUSED_PAD src0_sel:BYTE_0 src1_sel:DWORD
	v_or_b32_sdwa v107, v108, v107 dst_sel:WORD_1 dst_unused:UNUSED_PAD src0_sel:BYTE_0 src1_sel:DWORD
	v_or_b32_sdwa v115, v116, v107 dst_sel:DWORD dst_unused:UNUSED_PAD src0_sel:WORD_0 src1_sel:DWORD
	ds_read2_b32 v[107:108], v113 offset0:2 offset1:3
	ds_read2_b32 v[116:117], v120 offset0:2 offset1:3
	v_dot4_i32_i8 v114, v114, v5, 0
	v_dot4_i32_i8 v114, v115, v6, v114
	s_add_i32 s3, s3, 2
	s_waitcnt lgkmcnt(1)
	v_ashrrev_i32_e32 v107, s16, v107
	s_waitcnt lgkmcnt(0)
	v_ashrrev_i32_e32 v116, s2, v116
	v_lshlrev_b32_e32 v116, 2, v116
	v_and_b32_e32 v118, 0x3030303, v107
	v_bfe_u32 v107, v107, 24, 2
	v_and_b32_e32 v116, 0x4040404, v116
	v_sub_u16_e32 v119, v118, v116
	v_sub_u16_sdwa v121, v118, v116 dst_sel:BYTE_1 dst_unused:UNUSED_PAD src0_sel:BYTE_1 src1_sel:BYTE_1
	v_sub_u16_sdwa v107, v107, v116 dst_sel:BYTE_1 dst_unused:UNUSED_PAD src0_sel:DWORD src1_sel:BYTE_3
	v_sub_u16_sdwa v116, v118, v116 dst_sel:DWORD dst_unused:UNUSED_PAD src0_sel:WORD_1 src1_sel:WORD_1
	v_or_b32_sdwa v119, v119, v121 dst_sel:DWORD dst_unused:UNUSED_PAD src0_sel:BYTE_0 src1_sel:DWORD
	v_or_b32_sdwa v107, v116, v107 dst_sel:WORD_1 dst_unused:UNUSED_PAD src0_sel:BYTE_0 src1_sel:DWORD
	v_ashrrev_i32_e32 v117, s2, v117
	v_or_b32_sdwa v116, v119, v107 dst_sel:DWORD dst_unused:UNUSED_PAD src0_sel:WORD_0 src1_sel:DWORD
	v_ashrrev_i32_e32 v107, s16, v108
	v_lshlrev_b32_e32 v117, 2, v117
	v_and_b32_e32 v108, 0x3030303, v107
	v_bfe_u32 v107, v107, 24, 2
	v_and_b32_e32 v117, 0x4040404, v117
	v_sub_u16_e32 v118, v108, v117
	v_sub_u16_sdwa v119, v108, v117 dst_sel:BYTE_1 dst_unused:UNUSED_PAD src0_sel:BYTE_1 src1_sel:BYTE_1
	v_sub_u16_sdwa v107, v107, v117 dst_sel:BYTE_1 dst_unused:UNUSED_PAD src0_sel:DWORD src1_sel:BYTE_3
	v_sub_u16_sdwa v108, v108, v117 dst_sel:DWORD dst_unused:UNUSED_PAD src0_sel:WORD_1 src1_sel:WORD_1
	v_or_b32_sdwa v118, v118, v119 dst_sel:DWORD dst_unused:UNUSED_PAD src0_sel:BYTE_0 src1_sel:DWORD
	v_or_b32_sdwa v107, v108, v107 dst_sel:WORD_1 dst_unused:UNUSED_PAD src0_sel:BYTE_0 src1_sel:DWORD
	v_or_b32_sdwa v117, v118, v107 dst_sel:DWORD dst_unused:UNUSED_PAD src0_sel:WORD_0 src1_sel:DWORD
	ds_read2_b32 v[107:108], v113 offset0:4 offset1:5
	ds_read2_b32 v[118:119], v120 offset0:4 offset1:5
	v_dot4_i32_i8 v114, v116, v7, v114
	v_dot4_i32_i8 v114, v117, v8, v114
	v_add_u32_e32 v111, 32, v111
	s_waitcnt lgkmcnt(1)
	v_ashrrev_i32_e32 v107, s16, v107
	s_waitcnt lgkmcnt(0)
	v_ashrrev_i32_e32 v118, s2, v118
	v_lshlrev_b32_e32 v118, 2, v118
	v_and_b32_e32 v121, 0x3030303, v107
	v_bfe_u32 v107, v107, 24, 2
	v_and_b32_e32 v118, 0x4040404, v118
	v_sub_u16_e32 v122, v121, v118
	v_sub_u16_sdwa v123, v121, v118 dst_sel:BYTE_1 dst_unused:UNUSED_PAD src0_sel:BYTE_1 src1_sel:BYTE_1
	v_sub_u16_sdwa v107, v107, v118 dst_sel:BYTE_1 dst_unused:UNUSED_PAD src0_sel:DWORD src1_sel:BYTE_3
	v_sub_u16_sdwa v118, v121, v118 dst_sel:DWORD dst_unused:UNUSED_PAD src0_sel:WORD_1 src1_sel:WORD_1
	v_or_b32_sdwa v122, v122, v123 dst_sel:DWORD dst_unused:UNUSED_PAD src0_sel:BYTE_0 src1_sel:DWORD
	v_or_b32_sdwa v107, v118, v107 dst_sel:WORD_1 dst_unused:UNUSED_PAD src0_sel:BYTE_0 src1_sel:DWORD
	v_ashrrev_i32_e32 v119, s2, v119
	v_or_b32_sdwa v118, v122, v107 dst_sel:DWORD dst_unused:UNUSED_PAD src0_sel:WORD_0 src1_sel:DWORD
	v_ashrrev_i32_e32 v107, s16, v108
	v_lshlrev_b32_e32 v119, 2, v119
	v_and_b32_e32 v108, 0x3030303, v107
	v_bfe_u32 v107, v107, 24, 2
	v_and_b32_e32 v119, 0x4040404, v119
	v_sub_u16_e32 v121, v108, v119
	v_sub_u16_sdwa v122, v108, v119 dst_sel:BYTE_1 dst_unused:UNUSED_PAD src0_sel:BYTE_1 src1_sel:BYTE_1
	v_sub_u16_sdwa v107, v107, v119 dst_sel:BYTE_1 dst_unused:UNUSED_PAD src0_sel:DWORD src1_sel:BYTE_3
	v_sub_u16_sdwa v108, v108, v119 dst_sel:DWORD dst_unused:UNUSED_PAD src0_sel:WORD_1 src1_sel:WORD_1
	v_or_b32_sdwa v121, v121, v122 dst_sel:DWORD dst_unused:UNUSED_PAD src0_sel:BYTE_0 src1_sel:DWORD
	v_or_b32_sdwa v107, v108, v107 dst_sel:WORD_1 dst_unused:UNUSED_PAD src0_sel:BYTE_0 src1_sel:DWORD
	v_or_b32_sdwa v119, v121, v107 dst_sel:DWORD dst_unused:UNUSED_PAD src0_sel:WORD_0 src1_sel:DWORD
	ds_read2_b32 v[107:108], v113 offset0:6 offset1:7
	ds_read2_b32 v[120:121], v120 offset0:6 offset1:7
	v_dot4_i32_i8 v115, v118, v1, 0
	v_dot4_i32_i8 v115, v119, v2, v115
	v_add_u32_e32 v110, 4, v110
	s_waitcnt lgkmcnt(1)
	v_ashrrev_i32_e32 v107, s16, v107
	s_waitcnt lgkmcnt(0)
	v_ashrrev_i32_e32 v120, s2, v120
	v_lshlrev_b32_e32 v120, 2, v120
	v_and_b32_e32 v122, 0x3030303, v107
	v_bfe_u32 v107, v107, 24, 2
	v_and_b32_e32 v120, 0x4040404, v120
	v_sub_u16_e32 v123, v122, v120
	v_sub_u16_sdwa v124, v122, v120 dst_sel:BYTE_1 dst_unused:UNUSED_PAD src0_sel:BYTE_1 src1_sel:BYTE_1
	v_sub_u16_sdwa v107, v107, v120 dst_sel:BYTE_1 dst_unused:UNUSED_PAD src0_sel:DWORD src1_sel:BYTE_3
	v_sub_u16_sdwa v120, v122, v120 dst_sel:DWORD dst_unused:UNUSED_PAD src0_sel:WORD_1 src1_sel:WORD_1
	v_or_b32_sdwa v123, v123, v124 dst_sel:DWORD dst_unused:UNUSED_PAD src0_sel:BYTE_0 src1_sel:DWORD
	v_or_b32_sdwa v107, v120, v107 dst_sel:WORD_1 dst_unused:UNUSED_PAD src0_sel:BYTE_0 src1_sel:DWORD
	v_ashrrev_i32_e32 v121, s2, v121
	v_or_b32_sdwa v120, v123, v107 dst_sel:DWORD dst_unused:UNUSED_PAD src0_sel:WORD_0 src1_sel:DWORD
	v_ashrrev_i32_e32 v107, s16, v108
	v_lshlrev_b32_e32 v121, 2, v121
	v_and_b32_e32 v108, 0x3030303, v107
	v_bfe_u32 v107, v107, 24, 2
	v_and_b32_e32 v121, 0x4040404, v121
	v_sub_u16_e32 v122, v108, v121
	v_sub_u16_sdwa v123, v108, v121 dst_sel:BYTE_1 dst_unused:UNUSED_PAD src0_sel:BYTE_1 src1_sel:BYTE_1
	v_sub_u16_sdwa v107, v107, v121 dst_sel:BYTE_1 dst_unused:UNUSED_PAD src0_sel:DWORD src1_sel:BYTE_3
	v_sub_u16_sdwa v108, v108, v121 dst_sel:DWORD dst_unused:UNUSED_PAD src0_sel:WORD_1 src1_sel:WORD_1
	v_or_b32_sdwa v122, v122, v123 dst_sel:DWORD dst_unused:UNUSED_PAD src0_sel:BYTE_0 src1_sel:DWORD
	v_or_b32_sdwa v107, v108, v107 dst_sel:WORD_1 dst_unused:UNUSED_PAD src0_sel:BYTE_0 src1_sel:DWORD
	v_or_b32_sdwa v121, v122, v107 dst_sel:DWORD dst_unused:UNUSED_PAD src0_sel:WORD_0 src1_sel:DWORD
	v_lshlrev_b32_e32 v107, 2, v14
	v_lshlrev_b32_e32 v108, 2, v52
	v_add_u32_e32 v122, s28, v79
	v_add3_u32 v123, s17, v107, v108
	ds_read_b32 v123, v123
	ds_read_u16 v116, v122 offset:2
	v_dot4_i32_i8 v115, v120, v3, v115
	v_dot4_i32_i8 v115, v121, v4, v115
	v_add3_u32 v122, s29, v94, v95
	s_waitcnt lgkmcnt(0)
	v_lshrrev_b16_e32 v117, 8, v116
	v_bfe_i32 v116, v116, 0, 8
	v_mul_lo_u32 v114, v114, v116
	v_bfe_i32 v117, v117, 0, 8
	v_mad_u64_u32 v[114:115], s[30:31], v115, v117, v[114:115]
	v_mul_f32_e32 v115, v112, v123
	ds_read2_b32 v[116:117], v122 offset1:1
	v_cvt_f32_i32_e32 v114, v114
	v_fmac_f32_e32 v13, v115, v114
	v_add_u32_e32 v114, 0x1080, v113
	ds_read2_b32 v[114:115], v114 offset1:1
	s_waitcnt lgkmcnt(1)
	v_ashrrev_i32_e32 v116, s2, v116
	v_lshlrev_b32_e32 v116, 2, v116
	v_and_b32_e32 v116, 0x4040404, v116
	v_ashrrev_i32_e32 v117, s2, v117
	s_waitcnt lgkmcnt(0)
	v_ashrrev_i32_e32 v114, s16, v114
	v_and_b32_e32 v118, 0x3030303, v114
	v_bfe_u32 v114, v114, 24, 2
	v_sub_u16_e32 v119, v118, v116
	v_sub_u16_sdwa v120, v118, v116 dst_sel:BYTE_1 dst_unused:UNUSED_PAD src0_sel:BYTE_1 src1_sel:BYTE_1
	v_sub_u16_sdwa v114, v114, v116 dst_sel:BYTE_1 dst_unused:UNUSED_PAD src0_sel:DWORD src1_sel:BYTE_3
	v_sub_u16_sdwa v116, v118, v116 dst_sel:DWORD dst_unused:UNUSED_PAD src0_sel:WORD_1 src1_sel:WORD_1
	v_ashrrev_i32_e32 v115, s16, v115
	v_lshlrev_b32_e32 v117, 2, v117
	v_or_b32_sdwa v119, v119, v120 dst_sel:DWORD dst_unused:UNUSED_PAD src0_sel:BYTE_0 src1_sel:DWORD
	v_or_b32_sdwa v114, v116, v114 dst_sel:WORD_1 dst_unused:UNUSED_PAD src0_sel:BYTE_0 src1_sel:DWORD
	v_and_b32_e32 v116, 0x3030303, v115
	v_bfe_u32 v115, v115, 24, 2
	v_and_b32_e32 v117, 0x4040404, v117
	v_or_b32_sdwa v114, v119, v114 dst_sel:DWORD dst_unused:UNUSED_PAD src0_sel:WORD_0 src1_sel:DWORD
	v_sub_u16_e32 v118, v116, v117
	v_sub_u16_sdwa v119, v116, v117 dst_sel:BYTE_1 dst_unused:UNUSED_PAD src0_sel:BYTE_1 src1_sel:BYTE_1
	v_sub_u16_sdwa v115, v115, v117 dst_sel:BYTE_1 dst_unused:UNUSED_PAD src0_sel:DWORD src1_sel:BYTE_3
	v_sub_u16_sdwa v116, v116, v117 dst_sel:DWORD dst_unused:UNUSED_PAD src0_sel:WORD_1 src1_sel:WORD_1
	v_or_b32_sdwa v118, v118, v119 dst_sel:DWORD dst_unused:UNUSED_PAD src0_sel:BYTE_0 src1_sel:DWORD
	v_or_b32_sdwa v115, v116, v115 dst_sel:WORD_1 dst_unused:UNUSED_PAD src0_sel:BYTE_0 src1_sel:DWORD
	v_add_u32_e32 v116, 0x1088, v113
	v_or_b32_sdwa v115, v118, v115 dst_sel:DWORD dst_unused:UNUSED_PAD src0_sel:WORD_0 src1_sel:DWORD
	ds_read2_b32 v[116:117], v116 offset1:1
	ds_read2_b32 v[118:119], v122 offset0:2 offset1:3
	v_dot4_i32_i8 v114, v114, v5, 0
	v_dot4_i32_i8 v114, v115, v6, v114
	s_waitcnt lgkmcnt(1)
	v_ashrrev_i32_e32 v116, s16, v116
	s_waitcnt lgkmcnt(0)
	v_ashrrev_i32_e32 v118, s2, v118
	v_lshlrev_b32_e32 v118, 2, v118
	v_and_b32_e32 v120, 0x3030303, v116
	v_bfe_u32 v116, v116, 24, 2
	v_and_b32_e32 v118, 0x4040404, v118
	v_ashrrev_i32_e32 v119, s2, v119
	v_sub_u16_e32 v121, v120, v118
	v_sub_u16_sdwa v123, v120, v118 dst_sel:BYTE_1 dst_unused:UNUSED_PAD src0_sel:BYTE_1 src1_sel:BYTE_1
	v_sub_u16_sdwa v116, v116, v118 dst_sel:BYTE_1 dst_unused:UNUSED_PAD src0_sel:DWORD src1_sel:BYTE_3
	v_sub_u16_sdwa v118, v120, v118 dst_sel:DWORD dst_unused:UNUSED_PAD src0_sel:WORD_1 src1_sel:WORD_1
	v_ashrrev_i32_e32 v117, s16, v117
	v_lshlrev_b32_e32 v119, 2, v119
	v_or_b32_sdwa v121, v121, v123 dst_sel:DWORD dst_unused:UNUSED_PAD src0_sel:BYTE_0 src1_sel:DWORD
	v_or_b32_sdwa v116, v118, v116 dst_sel:WORD_1 dst_unused:UNUSED_PAD src0_sel:BYTE_0 src1_sel:DWORD
	v_and_b32_e32 v118, 0x3030303, v117
	v_bfe_u32 v117, v117, 24, 2
	v_and_b32_e32 v119, 0x4040404, v119
	v_or_b32_sdwa v116, v121, v116 dst_sel:DWORD dst_unused:UNUSED_PAD src0_sel:WORD_0 src1_sel:DWORD
	v_sub_u16_e32 v120, v118, v119
	v_sub_u16_sdwa v121, v118, v119 dst_sel:BYTE_1 dst_unused:UNUSED_PAD src0_sel:BYTE_1 src1_sel:BYTE_1
	v_sub_u16_sdwa v117, v117, v119 dst_sel:BYTE_1 dst_unused:UNUSED_PAD src0_sel:DWORD src1_sel:BYTE_3
	v_sub_u16_sdwa v118, v118, v119 dst_sel:DWORD dst_unused:UNUSED_PAD src0_sel:WORD_1 src1_sel:WORD_1
	v_or_b32_sdwa v120, v120, v121 dst_sel:DWORD dst_unused:UNUSED_PAD src0_sel:BYTE_0 src1_sel:DWORD
	v_or_b32_sdwa v117, v118, v117 dst_sel:WORD_1 dst_unused:UNUSED_PAD src0_sel:BYTE_0 src1_sel:DWORD
	v_add_u32_e32 v118, 0x1090, v113
	v_or_b32_sdwa v117, v120, v117 dst_sel:DWORD dst_unused:UNUSED_PAD src0_sel:WORD_0 src1_sel:DWORD
	ds_read2_b32 v[118:119], v118 offset1:1
	ds_read2_b32 v[120:121], v122 offset0:4 offset1:5
	v_dot4_i32_i8 v114, v116, v7, v114
	v_dot4_i32_i8 v114, v117, v8, v114
	s_waitcnt lgkmcnt(1)
	v_ashrrev_i32_e32 v118, s16, v118
	s_waitcnt lgkmcnt(0)
	v_ashrrev_i32_e32 v120, s2, v120
	v_lshlrev_b32_e32 v120, 2, v120
	v_and_b32_e32 v123, 0x3030303, v118
	v_bfe_u32 v118, v118, 24, 2
	v_and_b32_e32 v120, 0x4040404, v120
	v_ashrrev_i32_e32 v121, s2, v121
	;; [unrolled: 33-line block ×3, first 2 shown]
	v_sub_u16_e32 v125, v124, v122
	v_sub_u16_sdwa v126, v124, v122 dst_sel:BYTE_1 dst_unused:UNUSED_PAD src0_sel:BYTE_1 src1_sel:BYTE_1
	v_sub_u16_sdwa v120, v120, v122 dst_sel:BYTE_1 dst_unused:UNUSED_PAD src0_sel:DWORD src1_sel:BYTE_3
	v_sub_u16_sdwa v122, v124, v122 dst_sel:DWORD dst_unused:UNUSED_PAD src0_sel:WORD_1 src1_sel:WORD_1
	v_ashrrev_i32_e32 v121, s16, v121
	v_lshlrev_b32_e32 v123, 2, v123
	v_or_b32_sdwa v125, v125, v126 dst_sel:DWORD dst_unused:UNUSED_PAD src0_sel:BYTE_0 src1_sel:DWORD
	v_or_b32_sdwa v120, v122, v120 dst_sel:WORD_1 dst_unused:UNUSED_PAD src0_sel:BYTE_0 src1_sel:DWORD
	v_and_b32_e32 v122, 0x3030303, v121
	v_bfe_u32 v121, v121, 24, 2
	v_and_b32_e32 v123, 0x4040404, v123
	v_or_b32_sdwa v120, v125, v120 dst_sel:DWORD dst_unused:UNUSED_PAD src0_sel:WORD_0 src1_sel:DWORD
	v_sub_u16_e32 v124, v122, v123
	v_sub_u16_sdwa v125, v122, v123 dst_sel:BYTE_1 dst_unused:UNUSED_PAD src0_sel:BYTE_1 src1_sel:BYTE_1
	v_sub_u16_sdwa v121, v121, v123 dst_sel:BYTE_1 dst_unused:UNUSED_PAD src0_sel:DWORD src1_sel:BYTE_3
	v_sub_u16_sdwa v122, v122, v123 dst_sel:DWORD dst_unused:UNUSED_PAD src0_sel:WORD_1 src1_sel:WORD_1
	v_or_b32_sdwa v121, v122, v121 dst_sel:WORD_1 dst_unused:UNUSED_PAD src0_sel:BYTE_0 src1_sel:DWORD
	v_add_u32_e32 v122, s28, v77
	v_add3_u32 v123, s17, v96, v97
	ds_read_b32 v123, v123
	ds_read_u16 v116, v122 offset:2
	v_or_b32_sdwa v124, v124, v125 dst_sel:DWORD dst_unused:UNUSED_PAD src0_sel:BYTE_0 src1_sel:DWORD
	v_or_b32_sdwa v121, v124, v121 dst_sel:DWORD dst_unused:UNUSED_PAD src0_sel:WORD_0 src1_sel:DWORD
	v_dot4_i32_i8 v115, v120, v3, v115
	v_dot4_i32_i8 v115, v121, v4, v115
	s_waitcnt lgkmcnt(0)
	v_lshrrev_b16_e32 v117, 8, v116
	v_bfe_i32 v116, v116, 0, 8
	v_mul_lo_u32 v114, v114, v116
	v_bfe_i32 v117, v117, 0, 8
	v_add3_u32 v122, s29, v98, v99
	v_mad_u64_u32 v[114:115], s[30:31], v115, v117, v[114:115]
	v_mul_f32_e32 v115, v112, v123
	ds_read2_b32 v[116:117], v122 offset1:1
	v_cvt_f32_i32_e32 v114, v114
	v_fmac_f32_e32 v68, v115, v114
	v_add_u32_e32 v114, 0x2100, v113
	ds_read2_b32 v[114:115], v114 offset1:1
	s_waitcnt lgkmcnt(1)
	v_ashrrev_i32_e32 v116, s2, v116
	v_lshlrev_b32_e32 v116, 2, v116
	v_and_b32_e32 v116, 0x4040404, v116
	v_ashrrev_i32_e32 v117, s2, v117
	s_waitcnt lgkmcnt(0)
	v_ashrrev_i32_e32 v114, s16, v114
	v_and_b32_e32 v118, 0x3030303, v114
	v_bfe_u32 v114, v114, 24, 2
	v_sub_u16_e32 v119, v118, v116
	v_sub_u16_sdwa v120, v118, v116 dst_sel:BYTE_1 dst_unused:UNUSED_PAD src0_sel:BYTE_1 src1_sel:BYTE_1
	v_sub_u16_sdwa v114, v114, v116 dst_sel:BYTE_1 dst_unused:UNUSED_PAD src0_sel:DWORD src1_sel:BYTE_3
	v_sub_u16_sdwa v116, v118, v116 dst_sel:DWORD dst_unused:UNUSED_PAD src0_sel:WORD_1 src1_sel:WORD_1
	v_ashrrev_i32_e32 v115, s16, v115
	v_lshlrev_b32_e32 v117, 2, v117
	v_or_b32_sdwa v119, v119, v120 dst_sel:DWORD dst_unused:UNUSED_PAD src0_sel:BYTE_0 src1_sel:DWORD
	v_or_b32_sdwa v114, v116, v114 dst_sel:WORD_1 dst_unused:UNUSED_PAD src0_sel:BYTE_0 src1_sel:DWORD
	v_and_b32_e32 v116, 0x3030303, v115
	v_bfe_u32 v115, v115, 24, 2
	v_and_b32_e32 v117, 0x4040404, v117
	v_or_b32_sdwa v114, v119, v114 dst_sel:DWORD dst_unused:UNUSED_PAD src0_sel:WORD_0 src1_sel:DWORD
	v_sub_u16_e32 v118, v116, v117
	v_sub_u16_sdwa v119, v116, v117 dst_sel:BYTE_1 dst_unused:UNUSED_PAD src0_sel:BYTE_1 src1_sel:BYTE_1
	v_sub_u16_sdwa v115, v115, v117 dst_sel:BYTE_1 dst_unused:UNUSED_PAD src0_sel:DWORD src1_sel:BYTE_3
	v_sub_u16_sdwa v116, v116, v117 dst_sel:DWORD dst_unused:UNUSED_PAD src0_sel:WORD_1 src1_sel:WORD_1
	v_or_b32_sdwa v118, v118, v119 dst_sel:DWORD dst_unused:UNUSED_PAD src0_sel:BYTE_0 src1_sel:DWORD
	v_or_b32_sdwa v115, v116, v115 dst_sel:WORD_1 dst_unused:UNUSED_PAD src0_sel:BYTE_0 src1_sel:DWORD
	v_add_u32_e32 v116, 0x2108, v113
	v_or_b32_sdwa v115, v118, v115 dst_sel:DWORD dst_unused:UNUSED_PAD src0_sel:WORD_0 src1_sel:DWORD
	ds_read2_b32 v[116:117], v116 offset1:1
	ds_read2_b32 v[118:119], v122 offset0:2 offset1:3
	v_dot4_i32_i8 v114, v114, v5, 0
	v_dot4_i32_i8 v114, v115, v6, v114
	s_waitcnt lgkmcnt(1)
	v_ashrrev_i32_e32 v116, s16, v116
	s_waitcnt lgkmcnt(0)
	v_ashrrev_i32_e32 v118, s2, v118
	v_lshlrev_b32_e32 v118, 2, v118
	v_and_b32_e32 v120, 0x3030303, v116
	v_bfe_u32 v116, v116, 24, 2
	v_and_b32_e32 v118, 0x4040404, v118
	v_ashrrev_i32_e32 v119, s2, v119
	v_sub_u16_e32 v121, v120, v118
	v_sub_u16_sdwa v123, v120, v118 dst_sel:BYTE_1 dst_unused:UNUSED_PAD src0_sel:BYTE_1 src1_sel:BYTE_1
	v_sub_u16_sdwa v116, v116, v118 dst_sel:BYTE_1 dst_unused:UNUSED_PAD src0_sel:DWORD src1_sel:BYTE_3
	v_sub_u16_sdwa v118, v120, v118 dst_sel:DWORD dst_unused:UNUSED_PAD src0_sel:WORD_1 src1_sel:WORD_1
	v_ashrrev_i32_e32 v117, s16, v117
	v_lshlrev_b32_e32 v119, 2, v119
	v_or_b32_sdwa v121, v121, v123 dst_sel:DWORD dst_unused:UNUSED_PAD src0_sel:BYTE_0 src1_sel:DWORD
	v_or_b32_sdwa v116, v118, v116 dst_sel:WORD_1 dst_unused:UNUSED_PAD src0_sel:BYTE_0 src1_sel:DWORD
	v_and_b32_e32 v118, 0x3030303, v117
	v_bfe_u32 v117, v117, 24, 2
	v_and_b32_e32 v119, 0x4040404, v119
	v_or_b32_sdwa v116, v121, v116 dst_sel:DWORD dst_unused:UNUSED_PAD src0_sel:WORD_0 src1_sel:DWORD
	v_sub_u16_e32 v120, v118, v119
	v_sub_u16_sdwa v121, v118, v119 dst_sel:BYTE_1 dst_unused:UNUSED_PAD src0_sel:BYTE_1 src1_sel:BYTE_1
	v_sub_u16_sdwa v117, v117, v119 dst_sel:BYTE_1 dst_unused:UNUSED_PAD src0_sel:DWORD src1_sel:BYTE_3
	v_sub_u16_sdwa v118, v118, v119 dst_sel:DWORD dst_unused:UNUSED_PAD src0_sel:WORD_1 src1_sel:WORD_1
	v_or_b32_sdwa v120, v120, v121 dst_sel:DWORD dst_unused:UNUSED_PAD src0_sel:BYTE_0 src1_sel:DWORD
	v_or_b32_sdwa v117, v118, v117 dst_sel:WORD_1 dst_unused:UNUSED_PAD src0_sel:BYTE_0 src1_sel:DWORD
	v_add_u32_e32 v118, 0x2110, v113
	v_or_b32_sdwa v117, v120, v117 dst_sel:DWORD dst_unused:UNUSED_PAD src0_sel:WORD_0 src1_sel:DWORD
	ds_read2_b32 v[118:119], v118 offset1:1
	ds_read2_b32 v[120:121], v122 offset0:4 offset1:5
	v_dot4_i32_i8 v114, v116, v7, v114
	v_dot4_i32_i8 v114, v117, v8, v114
	s_waitcnt lgkmcnt(1)
	v_ashrrev_i32_e32 v118, s16, v118
	s_waitcnt lgkmcnt(0)
	v_ashrrev_i32_e32 v120, s2, v120
	v_lshlrev_b32_e32 v120, 2, v120
	v_and_b32_e32 v123, 0x3030303, v118
	v_bfe_u32 v118, v118, 24, 2
	v_and_b32_e32 v120, 0x4040404, v120
	v_ashrrev_i32_e32 v121, s2, v121
	;; [unrolled: 33-line block ×3, first 2 shown]
	v_sub_u16_e32 v125, v124, v122
	v_sub_u16_sdwa v126, v124, v122 dst_sel:BYTE_1 dst_unused:UNUSED_PAD src0_sel:BYTE_1 src1_sel:BYTE_1
	v_sub_u16_sdwa v120, v120, v122 dst_sel:BYTE_1 dst_unused:UNUSED_PAD src0_sel:DWORD src1_sel:BYTE_3
	v_sub_u16_sdwa v122, v124, v122 dst_sel:DWORD dst_unused:UNUSED_PAD src0_sel:WORD_1 src1_sel:WORD_1
	v_ashrrev_i32_e32 v121, s16, v121
	v_lshlrev_b32_e32 v123, 2, v123
	v_or_b32_sdwa v125, v125, v126 dst_sel:DWORD dst_unused:UNUSED_PAD src0_sel:BYTE_0 src1_sel:DWORD
	v_or_b32_sdwa v120, v122, v120 dst_sel:WORD_1 dst_unused:UNUSED_PAD src0_sel:BYTE_0 src1_sel:DWORD
	v_and_b32_e32 v122, 0x3030303, v121
	v_bfe_u32 v121, v121, 24, 2
	v_and_b32_e32 v123, 0x4040404, v123
	v_or_b32_sdwa v120, v125, v120 dst_sel:DWORD dst_unused:UNUSED_PAD src0_sel:WORD_0 src1_sel:DWORD
	v_sub_u16_e32 v124, v122, v123
	v_sub_u16_sdwa v125, v122, v123 dst_sel:BYTE_1 dst_unused:UNUSED_PAD src0_sel:BYTE_1 src1_sel:BYTE_1
	v_sub_u16_sdwa v121, v121, v123 dst_sel:BYTE_1 dst_unused:UNUSED_PAD src0_sel:DWORD src1_sel:BYTE_3
	v_sub_u16_sdwa v122, v122, v123 dst_sel:DWORD dst_unused:UNUSED_PAD src0_sel:WORD_1 src1_sel:WORD_1
	v_or_b32_sdwa v121, v122, v121 dst_sel:WORD_1 dst_unused:UNUSED_PAD src0_sel:BYTE_0 src1_sel:DWORD
	v_add_u32_e32 v122, s28, v75
	v_add3_u32 v123, s17, v100, v101
	ds_read_b32 v123, v123
	ds_read_u16 v116, v122 offset:2
	v_or_b32_sdwa v124, v124, v125 dst_sel:DWORD dst_unused:UNUSED_PAD src0_sel:BYTE_0 src1_sel:DWORD
	v_or_b32_sdwa v121, v124, v121 dst_sel:DWORD dst_unused:UNUSED_PAD src0_sel:WORD_0 src1_sel:DWORD
	v_dot4_i32_i8 v115, v120, v3, v115
	v_dot4_i32_i8 v115, v121, v4, v115
	s_waitcnt lgkmcnt(0)
	v_lshrrev_b16_e32 v117, 8, v116
	v_bfe_i32 v116, v116, 0, 8
	v_mul_lo_u32 v114, v114, v116
	v_bfe_i32 v117, v117, 0, 8
	v_add3_u32 v122, s29, v102, v103
	v_mad_u64_u32 v[114:115], s[30:31], v115, v117, v[114:115]
	v_mul_f32_e32 v115, v112, v123
	ds_read2_b32 v[116:117], v122 offset1:1
	v_cvt_f32_i32_e32 v114, v114
	v_fmac_f32_e32 v64, v115, v114
	v_add_u32_e32 v114, 0x3180, v113
	ds_read2_b32 v[114:115], v114 offset1:1
	s_waitcnt lgkmcnt(1)
	v_ashrrev_i32_e32 v116, s2, v116
	v_lshlrev_b32_e32 v116, 2, v116
	v_and_b32_e32 v116, 0x4040404, v116
	v_ashrrev_i32_e32 v117, s2, v117
	s_waitcnt lgkmcnt(0)
	v_ashrrev_i32_e32 v114, s16, v114
	v_and_b32_e32 v118, 0x3030303, v114
	v_bfe_u32 v114, v114, 24, 2
	v_sub_u16_e32 v119, v118, v116
	v_sub_u16_sdwa v120, v118, v116 dst_sel:BYTE_1 dst_unused:UNUSED_PAD src0_sel:BYTE_1 src1_sel:BYTE_1
	v_sub_u16_sdwa v114, v114, v116 dst_sel:BYTE_1 dst_unused:UNUSED_PAD src0_sel:DWORD src1_sel:BYTE_3
	v_sub_u16_sdwa v116, v118, v116 dst_sel:DWORD dst_unused:UNUSED_PAD src0_sel:WORD_1 src1_sel:WORD_1
	v_ashrrev_i32_e32 v115, s16, v115
	v_lshlrev_b32_e32 v117, 2, v117
	v_or_b32_sdwa v119, v119, v120 dst_sel:DWORD dst_unused:UNUSED_PAD src0_sel:BYTE_0 src1_sel:DWORD
	v_or_b32_sdwa v114, v116, v114 dst_sel:WORD_1 dst_unused:UNUSED_PAD src0_sel:BYTE_0 src1_sel:DWORD
	v_and_b32_e32 v116, 0x3030303, v115
	v_bfe_u32 v115, v115, 24, 2
	v_and_b32_e32 v117, 0x4040404, v117
	v_or_b32_sdwa v114, v119, v114 dst_sel:DWORD dst_unused:UNUSED_PAD src0_sel:WORD_0 src1_sel:DWORD
	v_sub_u16_e32 v118, v116, v117
	v_sub_u16_sdwa v119, v116, v117 dst_sel:BYTE_1 dst_unused:UNUSED_PAD src0_sel:BYTE_1 src1_sel:BYTE_1
	v_sub_u16_sdwa v115, v115, v117 dst_sel:BYTE_1 dst_unused:UNUSED_PAD src0_sel:DWORD src1_sel:BYTE_3
	v_sub_u16_sdwa v116, v116, v117 dst_sel:DWORD dst_unused:UNUSED_PAD src0_sel:WORD_1 src1_sel:WORD_1
	v_or_b32_sdwa v118, v118, v119 dst_sel:DWORD dst_unused:UNUSED_PAD src0_sel:BYTE_0 src1_sel:DWORD
	v_or_b32_sdwa v115, v116, v115 dst_sel:WORD_1 dst_unused:UNUSED_PAD src0_sel:BYTE_0 src1_sel:DWORD
	v_add_u32_e32 v116, 0x3188, v113
	v_or_b32_sdwa v115, v118, v115 dst_sel:DWORD dst_unused:UNUSED_PAD src0_sel:WORD_0 src1_sel:DWORD
	ds_read2_b32 v[116:117], v116 offset1:1
	ds_read2_b32 v[118:119], v122 offset0:2 offset1:3
	v_dot4_i32_i8 v5, v114, v5, 0
	v_dot4_i32_i8 v5, v115, v6, v5
	s_waitcnt lgkmcnt(1)
	v_ashrrev_i32_e32 v116, s16, v116
	s_waitcnt lgkmcnt(0)
	v_ashrrev_i32_e32 v118, s2, v118
	v_lshlrev_b32_e32 v118, 2, v118
	v_and_b32_e32 v120, 0x3030303, v116
	v_bfe_u32 v116, v116, 24, 2
	v_and_b32_e32 v118, 0x4040404, v118
	v_ashrrev_i32_e32 v119, s2, v119
	v_sub_u16_e32 v121, v120, v118
	v_sub_u16_sdwa v123, v120, v118 dst_sel:BYTE_1 dst_unused:UNUSED_PAD src0_sel:BYTE_1 src1_sel:BYTE_1
	v_sub_u16_sdwa v116, v116, v118 dst_sel:BYTE_1 dst_unused:UNUSED_PAD src0_sel:DWORD src1_sel:BYTE_3
	v_sub_u16_sdwa v118, v120, v118 dst_sel:DWORD dst_unused:UNUSED_PAD src0_sel:WORD_1 src1_sel:WORD_1
	v_ashrrev_i32_e32 v117, s16, v117
	v_lshlrev_b32_e32 v119, 2, v119
	v_or_b32_sdwa v121, v121, v123 dst_sel:DWORD dst_unused:UNUSED_PAD src0_sel:BYTE_0 src1_sel:DWORD
	v_or_b32_sdwa v116, v118, v116 dst_sel:WORD_1 dst_unused:UNUSED_PAD src0_sel:BYTE_0 src1_sel:DWORD
	v_and_b32_e32 v118, 0x3030303, v117
	v_bfe_u32 v117, v117, 24, 2
	v_and_b32_e32 v119, 0x4040404, v119
	v_or_b32_sdwa v116, v121, v116 dst_sel:DWORD dst_unused:UNUSED_PAD src0_sel:WORD_0 src1_sel:DWORD
	v_sub_u16_e32 v120, v118, v119
	v_sub_u16_sdwa v121, v118, v119 dst_sel:BYTE_1 dst_unused:UNUSED_PAD src0_sel:BYTE_1 src1_sel:BYTE_1
	v_sub_u16_sdwa v117, v117, v119 dst_sel:BYTE_1 dst_unused:UNUSED_PAD src0_sel:DWORD src1_sel:BYTE_3
	v_sub_u16_sdwa v118, v118, v119 dst_sel:DWORD dst_unused:UNUSED_PAD src0_sel:WORD_1 src1_sel:WORD_1
	v_or_b32_sdwa v120, v120, v121 dst_sel:DWORD dst_unused:UNUSED_PAD src0_sel:BYTE_0 src1_sel:DWORD
	v_or_b32_sdwa v117, v118, v117 dst_sel:WORD_1 dst_unused:UNUSED_PAD src0_sel:BYTE_0 src1_sel:DWORD
	v_add_u32_e32 v118, 0x3190, v113
	v_or_b32_sdwa v117, v120, v117 dst_sel:DWORD dst_unused:UNUSED_PAD src0_sel:WORD_0 src1_sel:DWORD
	ds_read2_b32 v[118:119], v118 offset1:1
	ds_read2_b32 v[120:121], v122 offset0:4 offset1:5
	v_add_u32_e32 v113, 0x3198, v113
	v_dot4_i32_i8 v5, v116, v7, v5
	v_dot4_i32_i8 v5, v117, v8, v5
	s_waitcnt lgkmcnt(1)
	v_ashrrev_i32_e32 v118, s16, v118
	s_waitcnt lgkmcnt(0)
	v_ashrrev_i32_e32 v120, s2, v120
	v_lshlrev_b32_e32 v120, 2, v120
	v_and_b32_e32 v123, 0x3030303, v118
	v_bfe_u32 v118, v118, 24, 2
	v_and_b32_e32 v120, 0x4040404, v120
	v_ashrrev_i32_e32 v121, s2, v121
	v_sub_u16_e32 v124, v123, v120
	v_sub_u16_sdwa v125, v123, v120 dst_sel:BYTE_1 dst_unused:UNUSED_PAD src0_sel:BYTE_1 src1_sel:BYTE_1
	v_sub_u16_sdwa v118, v118, v120 dst_sel:BYTE_1 dst_unused:UNUSED_PAD src0_sel:DWORD src1_sel:BYTE_3
	v_sub_u16_sdwa v120, v123, v120 dst_sel:DWORD dst_unused:UNUSED_PAD src0_sel:WORD_1 src1_sel:WORD_1
	v_ashrrev_i32_e32 v119, s16, v119
	v_lshlrev_b32_e32 v121, 2, v121
	v_or_b32_sdwa v124, v124, v125 dst_sel:DWORD dst_unused:UNUSED_PAD src0_sel:BYTE_0 src1_sel:DWORD
	v_or_b32_sdwa v118, v120, v118 dst_sel:WORD_1 dst_unused:UNUSED_PAD src0_sel:BYTE_0 src1_sel:DWORD
	v_and_b32_e32 v120, 0x3030303, v119
	v_bfe_u32 v119, v119, 24, 2
	v_and_b32_e32 v121, 0x4040404, v121
	v_or_b32_sdwa v118, v124, v118 dst_sel:DWORD dst_unused:UNUSED_PAD src0_sel:WORD_0 src1_sel:DWORD
	v_sub_u16_e32 v123, v120, v121
	v_sub_u16_sdwa v124, v120, v121 dst_sel:BYTE_1 dst_unused:UNUSED_PAD src0_sel:BYTE_1 src1_sel:BYTE_1
	v_sub_u16_sdwa v119, v119, v121 dst_sel:BYTE_1 dst_unused:UNUSED_PAD src0_sel:DWORD src1_sel:BYTE_3
	v_sub_u16_sdwa v120, v120, v121 dst_sel:DWORD dst_unused:UNUSED_PAD src0_sel:WORD_1 src1_sel:WORD_1
	v_or_b32_sdwa v123, v123, v124 dst_sel:DWORD dst_unused:UNUSED_PAD src0_sel:BYTE_0 src1_sel:DWORD
	v_or_b32_sdwa v119, v120, v119 dst_sel:WORD_1 dst_unused:UNUSED_PAD src0_sel:BYTE_0 src1_sel:DWORD
	v_or_b32_sdwa v119, v123, v119 dst_sel:DWORD dst_unused:UNUSED_PAD src0_sel:WORD_0 src1_sel:DWORD
	ds_read2_b32 v[120:121], v113 offset1:1
	ds_read2_b32 v[122:123], v122 offset0:6 offset1:7
	v_dot4_i32_i8 v1, v118, v1, 0
	v_dot4_i32_i8 v1, v119, v2, v1
	s_waitcnt lgkmcnt(1)
	v_ashrrev_i32_e32 v113, s16, v120
	s_waitcnt lgkmcnt(0)
	v_ashrrev_i32_e32 v122, s2, v122
	v_lshlrev_b32_e32 v122, 2, v122
	v_and_b32_e32 v120, 0x3030303, v113
	v_bfe_u32 v113, v113, 24, 2
	v_and_b32_e32 v122, 0x4040404, v122
	v_sub_u16_e32 v124, v120, v122
	v_sub_u16_sdwa v125, v120, v122 dst_sel:BYTE_1 dst_unused:UNUSED_PAD src0_sel:BYTE_1 src1_sel:BYTE_1
	v_sub_u16_sdwa v113, v113, v122 dst_sel:BYTE_1 dst_unused:UNUSED_PAD src0_sel:DWORD src1_sel:BYTE_3
	v_sub_u16_sdwa v120, v120, v122 dst_sel:DWORD dst_unused:UNUSED_PAD src0_sel:WORD_1 src1_sel:WORD_1
	v_ashrrev_i32_e32 v122, s2, v123
	v_or_b32_sdwa v113, v120, v113 dst_sel:WORD_1 dst_unused:UNUSED_PAD src0_sel:BYTE_0 src1_sel:DWORD
	v_ashrrev_i32_e32 v120, s16, v121
	v_lshlrev_b32_e32 v122, 2, v122
	v_or_b32_sdwa v124, v124, v125 dst_sel:DWORD dst_unused:UNUSED_PAD src0_sel:BYTE_0 src1_sel:DWORD
	v_and_b32_e32 v121, 0x3030303, v120
	v_bfe_u32 v120, v120, 24, 2
	v_and_b32_e32 v122, 0x4040404, v122
	v_or_b32_sdwa v113, v124, v113 dst_sel:DWORD dst_unused:UNUSED_PAD src0_sel:WORD_0 src1_sel:DWORD
	v_sub_u16_e32 v123, v121, v122
	v_sub_u16_sdwa v124, v121, v122 dst_sel:BYTE_1 dst_unused:UNUSED_PAD src0_sel:BYTE_1 src1_sel:BYTE_1
	v_sub_u16_sdwa v120, v120, v122 dst_sel:BYTE_1 dst_unused:UNUSED_PAD src0_sel:DWORD src1_sel:BYTE_3
	v_sub_u16_sdwa v121, v121, v122 dst_sel:DWORD dst_unused:UNUSED_PAD src0_sel:WORD_1 src1_sel:WORD_1
	v_or_b32_sdwa v123, v123, v124 dst_sel:DWORD dst_unused:UNUSED_PAD src0_sel:BYTE_0 src1_sel:DWORD
	v_or_b32_sdwa v120, v121, v120 dst_sel:WORD_1 dst_unused:UNUSED_PAD src0_sel:BYTE_0 src1_sel:DWORD
	v_or_b32_sdwa v120, v123, v120 dst_sel:DWORD dst_unused:UNUSED_PAD src0_sel:WORD_0 src1_sel:DWORD
	v_add_u32_e32 v122, s28, v73
	v_add3_u32 v121, s17, v104, v105
	v_dot4_i32_i8 v1, v113, v3, v1
	ds_read_b32 v121, v121
	v_dot4_i32_i8 v2, v120, v4, v1
	ds_read_u16 v1, v122 offset:2
	s_add_i32 s2, s2, 1
	s_cmp_lt_u32 s16, 6
	s_mov_b32 s17, s16
	s_waitcnt lgkmcnt(0)
	v_lshrrev_b16_e32 v3, 8, v1
	v_bfe_i32 v1, v1, 0, 8
	v_mul_lo_u32 v1, v5, v1
	v_bfe_i32 v3, v3, 0, 8
	v_mad_u64_u32 v[1:2], s[28:29], v2, v3, v[1:2]
	v_mul_f32_e32 v2, v112, v121
	v_cvt_f32_i32_e32 v1, v1
	v_fmac_f32_e32 v9, v2, v1
	s_cbranch_scc1 .LBB189_11
; %bb.12:                               ;   in Loop: Header=BB189_5 Depth=1
	s_or_b32 s2, s26, 0x80
	s_cmp_ge_i32 s2, s15
	s_barrier
	s_cbranch_scc1 .LBB189_4
; %bb.13:                               ;   in Loop: Header=BB189_5 Depth=1
	v_add_u32_e32 v1, s27, v65
	v_cmp_gt_i32_e64 s[2:3], s9, v1
	s_and_b64 s[16:17], s[0:1], s[2:3]
	s_and_saveexec_b64 s[2:3], s[16:17]
	s_cbranch_execz .LBB189_15
; %bb.14:                               ;   in Loop: Header=BB189_5 Depth=1
	v_add_u32_e32 v1, v69, v1
	v_mad_i64_i32 v[1:2], s[16:17], v1, 36, v[10:11]
	global_load_dword v1, v[1:2], off offset:4
	s_waitcnt vmcnt(0)
	ds_write_b32 v61, v1
.LBB189_15:                             ;   in Loop: Header=BB189_5 Depth=1
	s_or_b64 exec, exec, s[2:3]
	s_and_saveexec_b64 s[16:17], vcc
	s_cbranch_execz .LBB189_18
; %bb.16:                               ;   in Loop: Header=BB189_5 Depth=1
	v_or_b32_e32 v1, 4, v109
	v_cmp_gt_i32_e64 s[2:3], s9, v1
	s_and_b64 s[2:3], s[0:1], s[2:3]
	s_and_b64 exec, exec, s[2:3]
	s_cbranch_execz .LBB189_18
; %bb.17:                               ;   in Loop: Header=BB189_5 Depth=1
	v_ashrrev_i32_e32 v1, 31, v109
	v_add_co_u32_e64 v2, s[2:3], v69, v109
	v_addc_co_u32_e64 v3, s[2:3], v71, v1, s[2:3]
	v_mad_u64_u32 v[1:2], s[2:3], v2, 36, s[6:7]
	v_mad_i32_i24 v2, v3, 36, v2
	global_load_dword v1, v[1:2], off offset:144
	s_waitcnt vmcnt(0)
	v_cvt_f32_f16_e32 v1, v1
	ds_write_b32 v63, v1
.LBB189_18:                             ;   in Loop: Header=BB189_5 Depth=1
	s_or_b64 exec, exec, s[16:17]
	s_mov_b32 s2, 8
	s_mov_b32 s17, 6
	;; [unrolled: 1-line block ×3, first 2 shown]
	v_mov_b32_e32 v110, v60
	v_mov_b32_e32 v111, v62
	s_waitcnt lgkmcnt(0)
	s_barrier
.LBB189_19:                             ;   Parent Loop BB189_5 Depth=1
                                        ; =>  This Inner Loop Header: Depth=2
	s_add_i32 s16, s17, 2
	s_lshr_b32 s31, s16, 4
	s_and_b32 s30, s16, 0x3ffffff8
	v_lshl_add_u32 v113, s30, 2, v70
	s_lshl_b32 s30, s31, 5
	s_addk_i32 s30, 0x4200
	v_add3_u32 v122, s30, v106, v93
	ds_read_b32 v112, v111
	ds_read_b128 v[5:8], v110
	ds_read_b128 v[1:4], v110 offset:16
	ds_read2_b32 v[114:115], v113 offset1:1
	ds_read2_b32 v[116:117], v122 offset1:1
	s_add_i32 s29, s17, -6
	s_and_b32 s28, s2, -16
	s_add_i32 s28, s17, s28
	s_waitcnt lgkmcnt(1)
	v_ashrrev_i32_e32 v114, s29, v114
	s_waitcnt lgkmcnt(0)
	v_ashrrev_i32_e32 v116, s3, v116
	v_lshlrev_b32_e32 v116, 2, v116
	v_and_b32_e32 v118, 0x3030303, v114
	v_bfe_u32 v114, v114, 24, 2
	v_and_b32_e32 v116, 0x4040404, v116
	v_ashrrev_i32_e32 v117, s3, v117
	v_sub_u16_e32 v119, v118, v116
	v_sub_u16_sdwa v120, v118, v116 dst_sel:BYTE_1 dst_unused:UNUSED_PAD src0_sel:BYTE_1 src1_sel:BYTE_1
	v_sub_u16_sdwa v114, v114, v116 dst_sel:BYTE_1 dst_unused:UNUSED_PAD src0_sel:DWORD src1_sel:BYTE_3
	v_sub_u16_sdwa v116, v118, v116 dst_sel:DWORD dst_unused:UNUSED_PAD src0_sel:WORD_1 src1_sel:WORD_1
	v_ashrrev_i32_e32 v115, s29, v115
	v_lshlrev_b32_e32 v117, 2, v117
	v_or_b32_sdwa v119, v119, v120 dst_sel:DWORD dst_unused:UNUSED_PAD src0_sel:BYTE_0 src1_sel:DWORD
	v_or_b32_sdwa v114, v116, v114 dst_sel:WORD_1 dst_unused:UNUSED_PAD src0_sel:BYTE_0 src1_sel:DWORD
	v_and_b32_e32 v116, 0x3030303, v115
	v_bfe_u32 v115, v115, 24, 2
	v_and_b32_e32 v117, 0x4040404, v117
	v_or_b32_sdwa v114, v119, v114 dst_sel:DWORD dst_unused:UNUSED_PAD src0_sel:WORD_0 src1_sel:DWORD
	v_sub_u16_e32 v118, v116, v117
	v_sub_u16_sdwa v119, v116, v117 dst_sel:BYTE_1 dst_unused:UNUSED_PAD src0_sel:BYTE_1 src1_sel:BYTE_1
	v_sub_u16_sdwa v115, v115, v117 dst_sel:BYTE_1 dst_unused:UNUSED_PAD src0_sel:DWORD src1_sel:BYTE_3
	v_sub_u16_sdwa v116, v116, v117 dst_sel:DWORD dst_unused:UNUSED_PAD src0_sel:WORD_1 src1_sel:WORD_1
	v_or_b32_sdwa v118, v118, v119 dst_sel:DWORD dst_unused:UNUSED_PAD src0_sel:BYTE_0 src1_sel:DWORD
	v_or_b32_sdwa v115, v116, v115 dst_sel:WORD_1 dst_unused:UNUSED_PAD src0_sel:BYTE_0 src1_sel:DWORD
	v_or_b32_sdwa v115, v118, v115 dst_sel:DWORD dst_unused:UNUSED_PAD src0_sel:WORD_0 src1_sel:DWORD
	ds_read2_b32 v[116:117], v113 offset0:2 offset1:3
	ds_read2_b32 v[118:119], v122 offset0:2 offset1:3
	s_lshl_b32 s17, s31, 2
	s_addk_i32 s17, 0x7380
	v_dot4_i32_i8 v114, v114, v5, 0
	s_waitcnt lgkmcnt(1)
	v_ashrrev_i32_e32 v116, s29, v116
	s_waitcnt lgkmcnt(0)
	v_ashrrev_i32_e32 v118, s3, v118
	v_lshlrev_b32_e32 v118, 2, v118
	v_and_b32_e32 v120, 0x3030303, v116
	v_bfe_u32 v116, v116, 24, 2
	v_and_b32_e32 v118, 0x4040404, v118
	v_ashrrev_i32_e32 v119, s3, v119
	v_sub_u16_e32 v121, v120, v118
	v_sub_u16_sdwa v123, v120, v118 dst_sel:BYTE_1 dst_unused:UNUSED_PAD src0_sel:BYTE_1 src1_sel:BYTE_1
	v_sub_u16_sdwa v116, v116, v118 dst_sel:BYTE_1 dst_unused:UNUSED_PAD src0_sel:DWORD src1_sel:BYTE_3
	v_sub_u16_sdwa v118, v120, v118 dst_sel:DWORD dst_unused:UNUSED_PAD src0_sel:WORD_1 src1_sel:WORD_1
	v_ashrrev_i32_e32 v117, s29, v117
	v_lshlrev_b32_e32 v119, 2, v119
	v_or_b32_sdwa v121, v121, v123 dst_sel:DWORD dst_unused:UNUSED_PAD src0_sel:BYTE_0 src1_sel:DWORD
	v_or_b32_sdwa v116, v118, v116 dst_sel:WORD_1 dst_unused:UNUSED_PAD src0_sel:BYTE_0 src1_sel:DWORD
	v_and_b32_e32 v118, 0x3030303, v117
	v_bfe_u32 v117, v117, 24, 2
	v_and_b32_e32 v119, 0x4040404, v119
	v_or_b32_sdwa v116, v121, v116 dst_sel:DWORD dst_unused:UNUSED_PAD src0_sel:WORD_0 src1_sel:DWORD
	v_sub_u16_e32 v120, v118, v119
	v_sub_u16_sdwa v121, v118, v119 dst_sel:BYTE_1 dst_unused:UNUSED_PAD src0_sel:BYTE_1 src1_sel:BYTE_1
	v_sub_u16_sdwa v117, v117, v119 dst_sel:BYTE_1 dst_unused:UNUSED_PAD src0_sel:DWORD src1_sel:BYTE_3
	v_sub_u16_sdwa v118, v118, v119 dst_sel:DWORD dst_unused:UNUSED_PAD src0_sel:WORD_1 src1_sel:WORD_1
	v_or_b32_sdwa v120, v120, v121 dst_sel:DWORD dst_unused:UNUSED_PAD src0_sel:BYTE_0 src1_sel:DWORD
	v_or_b32_sdwa v117, v118, v117 dst_sel:WORD_1 dst_unused:UNUSED_PAD src0_sel:BYTE_0 src1_sel:DWORD
	v_or_b32_sdwa v117, v120, v117 dst_sel:DWORD dst_unused:UNUSED_PAD src0_sel:WORD_0 src1_sel:DWORD
	ds_read2_b32 v[118:119], v113 offset0:4 offset1:5
	ds_read2_b32 v[120:121], v122 offset0:4 offset1:5
	v_dot4_i32_i8 v114, v115, v6, v114
	v_dot4_i32_i8 v114, v116, v7, v114
	;; [unrolled: 1-line block ×3, first 2 shown]
	s_waitcnt lgkmcnt(1)
	v_ashrrev_i32_e32 v118, s29, v118
	s_waitcnt lgkmcnt(0)
	v_ashrrev_i32_e32 v120, s3, v120
	v_lshlrev_b32_e32 v120, 2, v120
	v_and_b32_e32 v123, 0x3030303, v118
	v_bfe_u32 v118, v118, 24, 2
	v_and_b32_e32 v120, 0x4040404, v120
	v_ashrrev_i32_e32 v121, s3, v121
	v_sub_u16_e32 v124, v123, v120
	v_sub_u16_sdwa v125, v123, v120 dst_sel:BYTE_1 dst_unused:UNUSED_PAD src0_sel:BYTE_1 src1_sel:BYTE_1
	v_sub_u16_sdwa v118, v118, v120 dst_sel:BYTE_1 dst_unused:UNUSED_PAD src0_sel:DWORD src1_sel:BYTE_3
	v_sub_u16_sdwa v120, v123, v120 dst_sel:DWORD dst_unused:UNUSED_PAD src0_sel:WORD_1 src1_sel:WORD_1
	v_ashrrev_i32_e32 v119, s29, v119
	v_lshlrev_b32_e32 v121, 2, v121
	v_or_b32_sdwa v124, v124, v125 dst_sel:DWORD dst_unused:UNUSED_PAD src0_sel:BYTE_0 src1_sel:DWORD
	v_or_b32_sdwa v118, v120, v118 dst_sel:WORD_1 dst_unused:UNUSED_PAD src0_sel:BYTE_0 src1_sel:DWORD
	v_and_b32_e32 v120, 0x3030303, v119
	v_bfe_u32 v119, v119, 24, 2
	v_and_b32_e32 v121, 0x4040404, v121
	v_or_b32_sdwa v118, v124, v118 dst_sel:DWORD dst_unused:UNUSED_PAD src0_sel:WORD_0 src1_sel:DWORD
	v_sub_u16_e32 v123, v120, v121
	v_sub_u16_sdwa v124, v120, v121 dst_sel:BYTE_1 dst_unused:UNUSED_PAD src0_sel:BYTE_1 src1_sel:BYTE_1
	v_sub_u16_sdwa v119, v119, v121 dst_sel:BYTE_1 dst_unused:UNUSED_PAD src0_sel:DWORD src1_sel:BYTE_3
	v_sub_u16_sdwa v120, v120, v121 dst_sel:DWORD dst_unused:UNUSED_PAD src0_sel:WORD_1 src1_sel:WORD_1
	v_or_b32_sdwa v123, v123, v124 dst_sel:DWORD dst_unused:UNUSED_PAD src0_sel:BYTE_0 src1_sel:DWORD
	v_or_b32_sdwa v119, v120, v119 dst_sel:WORD_1 dst_unused:UNUSED_PAD src0_sel:BYTE_0 src1_sel:DWORD
	v_or_b32_sdwa v119, v123, v119 dst_sel:DWORD dst_unused:UNUSED_PAD src0_sel:WORD_0 src1_sel:DWORD
	ds_read2_b32 v[120:121], v113 offset0:6 offset1:7
	ds_read2_b32 v[122:123], v122 offset0:6 offset1:7
	v_dot4_i32_i8 v115, v118, v1, 0
	v_dot4_i32_i8 v115, v119, v2, v115
	s_add_i32 s2, s2, 2
	s_waitcnt lgkmcnt(1)
	v_ashrrev_i32_e32 v120, s29, v120
	s_waitcnt lgkmcnt(0)
	v_ashrrev_i32_e32 v122, s3, v122
	v_lshlrev_b32_e32 v122, 2, v122
	v_and_b32_e32 v124, 0x3030303, v120
	v_bfe_u32 v120, v120, 24, 2
	v_and_b32_e32 v122, 0x4040404, v122
	v_ashrrev_i32_e32 v123, s3, v123
	v_sub_u16_e32 v125, v124, v122
	v_sub_u16_sdwa v126, v124, v122 dst_sel:BYTE_1 dst_unused:UNUSED_PAD src0_sel:BYTE_1 src1_sel:BYTE_1
	v_sub_u16_sdwa v120, v120, v122 dst_sel:BYTE_1 dst_unused:UNUSED_PAD src0_sel:DWORD src1_sel:BYTE_3
	v_sub_u16_sdwa v122, v124, v122 dst_sel:DWORD dst_unused:UNUSED_PAD src0_sel:WORD_1 src1_sel:WORD_1
	v_ashrrev_i32_e32 v121, s29, v121
	v_lshlrev_b32_e32 v123, 2, v123
	v_or_b32_sdwa v125, v125, v126 dst_sel:DWORD dst_unused:UNUSED_PAD src0_sel:BYTE_0 src1_sel:DWORD
	v_or_b32_sdwa v120, v122, v120 dst_sel:WORD_1 dst_unused:UNUSED_PAD src0_sel:BYTE_0 src1_sel:DWORD
	v_and_b32_e32 v122, 0x3030303, v121
	v_bfe_u32 v121, v121, 24, 2
	v_and_b32_e32 v123, 0x4040404, v123
	v_or_b32_sdwa v120, v125, v120 dst_sel:DWORD dst_unused:UNUSED_PAD src0_sel:WORD_0 src1_sel:DWORD
	v_sub_u16_e32 v124, v122, v123
	v_sub_u16_sdwa v125, v122, v123 dst_sel:BYTE_1 dst_unused:UNUSED_PAD src0_sel:BYTE_1 src1_sel:BYTE_1
	v_sub_u16_sdwa v121, v121, v123 dst_sel:BYTE_1 dst_unused:UNUSED_PAD src0_sel:DWORD src1_sel:BYTE_3
	v_sub_u16_sdwa v122, v122, v123 dst_sel:DWORD dst_unused:UNUSED_PAD src0_sel:WORD_1 src1_sel:WORD_1
	v_or_b32_sdwa v121, v122, v121 dst_sel:WORD_1 dst_unused:UNUSED_PAD src0_sel:BYTE_0 src1_sel:DWORD
	v_add_u32_e32 v122, s28, v78
	v_add3_u32 v123, s17, v107, v108
	ds_read_b32 v123, v123
	ds_read_u16 v116, v122 offset:25346
	v_or_b32_sdwa v124, v124, v125 dst_sel:DWORD dst_unused:UNUSED_PAD src0_sel:BYTE_0 src1_sel:DWORD
	v_or_b32_sdwa v121, v124, v121 dst_sel:DWORD dst_unused:UNUSED_PAD src0_sel:WORD_0 src1_sel:DWORD
	v_dot4_i32_i8 v115, v120, v3, v115
	v_dot4_i32_i8 v115, v121, v4, v115
	s_waitcnt lgkmcnt(0)
	v_lshrrev_b16_e32 v117, 8, v116
	v_bfe_i32 v116, v116, 0, 8
	v_mul_lo_u32 v114, v114, v116
	v_bfe_i32 v117, v117, 0, 8
	v_add3_u32 v122, s30, v94, v95
	v_add_u32_e32 v111, 4, v111
	v_mad_u64_u32 v[114:115], s[34:35], v115, v117, v[114:115]
	v_mul_f32_e32 v115, v112, v123
	ds_read2_b32 v[116:117], v122 offset1:1
	v_cvt_f32_i32_e32 v114, v114
	v_add_u32_e32 v110, 32, v110
	v_fmac_f32_e32 v13, v115, v114
	v_add_u32_e32 v114, 0x1080, v113
	ds_read2_b32 v[114:115], v114 offset1:1
	s_waitcnt lgkmcnt(1)
	v_ashrrev_i32_e32 v116, s3, v116
	v_lshlrev_b32_e32 v116, 2, v116
	v_and_b32_e32 v116, 0x4040404, v116
	v_ashrrev_i32_e32 v117, s3, v117
	s_waitcnt lgkmcnt(0)
	v_ashrrev_i32_e32 v114, s29, v114
	v_and_b32_e32 v118, 0x3030303, v114
	v_bfe_u32 v114, v114, 24, 2
	v_sub_u16_e32 v119, v118, v116
	v_sub_u16_sdwa v120, v118, v116 dst_sel:BYTE_1 dst_unused:UNUSED_PAD src0_sel:BYTE_1 src1_sel:BYTE_1
	v_sub_u16_sdwa v114, v114, v116 dst_sel:BYTE_1 dst_unused:UNUSED_PAD src0_sel:DWORD src1_sel:BYTE_3
	v_sub_u16_sdwa v116, v118, v116 dst_sel:DWORD dst_unused:UNUSED_PAD src0_sel:WORD_1 src1_sel:WORD_1
	v_ashrrev_i32_e32 v115, s29, v115
	v_lshlrev_b32_e32 v117, 2, v117
	v_or_b32_sdwa v119, v119, v120 dst_sel:DWORD dst_unused:UNUSED_PAD src0_sel:BYTE_0 src1_sel:DWORD
	v_or_b32_sdwa v114, v116, v114 dst_sel:WORD_1 dst_unused:UNUSED_PAD src0_sel:BYTE_0 src1_sel:DWORD
	v_and_b32_e32 v116, 0x3030303, v115
	v_bfe_u32 v115, v115, 24, 2
	v_and_b32_e32 v117, 0x4040404, v117
	v_or_b32_sdwa v114, v119, v114 dst_sel:DWORD dst_unused:UNUSED_PAD src0_sel:WORD_0 src1_sel:DWORD
	v_sub_u16_e32 v118, v116, v117
	v_sub_u16_sdwa v119, v116, v117 dst_sel:BYTE_1 dst_unused:UNUSED_PAD src0_sel:BYTE_1 src1_sel:BYTE_1
	v_sub_u16_sdwa v115, v115, v117 dst_sel:BYTE_1 dst_unused:UNUSED_PAD src0_sel:DWORD src1_sel:BYTE_3
	v_sub_u16_sdwa v116, v116, v117 dst_sel:DWORD dst_unused:UNUSED_PAD src0_sel:WORD_1 src1_sel:WORD_1
	v_or_b32_sdwa v118, v118, v119 dst_sel:DWORD dst_unused:UNUSED_PAD src0_sel:BYTE_0 src1_sel:DWORD
	v_or_b32_sdwa v115, v116, v115 dst_sel:WORD_1 dst_unused:UNUSED_PAD src0_sel:BYTE_0 src1_sel:DWORD
	v_add_u32_e32 v116, 0x1088, v113
	v_or_b32_sdwa v115, v118, v115 dst_sel:DWORD dst_unused:UNUSED_PAD src0_sel:WORD_0 src1_sel:DWORD
	ds_read2_b32 v[116:117], v116 offset1:1
	ds_read2_b32 v[118:119], v122 offset0:2 offset1:3
	v_dot4_i32_i8 v114, v114, v5, 0
	v_dot4_i32_i8 v114, v115, v6, v114
	s_waitcnt lgkmcnt(1)
	v_ashrrev_i32_e32 v116, s29, v116
	s_waitcnt lgkmcnt(0)
	v_ashrrev_i32_e32 v118, s3, v118
	v_lshlrev_b32_e32 v118, 2, v118
	v_and_b32_e32 v120, 0x3030303, v116
	v_bfe_u32 v116, v116, 24, 2
	v_and_b32_e32 v118, 0x4040404, v118
	v_ashrrev_i32_e32 v119, s3, v119
	v_sub_u16_e32 v121, v120, v118
	v_sub_u16_sdwa v123, v120, v118 dst_sel:BYTE_1 dst_unused:UNUSED_PAD src0_sel:BYTE_1 src1_sel:BYTE_1
	v_sub_u16_sdwa v116, v116, v118 dst_sel:BYTE_1 dst_unused:UNUSED_PAD src0_sel:DWORD src1_sel:BYTE_3
	v_sub_u16_sdwa v118, v120, v118 dst_sel:DWORD dst_unused:UNUSED_PAD src0_sel:WORD_1 src1_sel:WORD_1
	v_ashrrev_i32_e32 v117, s29, v117
	v_lshlrev_b32_e32 v119, 2, v119
	v_or_b32_sdwa v121, v121, v123 dst_sel:DWORD dst_unused:UNUSED_PAD src0_sel:BYTE_0 src1_sel:DWORD
	v_or_b32_sdwa v116, v118, v116 dst_sel:WORD_1 dst_unused:UNUSED_PAD src0_sel:BYTE_0 src1_sel:DWORD
	v_and_b32_e32 v118, 0x3030303, v117
	v_bfe_u32 v117, v117, 24, 2
	v_and_b32_e32 v119, 0x4040404, v119
	v_or_b32_sdwa v116, v121, v116 dst_sel:DWORD dst_unused:UNUSED_PAD src0_sel:WORD_0 src1_sel:DWORD
	v_sub_u16_e32 v120, v118, v119
	v_sub_u16_sdwa v121, v118, v119 dst_sel:BYTE_1 dst_unused:UNUSED_PAD src0_sel:BYTE_1 src1_sel:BYTE_1
	v_sub_u16_sdwa v117, v117, v119 dst_sel:BYTE_1 dst_unused:UNUSED_PAD src0_sel:DWORD src1_sel:BYTE_3
	v_sub_u16_sdwa v118, v118, v119 dst_sel:DWORD dst_unused:UNUSED_PAD src0_sel:WORD_1 src1_sel:WORD_1
	v_or_b32_sdwa v120, v120, v121 dst_sel:DWORD dst_unused:UNUSED_PAD src0_sel:BYTE_0 src1_sel:DWORD
	v_or_b32_sdwa v117, v118, v117 dst_sel:WORD_1 dst_unused:UNUSED_PAD src0_sel:BYTE_0 src1_sel:DWORD
	v_add_u32_e32 v118, 0x1090, v113
	v_or_b32_sdwa v117, v120, v117 dst_sel:DWORD dst_unused:UNUSED_PAD src0_sel:WORD_0 src1_sel:DWORD
	ds_read2_b32 v[118:119], v118 offset1:1
	ds_read2_b32 v[120:121], v122 offset0:4 offset1:5
	v_dot4_i32_i8 v114, v116, v7, v114
	v_dot4_i32_i8 v114, v117, v8, v114
	s_waitcnt lgkmcnt(1)
	v_ashrrev_i32_e32 v118, s29, v118
	s_waitcnt lgkmcnt(0)
	v_ashrrev_i32_e32 v120, s3, v120
	v_lshlrev_b32_e32 v120, 2, v120
	v_and_b32_e32 v123, 0x3030303, v118
	v_bfe_u32 v118, v118, 24, 2
	v_and_b32_e32 v120, 0x4040404, v120
	v_ashrrev_i32_e32 v121, s3, v121
	;; [unrolled: 33-line block ×3, first 2 shown]
	v_sub_u16_e32 v125, v124, v122
	v_sub_u16_sdwa v126, v124, v122 dst_sel:BYTE_1 dst_unused:UNUSED_PAD src0_sel:BYTE_1 src1_sel:BYTE_1
	v_sub_u16_sdwa v120, v120, v122 dst_sel:BYTE_1 dst_unused:UNUSED_PAD src0_sel:DWORD src1_sel:BYTE_3
	v_sub_u16_sdwa v122, v124, v122 dst_sel:DWORD dst_unused:UNUSED_PAD src0_sel:WORD_1 src1_sel:WORD_1
	v_ashrrev_i32_e32 v121, s29, v121
	v_lshlrev_b32_e32 v123, 2, v123
	v_or_b32_sdwa v125, v125, v126 dst_sel:DWORD dst_unused:UNUSED_PAD src0_sel:BYTE_0 src1_sel:DWORD
	v_or_b32_sdwa v120, v122, v120 dst_sel:WORD_1 dst_unused:UNUSED_PAD src0_sel:BYTE_0 src1_sel:DWORD
	v_and_b32_e32 v122, 0x3030303, v121
	v_bfe_u32 v121, v121, 24, 2
	v_and_b32_e32 v123, 0x4040404, v123
	v_or_b32_sdwa v120, v125, v120 dst_sel:DWORD dst_unused:UNUSED_PAD src0_sel:WORD_0 src1_sel:DWORD
	v_sub_u16_e32 v124, v122, v123
	v_sub_u16_sdwa v125, v122, v123 dst_sel:BYTE_1 dst_unused:UNUSED_PAD src0_sel:BYTE_1 src1_sel:BYTE_1
	v_sub_u16_sdwa v121, v121, v123 dst_sel:BYTE_1 dst_unused:UNUSED_PAD src0_sel:DWORD src1_sel:BYTE_3
	v_sub_u16_sdwa v122, v122, v123 dst_sel:DWORD dst_unused:UNUSED_PAD src0_sel:WORD_1 src1_sel:WORD_1
	v_or_b32_sdwa v121, v122, v121 dst_sel:WORD_1 dst_unused:UNUSED_PAD src0_sel:BYTE_0 src1_sel:DWORD
	v_add_u32_e32 v122, s28, v76
	v_add3_u32 v123, s17, v96, v97
	ds_read_b32 v123, v123
	ds_read_u16 v116, v122 offset:26370
	v_or_b32_sdwa v124, v124, v125 dst_sel:DWORD dst_unused:UNUSED_PAD src0_sel:BYTE_0 src1_sel:DWORD
	v_or_b32_sdwa v121, v124, v121 dst_sel:DWORD dst_unused:UNUSED_PAD src0_sel:WORD_0 src1_sel:DWORD
	v_dot4_i32_i8 v115, v120, v3, v115
	v_dot4_i32_i8 v115, v121, v4, v115
	s_waitcnt lgkmcnt(0)
	v_lshrrev_b16_e32 v117, 8, v116
	v_bfe_i32 v116, v116, 0, 8
	v_mul_lo_u32 v114, v114, v116
	v_bfe_i32 v117, v117, 0, 8
	v_add3_u32 v122, s30, v98, v99
	v_mad_u64_u32 v[114:115], s[34:35], v115, v117, v[114:115]
	v_mul_f32_e32 v115, v112, v123
	ds_read2_b32 v[116:117], v122 offset1:1
	v_cvt_f32_i32_e32 v114, v114
	v_fmac_f32_e32 v68, v115, v114
	v_add_u32_e32 v114, 0x2100, v113
	ds_read2_b32 v[114:115], v114 offset1:1
	s_waitcnt lgkmcnt(1)
	v_ashrrev_i32_e32 v116, s3, v116
	v_lshlrev_b32_e32 v116, 2, v116
	v_and_b32_e32 v116, 0x4040404, v116
	v_ashrrev_i32_e32 v117, s3, v117
	s_waitcnt lgkmcnt(0)
	v_ashrrev_i32_e32 v114, s29, v114
	v_and_b32_e32 v118, 0x3030303, v114
	v_bfe_u32 v114, v114, 24, 2
	v_sub_u16_e32 v119, v118, v116
	v_sub_u16_sdwa v120, v118, v116 dst_sel:BYTE_1 dst_unused:UNUSED_PAD src0_sel:BYTE_1 src1_sel:BYTE_1
	v_sub_u16_sdwa v114, v114, v116 dst_sel:BYTE_1 dst_unused:UNUSED_PAD src0_sel:DWORD src1_sel:BYTE_3
	v_sub_u16_sdwa v116, v118, v116 dst_sel:DWORD dst_unused:UNUSED_PAD src0_sel:WORD_1 src1_sel:WORD_1
	v_ashrrev_i32_e32 v115, s29, v115
	v_lshlrev_b32_e32 v117, 2, v117
	v_or_b32_sdwa v119, v119, v120 dst_sel:DWORD dst_unused:UNUSED_PAD src0_sel:BYTE_0 src1_sel:DWORD
	v_or_b32_sdwa v114, v116, v114 dst_sel:WORD_1 dst_unused:UNUSED_PAD src0_sel:BYTE_0 src1_sel:DWORD
	v_and_b32_e32 v116, 0x3030303, v115
	v_bfe_u32 v115, v115, 24, 2
	v_and_b32_e32 v117, 0x4040404, v117
	v_or_b32_sdwa v114, v119, v114 dst_sel:DWORD dst_unused:UNUSED_PAD src0_sel:WORD_0 src1_sel:DWORD
	v_sub_u16_e32 v118, v116, v117
	v_sub_u16_sdwa v119, v116, v117 dst_sel:BYTE_1 dst_unused:UNUSED_PAD src0_sel:BYTE_1 src1_sel:BYTE_1
	v_sub_u16_sdwa v115, v115, v117 dst_sel:BYTE_1 dst_unused:UNUSED_PAD src0_sel:DWORD src1_sel:BYTE_3
	v_sub_u16_sdwa v116, v116, v117 dst_sel:DWORD dst_unused:UNUSED_PAD src0_sel:WORD_1 src1_sel:WORD_1
	v_or_b32_sdwa v118, v118, v119 dst_sel:DWORD dst_unused:UNUSED_PAD src0_sel:BYTE_0 src1_sel:DWORD
	v_or_b32_sdwa v115, v116, v115 dst_sel:WORD_1 dst_unused:UNUSED_PAD src0_sel:BYTE_0 src1_sel:DWORD
	v_add_u32_e32 v116, 0x2108, v113
	v_or_b32_sdwa v115, v118, v115 dst_sel:DWORD dst_unused:UNUSED_PAD src0_sel:WORD_0 src1_sel:DWORD
	ds_read2_b32 v[116:117], v116 offset1:1
	ds_read2_b32 v[118:119], v122 offset0:2 offset1:3
	v_dot4_i32_i8 v114, v114, v5, 0
	v_dot4_i32_i8 v114, v115, v6, v114
	s_waitcnt lgkmcnt(1)
	v_ashrrev_i32_e32 v116, s29, v116
	s_waitcnt lgkmcnt(0)
	v_ashrrev_i32_e32 v118, s3, v118
	v_lshlrev_b32_e32 v118, 2, v118
	v_and_b32_e32 v120, 0x3030303, v116
	v_bfe_u32 v116, v116, 24, 2
	v_and_b32_e32 v118, 0x4040404, v118
	v_ashrrev_i32_e32 v119, s3, v119
	v_sub_u16_e32 v121, v120, v118
	v_sub_u16_sdwa v123, v120, v118 dst_sel:BYTE_1 dst_unused:UNUSED_PAD src0_sel:BYTE_1 src1_sel:BYTE_1
	v_sub_u16_sdwa v116, v116, v118 dst_sel:BYTE_1 dst_unused:UNUSED_PAD src0_sel:DWORD src1_sel:BYTE_3
	v_sub_u16_sdwa v118, v120, v118 dst_sel:DWORD dst_unused:UNUSED_PAD src0_sel:WORD_1 src1_sel:WORD_1
	v_ashrrev_i32_e32 v117, s29, v117
	v_lshlrev_b32_e32 v119, 2, v119
	v_or_b32_sdwa v121, v121, v123 dst_sel:DWORD dst_unused:UNUSED_PAD src0_sel:BYTE_0 src1_sel:DWORD
	v_or_b32_sdwa v116, v118, v116 dst_sel:WORD_1 dst_unused:UNUSED_PAD src0_sel:BYTE_0 src1_sel:DWORD
	v_and_b32_e32 v118, 0x3030303, v117
	v_bfe_u32 v117, v117, 24, 2
	v_and_b32_e32 v119, 0x4040404, v119
	v_or_b32_sdwa v116, v121, v116 dst_sel:DWORD dst_unused:UNUSED_PAD src0_sel:WORD_0 src1_sel:DWORD
	v_sub_u16_e32 v120, v118, v119
	v_sub_u16_sdwa v121, v118, v119 dst_sel:BYTE_1 dst_unused:UNUSED_PAD src0_sel:BYTE_1 src1_sel:BYTE_1
	v_sub_u16_sdwa v117, v117, v119 dst_sel:BYTE_1 dst_unused:UNUSED_PAD src0_sel:DWORD src1_sel:BYTE_3
	v_sub_u16_sdwa v118, v118, v119 dst_sel:DWORD dst_unused:UNUSED_PAD src0_sel:WORD_1 src1_sel:WORD_1
	v_or_b32_sdwa v120, v120, v121 dst_sel:DWORD dst_unused:UNUSED_PAD src0_sel:BYTE_0 src1_sel:DWORD
	v_or_b32_sdwa v117, v118, v117 dst_sel:WORD_1 dst_unused:UNUSED_PAD src0_sel:BYTE_0 src1_sel:DWORD
	v_add_u32_e32 v118, 0x2110, v113
	v_or_b32_sdwa v117, v120, v117 dst_sel:DWORD dst_unused:UNUSED_PAD src0_sel:WORD_0 src1_sel:DWORD
	ds_read2_b32 v[118:119], v118 offset1:1
	ds_read2_b32 v[120:121], v122 offset0:4 offset1:5
	v_dot4_i32_i8 v114, v116, v7, v114
	v_dot4_i32_i8 v114, v117, v8, v114
	s_waitcnt lgkmcnt(1)
	v_ashrrev_i32_e32 v118, s29, v118
	s_waitcnt lgkmcnt(0)
	v_ashrrev_i32_e32 v120, s3, v120
	v_lshlrev_b32_e32 v120, 2, v120
	v_and_b32_e32 v123, 0x3030303, v118
	v_bfe_u32 v118, v118, 24, 2
	v_and_b32_e32 v120, 0x4040404, v120
	v_ashrrev_i32_e32 v121, s3, v121
	;; [unrolled: 33-line block ×3, first 2 shown]
	v_sub_u16_e32 v125, v124, v122
	v_sub_u16_sdwa v126, v124, v122 dst_sel:BYTE_1 dst_unused:UNUSED_PAD src0_sel:BYTE_1 src1_sel:BYTE_1
	v_sub_u16_sdwa v120, v120, v122 dst_sel:BYTE_1 dst_unused:UNUSED_PAD src0_sel:DWORD src1_sel:BYTE_3
	v_sub_u16_sdwa v122, v124, v122 dst_sel:DWORD dst_unused:UNUSED_PAD src0_sel:WORD_1 src1_sel:WORD_1
	v_ashrrev_i32_e32 v121, s29, v121
	v_lshlrev_b32_e32 v123, 2, v123
	v_or_b32_sdwa v125, v125, v126 dst_sel:DWORD dst_unused:UNUSED_PAD src0_sel:BYTE_0 src1_sel:DWORD
	v_or_b32_sdwa v120, v122, v120 dst_sel:WORD_1 dst_unused:UNUSED_PAD src0_sel:BYTE_0 src1_sel:DWORD
	v_and_b32_e32 v122, 0x3030303, v121
	v_bfe_u32 v121, v121, 24, 2
	v_and_b32_e32 v123, 0x4040404, v123
	v_or_b32_sdwa v120, v125, v120 dst_sel:DWORD dst_unused:UNUSED_PAD src0_sel:WORD_0 src1_sel:DWORD
	v_sub_u16_e32 v124, v122, v123
	v_sub_u16_sdwa v125, v122, v123 dst_sel:BYTE_1 dst_unused:UNUSED_PAD src0_sel:BYTE_1 src1_sel:BYTE_1
	v_sub_u16_sdwa v121, v121, v123 dst_sel:BYTE_1 dst_unused:UNUSED_PAD src0_sel:DWORD src1_sel:BYTE_3
	v_sub_u16_sdwa v122, v122, v123 dst_sel:DWORD dst_unused:UNUSED_PAD src0_sel:WORD_1 src1_sel:WORD_1
	v_or_b32_sdwa v121, v122, v121 dst_sel:WORD_1 dst_unused:UNUSED_PAD src0_sel:BYTE_0 src1_sel:DWORD
	v_add_u32_e32 v122, s28, v74
	v_add3_u32 v123, s17, v100, v101
	ds_read_b32 v123, v123
	ds_read_u16 v116, v122 offset:27394
	v_or_b32_sdwa v124, v124, v125 dst_sel:DWORD dst_unused:UNUSED_PAD src0_sel:BYTE_0 src1_sel:DWORD
	v_or_b32_sdwa v121, v124, v121 dst_sel:DWORD dst_unused:UNUSED_PAD src0_sel:WORD_0 src1_sel:DWORD
	v_dot4_i32_i8 v115, v120, v3, v115
	v_dot4_i32_i8 v115, v121, v4, v115
	s_waitcnt lgkmcnt(0)
	v_lshrrev_b16_e32 v117, 8, v116
	v_bfe_i32 v116, v116, 0, 8
	v_mul_lo_u32 v114, v114, v116
	v_bfe_i32 v117, v117, 0, 8
	v_add3_u32 v122, s30, v102, v103
	v_mad_u64_u32 v[114:115], s[34:35], v115, v117, v[114:115]
	v_mul_f32_e32 v115, v112, v123
	ds_read2_b32 v[116:117], v122 offset1:1
	v_cvt_f32_i32_e32 v114, v114
	v_fmac_f32_e32 v64, v115, v114
	v_add_u32_e32 v114, 0x3180, v113
	ds_read2_b32 v[114:115], v114 offset1:1
	s_waitcnt lgkmcnt(1)
	v_ashrrev_i32_e32 v116, s3, v116
	v_lshlrev_b32_e32 v116, 2, v116
	v_and_b32_e32 v116, 0x4040404, v116
	v_ashrrev_i32_e32 v117, s3, v117
	s_waitcnt lgkmcnt(0)
	v_ashrrev_i32_e32 v114, s29, v114
	v_and_b32_e32 v118, 0x3030303, v114
	v_bfe_u32 v114, v114, 24, 2
	v_sub_u16_e32 v119, v118, v116
	v_sub_u16_sdwa v120, v118, v116 dst_sel:BYTE_1 dst_unused:UNUSED_PAD src0_sel:BYTE_1 src1_sel:BYTE_1
	v_sub_u16_sdwa v114, v114, v116 dst_sel:BYTE_1 dst_unused:UNUSED_PAD src0_sel:DWORD src1_sel:BYTE_3
	v_sub_u16_sdwa v116, v118, v116 dst_sel:DWORD dst_unused:UNUSED_PAD src0_sel:WORD_1 src1_sel:WORD_1
	v_ashrrev_i32_e32 v115, s29, v115
	v_lshlrev_b32_e32 v117, 2, v117
	v_or_b32_sdwa v119, v119, v120 dst_sel:DWORD dst_unused:UNUSED_PAD src0_sel:BYTE_0 src1_sel:DWORD
	v_or_b32_sdwa v114, v116, v114 dst_sel:WORD_1 dst_unused:UNUSED_PAD src0_sel:BYTE_0 src1_sel:DWORD
	v_and_b32_e32 v116, 0x3030303, v115
	v_bfe_u32 v115, v115, 24, 2
	v_and_b32_e32 v117, 0x4040404, v117
	v_or_b32_sdwa v114, v119, v114 dst_sel:DWORD dst_unused:UNUSED_PAD src0_sel:WORD_0 src1_sel:DWORD
	v_sub_u16_e32 v118, v116, v117
	v_sub_u16_sdwa v119, v116, v117 dst_sel:BYTE_1 dst_unused:UNUSED_PAD src0_sel:BYTE_1 src1_sel:BYTE_1
	v_sub_u16_sdwa v115, v115, v117 dst_sel:BYTE_1 dst_unused:UNUSED_PAD src0_sel:DWORD src1_sel:BYTE_3
	v_sub_u16_sdwa v116, v116, v117 dst_sel:DWORD dst_unused:UNUSED_PAD src0_sel:WORD_1 src1_sel:WORD_1
	v_or_b32_sdwa v118, v118, v119 dst_sel:DWORD dst_unused:UNUSED_PAD src0_sel:BYTE_0 src1_sel:DWORD
	v_or_b32_sdwa v115, v116, v115 dst_sel:WORD_1 dst_unused:UNUSED_PAD src0_sel:BYTE_0 src1_sel:DWORD
	v_add_u32_e32 v116, 0x3188, v113
	v_or_b32_sdwa v115, v118, v115 dst_sel:DWORD dst_unused:UNUSED_PAD src0_sel:WORD_0 src1_sel:DWORD
	ds_read2_b32 v[116:117], v116 offset1:1
	ds_read2_b32 v[118:119], v122 offset0:2 offset1:3
	v_dot4_i32_i8 v5, v114, v5, 0
	v_dot4_i32_i8 v5, v115, v6, v5
	s_waitcnt lgkmcnt(1)
	v_ashrrev_i32_e32 v116, s29, v116
	s_waitcnt lgkmcnt(0)
	v_ashrrev_i32_e32 v118, s3, v118
	v_lshlrev_b32_e32 v118, 2, v118
	v_and_b32_e32 v120, 0x3030303, v116
	v_bfe_u32 v116, v116, 24, 2
	v_and_b32_e32 v118, 0x4040404, v118
	v_ashrrev_i32_e32 v119, s3, v119
	v_sub_u16_e32 v121, v120, v118
	v_sub_u16_sdwa v123, v120, v118 dst_sel:BYTE_1 dst_unused:UNUSED_PAD src0_sel:BYTE_1 src1_sel:BYTE_1
	v_sub_u16_sdwa v116, v116, v118 dst_sel:BYTE_1 dst_unused:UNUSED_PAD src0_sel:DWORD src1_sel:BYTE_3
	v_sub_u16_sdwa v118, v120, v118 dst_sel:DWORD dst_unused:UNUSED_PAD src0_sel:WORD_1 src1_sel:WORD_1
	v_ashrrev_i32_e32 v117, s29, v117
	v_lshlrev_b32_e32 v119, 2, v119
	v_or_b32_sdwa v121, v121, v123 dst_sel:DWORD dst_unused:UNUSED_PAD src0_sel:BYTE_0 src1_sel:DWORD
	v_or_b32_sdwa v116, v118, v116 dst_sel:WORD_1 dst_unused:UNUSED_PAD src0_sel:BYTE_0 src1_sel:DWORD
	v_and_b32_e32 v118, 0x3030303, v117
	v_bfe_u32 v117, v117, 24, 2
	v_and_b32_e32 v119, 0x4040404, v119
	v_or_b32_sdwa v116, v121, v116 dst_sel:DWORD dst_unused:UNUSED_PAD src0_sel:WORD_0 src1_sel:DWORD
	v_sub_u16_e32 v120, v118, v119
	v_sub_u16_sdwa v121, v118, v119 dst_sel:BYTE_1 dst_unused:UNUSED_PAD src0_sel:BYTE_1 src1_sel:BYTE_1
	v_sub_u16_sdwa v117, v117, v119 dst_sel:BYTE_1 dst_unused:UNUSED_PAD src0_sel:DWORD src1_sel:BYTE_3
	v_sub_u16_sdwa v118, v118, v119 dst_sel:DWORD dst_unused:UNUSED_PAD src0_sel:WORD_1 src1_sel:WORD_1
	v_or_b32_sdwa v120, v120, v121 dst_sel:DWORD dst_unused:UNUSED_PAD src0_sel:BYTE_0 src1_sel:DWORD
	v_or_b32_sdwa v117, v118, v117 dst_sel:WORD_1 dst_unused:UNUSED_PAD src0_sel:BYTE_0 src1_sel:DWORD
	v_add_u32_e32 v118, 0x3190, v113
	v_or_b32_sdwa v117, v120, v117 dst_sel:DWORD dst_unused:UNUSED_PAD src0_sel:WORD_0 src1_sel:DWORD
	ds_read2_b32 v[118:119], v118 offset1:1
	ds_read2_b32 v[120:121], v122 offset0:4 offset1:5
	v_add_u32_e32 v113, 0x3198, v113
	v_dot4_i32_i8 v5, v116, v7, v5
	v_dot4_i32_i8 v5, v117, v8, v5
	s_waitcnt lgkmcnt(1)
	v_ashrrev_i32_e32 v118, s29, v118
	s_waitcnt lgkmcnt(0)
	v_ashrrev_i32_e32 v120, s3, v120
	v_lshlrev_b32_e32 v120, 2, v120
	v_and_b32_e32 v123, 0x3030303, v118
	v_bfe_u32 v118, v118, 24, 2
	v_and_b32_e32 v120, 0x4040404, v120
	v_ashrrev_i32_e32 v121, s3, v121
	v_sub_u16_e32 v124, v123, v120
	v_sub_u16_sdwa v125, v123, v120 dst_sel:BYTE_1 dst_unused:UNUSED_PAD src0_sel:BYTE_1 src1_sel:BYTE_1
	v_sub_u16_sdwa v118, v118, v120 dst_sel:BYTE_1 dst_unused:UNUSED_PAD src0_sel:DWORD src1_sel:BYTE_3
	v_sub_u16_sdwa v120, v123, v120 dst_sel:DWORD dst_unused:UNUSED_PAD src0_sel:WORD_1 src1_sel:WORD_1
	v_ashrrev_i32_e32 v119, s29, v119
	v_lshlrev_b32_e32 v121, 2, v121
	v_or_b32_sdwa v124, v124, v125 dst_sel:DWORD dst_unused:UNUSED_PAD src0_sel:BYTE_0 src1_sel:DWORD
	v_or_b32_sdwa v118, v120, v118 dst_sel:WORD_1 dst_unused:UNUSED_PAD src0_sel:BYTE_0 src1_sel:DWORD
	v_and_b32_e32 v120, 0x3030303, v119
	v_bfe_u32 v119, v119, 24, 2
	v_and_b32_e32 v121, 0x4040404, v121
	v_or_b32_sdwa v118, v124, v118 dst_sel:DWORD dst_unused:UNUSED_PAD src0_sel:WORD_0 src1_sel:DWORD
	v_sub_u16_e32 v123, v120, v121
	v_sub_u16_sdwa v124, v120, v121 dst_sel:BYTE_1 dst_unused:UNUSED_PAD src0_sel:BYTE_1 src1_sel:BYTE_1
	v_sub_u16_sdwa v119, v119, v121 dst_sel:BYTE_1 dst_unused:UNUSED_PAD src0_sel:DWORD src1_sel:BYTE_3
	v_sub_u16_sdwa v120, v120, v121 dst_sel:DWORD dst_unused:UNUSED_PAD src0_sel:WORD_1 src1_sel:WORD_1
	v_or_b32_sdwa v123, v123, v124 dst_sel:DWORD dst_unused:UNUSED_PAD src0_sel:BYTE_0 src1_sel:DWORD
	v_or_b32_sdwa v119, v120, v119 dst_sel:WORD_1 dst_unused:UNUSED_PAD src0_sel:BYTE_0 src1_sel:DWORD
	v_or_b32_sdwa v119, v123, v119 dst_sel:DWORD dst_unused:UNUSED_PAD src0_sel:WORD_0 src1_sel:DWORD
	ds_read2_b32 v[120:121], v113 offset1:1
	ds_read2_b32 v[122:123], v122 offset0:6 offset1:7
	v_dot4_i32_i8 v1, v118, v1, 0
	v_dot4_i32_i8 v1, v119, v2, v1
	s_waitcnt lgkmcnt(1)
	v_ashrrev_i32_e32 v113, s29, v120
	s_waitcnt lgkmcnt(0)
	v_ashrrev_i32_e32 v122, s3, v122
	v_lshlrev_b32_e32 v122, 2, v122
	v_and_b32_e32 v120, 0x3030303, v113
	v_bfe_u32 v113, v113, 24, 2
	v_and_b32_e32 v122, 0x4040404, v122
	v_sub_u16_e32 v124, v120, v122
	v_sub_u16_sdwa v125, v120, v122 dst_sel:BYTE_1 dst_unused:UNUSED_PAD src0_sel:BYTE_1 src1_sel:BYTE_1
	v_sub_u16_sdwa v113, v113, v122 dst_sel:BYTE_1 dst_unused:UNUSED_PAD src0_sel:DWORD src1_sel:BYTE_3
	v_sub_u16_sdwa v120, v120, v122 dst_sel:DWORD dst_unused:UNUSED_PAD src0_sel:WORD_1 src1_sel:WORD_1
	v_ashrrev_i32_e32 v122, s3, v123
	v_or_b32_sdwa v113, v120, v113 dst_sel:WORD_1 dst_unused:UNUSED_PAD src0_sel:BYTE_0 src1_sel:DWORD
	v_ashrrev_i32_e32 v120, s29, v121
	v_lshlrev_b32_e32 v122, 2, v122
	v_or_b32_sdwa v124, v124, v125 dst_sel:DWORD dst_unused:UNUSED_PAD src0_sel:BYTE_0 src1_sel:DWORD
	v_and_b32_e32 v121, 0x3030303, v120
	v_bfe_u32 v120, v120, 24, 2
	v_and_b32_e32 v122, 0x4040404, v122
	v_or_b32_sdwa v113, v124, v113 dst_sel:DWORD dst_unused:UNUSED_PAD src0_sel:WORD_0 src1_sel:DWORD
	v_sub_u16_e32 v123, v121, v122
	v_sub_u16_sdwa v124, v121, v122 dst_sel:BYTE_1 dst_unused:UNUSED_PAD src0_sel:BYTE_1 src1_sel:BYTE_1
	v_sub_u16_sdwa v120, v120, v122 dst_sel:BYTE_1 dst_unused:UNUSED_PAD src0_sel:DWORD src1_sel:BYTE_3
	v_sub_u16_sdwa v121, v121, v122 dst_sel:DWORD dst_unused:UNUSED_PAD src0_sel:WORD_1 src1_sel:WORD_1
	v_or_b32_sdwa v123, v123, v124 dst_sel:DWORD dst_unused:UNUSED_PAD src0_sel:BYTE_0 src1_sel:DWORD
	v_or_b32_sdwa v120, v121, v120 dst_sel:WORD_1 dst_unused:UNUSED_PAD src0_sel:BYTE_0 src1_sel:DWORD
	v_or_b32_sdwa v120, v123, v120 dst_sel:DWORD dst_unused:UNUSED_PAD src0_sel:WORD_0 src1_sel:DWORD
	v_add_u32_e32 v122, s28, v72
	v_add3_u32 v121, s17, v104, v105
	v_dot4_i32_i8 v1, v113, v3, v1
	ds_read_b32 v121, v121
	v_dot4_i32_i8 v2, v120, v4, v1
	ds_read_u16 v1, v122 offset:28418
	s_add_i32 s3, s3, 1
	s_cmp_lt_u32 s16, 14
	s_mov_b32 s17, s16
	s_waitcnt lgkmcnt(0)
	v_lshrrev_b16_e32 v3, 8, v1
	v_bfe_i32 v1, v1, 0, 8
	v_mul_lo_u32 v1, v5, v1
	v_bfe_i32 v3, v3, 0, 8
	v_mad_u64_u32 v[1:2], s[28:29], v2, v3, v[1:2]
	v_mul_f32_e32 v2, v112, v121
	v_cvt_f32_i32_e32 v1, v1
	v_fmac_f32_e32 v9, v2, v1
	s_cbranch_scc1 .LBB189_19
; %bb.20:                               ;   in Loop: Header=BB189_5 Depth=1
	s_or_b32 s2, s26, 0x100
	s_cmp_ge_i32 s2, s15
	s_barrier
	s_cbranch_scc1 .LBB189_4
; %bb.21:                               ;   in Loop: Header=BB189_5 Depth=1
	v_add_u32_e32 v1, s27, v66
	v_cmp_gt_i32_e64 s[2:3], s9, v1
	s_and_b64 s[16:17], s[0:1], s[2:3]
	s_and_saveexec_b64 s[2:3], s[16:17]
	s_cbranch_execz .LBB189_23
; %bb.22:                               ;   in Loop: Header=BB189_5 Depth=1
	v_add_u32_e32 v1, v69, v1
	v_mad_i64_i32 v[1:2], s[16:17], v1, 36, v[10:11]
	global_load_dword v1, v[1:2], off offset:4
	s_waitcnt vmcnt(0)
	ds_write_b32 v61, v1
.LBB189_23:                             ;   in Loop: Header=BB189_5 Depth=1
	s_or_b64 exec, exec, s[2:3]
	s_and_saveexec_b64 s[16:17], vcc
	s_cbranch_execz .LBB189_26
; %bb.24:                               ;   in Loop: Header=BB189_5 Depth=1
	v_or_b32_e32 v1, 8, v109
	v_cmp_gt_i32_e64 s[2:3], s9, v1
	s_and_b64 s[2:3], s[0:1], s[2:3]
	s_and_b64 exec, exec, s[2:3]
	s_cbranch_execz .LBB189_26
; %bb.25:                               ;   in Loop: Header=BB189_5 Depth=1
	v_ashrrev_i32_e32 v1, 31, v109
	v_add_co_u32_e64 v2, s[2:3], v69, v109
	v_addc_co_u32_e64 v3, s[2:3], v71, v1, s[2:3]
	v_mad_u64_u32 v[1:2], s[2:3], v2, 36, s[6:7]
	v_mad_i32_i24 v2, v3, 36, v2
	global_load_dword v1, v[1:2], off offset:288
	s_waitcnt vmcnt(0)
	v_cvt_f32_f16_e32 v1, v1
	ds_write_b32 v63, v1
.LBB189_26:                             ;   in Loop: Header=BB189_5 Depth=1
	s_or_b64 exec, exec, s[16:17]
	s_mov_b32 s2, 16
	s_mov_b32 s17, 14
	;; [unrolled: 1-line block ×3, first 2 shown]
	v_mov_b32_e32 v110, v60
	v_mov_b32_e32 v111, v62
	s_waitcnt lgkmcnt(0)
	s_barrier
.LBB189_27:                             ;   Parent Loop BB189_5 Depth=1
                                        ; =>  This Inner Loop Header: Depth=2
	s_add_i32 s16, s17, 2
	s_lshr_b32 s31, s16, 4
	s_and_b32 s30, s16, 0x3ffffff8
	v_lshl_add_u32 v113, s30, 2, v70
	s_lshl_b32 s30, s31, 5
	s_addk_i32 s30, 0x4200
	v_add3_u32 v122, s30, v106, v93
	ds_read_b32 v112, v111
	ds_read_b128 v[5:8], v110
	ds_read_b128 v[1:4], v110 offset:16
	ds_read2_b32 v[114:115], v113 offset1:1
	ds_read2_b32 v[116:117], v122 offset1:1
	s_add_i32 s29, s17, -14
	s_and_b32 s28, s2, -16
	s_add_i32 s28, s17, s28
	s_waitcnt lgkmcnt(1)
	v_ashrrev_i32_e32 v114, s29, v114
	s_waitcnt lgkmcnt(0)
	v_ashrrev_i32_e32 v116, s3, v116
	v_lshlrev_b32_e32 v116, 2, v116
	v_and_b32_e32 v118, 0x3030303, v114
	v_bfe_u32 v114, v114, 24, 2
	v_and_b32_e32 v116, 0x4040404, v116
	v_ashrrev_i32_e32 v117, s3, v117
	v_sub_u16_e32 v119, v118, v116
	v_sub_u16_sdwa v120, v118, v116 dst_sel:BYTE_1 dst_unused:UNUSED_PAD src0_sel:BYTE_1 src1_sel:BYTE_1
	v_sub_u16_sdwa v114, v114, v116 dst_sel:BYTE_1 dst_unused:UNUSED_PAD src0_sel:DWORD src1_sel:BYTE_3
	v_sub_u16_sdwa v116, v118, v116 dst_sel:DWORD dst_unused:UNUSED_PAD src0_sel:WORD_1 src1_sel:WORD_1
	v_ashrrev_i32_e32 v115, s29, v115
	v_lshlrev_b32_e32 v117, 2, v117
	v_or_b32_sdwa v119, v119, v120 dst_sel:DWORD dst_unused:UNUSED_PAD src0_sel:BYTE_0 src1_sel:DWORD
	v_or_b32_sdwa v114, v116, v114 dst_sel:WORD_1 dst_unused:UNUSED_PAD src0_sel:BYTE_0 src1_sel:DWORD
	v_and_b32_e32 v116, 0x3030303, v115
	v_bfe_u32 v115, v115, 24, 2
	v_and_b32_e32 v117, 0x4040404, v117
	v_or_b32_sdwa v114, v119, v114 dst_sel:DWORD dst_unused:UNUSED_PAD src0_sel:WORD_0 src1_sel:DWORD
	v_sub_u16_e32 v118, v116, v117
	v_sub_u16_sdwa v119, v116, v117 dst_sel:BYTE_1 dst_unused:UNUSED_PAD src0_sel:BYTE_1 src1_sel:BYTE_1
	v_sub_u16_sdwa v115, v115, v117 dst_sel:BYTE_1 dst_unused:UNUSED_PAD src0_sel:DWORD src1_sel:BYTE_3
	v_sub_u16_sdwa v116, v116, v117 dst_sel:DWORD dst_unused:UNUSED_PAD src0_sel:WORD_1 src1_sel:WORD_1
	v_or_b32_sdwa v118, v118, v119 dst_sel:DWORD dst_unused:UNUSED_PAD src0_sel:BYTE_0 src1_sel:DWORD
	v_or_b32_sdwa v115, v116, v115 dst_sel:WORD_1 dst_unused:UNUSED_PAD src0_sel:BYTE_0 src1_sel:DWORD
	v_or_b32_sdwa v115, v118, v115 dst_sel:DWORD dst_unused:UNUSED_PAD src0_sel:WORD_0 src1_sel:DWORD
	ds_read2_b32 v[116:117], v113 offset0:2 offset1:3
	ds_read2_b32 v[118:119], v122 offset0:2 offset1:3
	s_lshl_b32 s17, s31, 2
	s_addk_i32 s17, 0x7380
	v_dot4_i32_i8 v114, v114, v5, 0
	s_waitcnt lgkmcnt(1)
	v_ashrrev_i32_e32 v116, s29, v116
	s_waitcnt lgkmcnt(0)
	v_ashrrev_i32_e32 v118, s3, v118
	v_lshlrev_b32_e32 v118, 2, v118
	v_and_b32_e32 v120, 0x3030303, v116
	v_bfe_u32 v116, v116, 24, 2
	v_and_b32_e32 v118, 0x4040404, v118
	v_ashrrev_i32_e32 v119, s3, v119
	v_sub_u16_e32 v121, v120, v118
	v_sub_u16_sdwa v123, v120, v118 dst_sel:BYTE_1 dst_unused:UNUSED_PAD src0_sel:BYTE_1 src1_sel:BYTE_1
	v_sub_u16_sdwa v116, v116, v118 dst_sel:BYTE_1 dst_unused:UNUSED_PAD src0_sel:DWORD src1_sel:BYTE_3
	v_sub_u16_sdwa v118, v120, v118 dst_sel:DWORD dst_unused:UNUSED_PAD src0_sel:WORD_1 src1_sel:WORD_1
	v_ashrrev_i32_e32 v117, s29, v117
	v_lshlrev_b32_e32 v119, 2, v119
	v_or_b32_sdwa v121, v121, v123 dst_sel:DWORD dst_unused:UNUSED_PAD src0_sel:BYTE_0 src1_sel:DWORD
	v_or_b32_sdwa v116, v118, v116 dst_sel:WORD_1 dst_unused:UNUSED_PAD src0_sel:BYTE_0 src1_sel:DWORD
	v_and_b32_e32 v118, 0x3030303, v117
	v_bfe_u32 v117, v117, 24, 2
	v_and_b32_e32 v119, 0x4040404, v119
	v_or_b32_sdwa v116, v121, v116 dst_sel:DWORD dst_unused:UNUSED_PAD src0_sel:WORD_0 src1_sel:DWORD
	v_sub_u16_e32 v120, v118, v119
	v_sub_u16_sdwa v121, v118, v119 dst_sel:BYTE_1 dst_unused:UNUSED_PAD src0_sel:BYTE_1 src1_sel:BYTE_1
	v_sub_u16_sdwa v117, v117, v119 dst_sel:BYTE_1 dst_unused:UNUSED_PAD src0_sel:DWORD src1_sel:BYTE_3
	v_sub_u16_sdwa v118, v118, v119 dst_sel:DWORD dst_unused:UNUSED_PAD src0_sel:WORD_1 src1_sel:WORD_1
	v_or_b32_sdwa v120, v120, v121 dst_sel:DWORD dst_unused:UNUSED_PAD src0_sel:BYTE_0 src1_sel:DWORD
	v_or_b32_sdwa v117, v118, v117 dst_sel:WORD_1 dst_unused:UNUSED_PAD src0_sel:BYTE_0 src1_sel:DWORD
	v_or_b32_sdwa v117, v120, v117 dst_sel:DWORD dst_unused:UNUSED_PAD src0_sel:WORD_0 src1_sel:DWORD
	ds_read2_b32 v[118:119], v113 offset0:4 offset1:5
	ds_read2_b32 v[120:121], v122 offset0:4 offset1:5
	v_dot4_i32_i8 v114, v115, v6, v114
	v_dot4_i32_i8 v114, v116, v7, v114
	;; [unrolled: 1-line block ×3, first 2 shown]
	s_waitcnt lgkmcnt(1)
	v_ashrrev_i32_e32 v118, s29, v118
	s_waitcnt lgkmcnt(0)
	v_ashrrev_i32_e32 v120, s3, v120
	v_lshlrev_b32_e32 v120, 2, v120
	v_and_b32_e32 v123, 0x3030303, v118
	v_bfe_u32 v118, v118, 24, 2
	v_and_b32_e32 v120, 0x4040404, v120
	v_ashrrev_i32_e32 v121, s3, v121
	v_sub_u16_e32 v124, v123, v120
	v_sub_u16_sdwa v125, v123, v120 dst_sel:BYTE_1 dst_unused:UNUSED_PAD src0_sel:BYTE_1 src1_sel:BYTE_1
	v_sub_u16_sdwa v118, v118, v120 dst_sel:BYTE_1 dst_unused:UNUSED_PAD src0_sel:DWORD src1_sel:BYTE_3
	v_sub_u16_sdwa v120, v123, v120 dst_sel:DWORD dst_unused:UNUSED_PAD src0_sel:WORD_1 src1_sel:WORD_1
	v_ashrrev_i32_e32 v119, s29, v119
	v_lshlrev_b32_e32 v121, 2, v121
	v_or_b32_sdwa v124, v124, v125 dst_sel:DWORD dst_unused:UNUSED_PAD src0_sel:BYTE_0 src1_sel:DWORD
	v_or_b32_sdwa v118, v120, v118 dst_sel:WORD_1 dst_unused:UNUSED_PAD src0_sel:BYTE_0 src1_sel:DWORD
	v_and_b32_e32 v120, 0x3030303, v119
	v_bfe_u32 v119, v119, 24, 2
	v_and_b32_e32 v121, 0x4040404, v121
	v_or_b32_sdwa v118, v124, v118 dst_sel:DWORD dst_unused:UNUSED_PAD src0_sel:WORD_0 src1_sel:DWORD
	v_sub_u16_e32 v123, v120, v121
	v_sub_u16_sdwa v124, v120, v121 dst_sel:BYTE_1 dst_unused:UNUSED_PAD src0_sel:BYTE_1 src1_sel:BYTE_1
	v_sub_u16_sdwa v119, v119, v121 dst_sel:BYTE_1 dst_unused:UNUSED_PAD src0_sel:DWORD src1_sel:BYTE_3
	v_sub_u16_sdwa v120, v120, v121 dst_sel:DWORD dst_unused:UNUSED_PAD src0_sel:WORD_1 src1_sel:WORD_1
	v_or_b32_sdwa v123, v123, v124 dst_sel:DWORD dst_unused:UNUSED_PAD src0_sel:BYTE_0 src1_sel:DWORD
	v_or_b32_sdwa v119, v120, v119 dst_sel:WORD_1 dst_unused:UNUSED_PAD src0_sel:BYTE_0 src1_sel:DWORD
	v_or_b32_sdwa v119, v123, v119 dst_sel:DWORD dst_unused:UNUSED_PAD src0_sel:WORD_0 src1_sel:DWORD
	ds_read2_b32 v[120:121], v113 offset0:6 offset1:7
	ds_read2_b32 v[122:123], v122 offset0:6 offset1:7
	v_dot4_i32_i8 v115, v118, v1, 0
	v_dot4_i32_i8 v115, v119, v2, v115
	s_add_i32 s2, s2, 2
	s_waitcnt lgkmcnt(1)
	v_ashrrev_i32_e32 v120, s29, v120
	s_waitcnt lgkmcnt(0)
	v_ashrrev_i32_e32 v122, s3, v122
	v_lshlrev_b32_e32 v122, 2, v122
	v_and_b32_e32 v124, 0x3030303, v120
	v_bfe_u32 v120, v120, 24, 2
	v_and_b32_e32 v122, 0x4040404, v122
	v_ashrrev_i32_e32 v123, s3, v123
	v_sub_u16_e32 v125, v124, v122
	v_sub_u16_sdwa v126, v124, v122 dst_sel:BYTE_1 dst_unused:UNUSED_PAD src0_sel:BYTE_1 src1_sel:BYTE_1
	v_sub_u16_sdwa v120, v120, v122 dst_sel:BYTE_1 dst_unused:UNUSED_PAD src0_sel:DWORD src1_sel:BYTE_3
	v_sub_u16_sdwa v122, v124, v122 dst_sel:DWORD dst_unused:UNUSED_PAD src0_sel:WORD_1 src1_sel:WORD_1
	v_ashrrev_i32_e32 v121, s29, v121
	v_lshlrev_b32_e32 v123, 2, v123
	v_or_b32_sdwa v125, v125, v126 dst_sel:DWORD dst_unused:UNUSED_PAD src0_sel:BYTE_0 src1_sel:DWORD
	v_or_b32_sdwa v120, v122, v120 dst_sel:WORD_1 dst_unused:UNUSED_PAD src0_sel:BYTE_0 src1_sel:DWORD
	v_and_b32_e32 v122, 0x3030303, v121
	v_bfe_u32 v121, v121, 24, 2
	v_and_b32_e32 v123, 0x4040404, v123
	v_or_b32_sdwa v120, v125, v120 dst_sel:DWORD dst_unused:UNUSED_PAD src0_sel:WORD_0 src1_sel:DWORD
	v_sub_u16_e32 v124, v122, v123
	v_sub_u16_sdwa v125, v122, v123 dst_sel:BYTE_1 dst_unused:UNUSED_PAD src0_sel:BYTE_1 src1_sel:BYTE_1
	v_sub_u16_sdwa v121, v121, v123 dst_sel:BYTE_1 dst_unused:UNUSED_PAD src0_sel:DWORD src1_sel:BYTE_3
	v_sub_u16_sdwa v122, v122, v123 dst_sel:DWORD dst_unused:UNUSED_PAD src0_sel:WORD_1 src1_sel:WORD_1
	v_or_b32_sdwa v121, v122, v121 dst_sel:WORD_1 dst_unused:UNUSED_PAD src0_sel:BYTE_0 src1_sel:DWORD
	v_add_u32_e32 v122, s28, v78
	v_add3_u32 v123, s17, v107, v108
	ds_read_b32 v123, v123
	ds_read_u16 v116, v122 offset:25330
	v_or_b32_sdwa v124, v124, v125 dst_sel:DWORD dst_unused:UNUSED_PAD src0_sel:BYTE_0 src1_sel:DWORD
	v_or_b32_sdwa v121, v124, v121 dst_sel:DWORD dst_unused:UNUSED_PAD src0_sel:WORD_0 src1_sel:DWORD
	v_dot4_i32_i8 v115, v120, v3, v115
	v_dot4_i32_i8 v115, v121, v4, v115
	s_waitcnt lgkmcnt(0)
	v_lshrrev_b16_e32 v117, 8, v116
	v_bfe_i32 v116, v116, 0, 8
	v_mul_lo_u32 v114, v114, v116
	v_bfe_i32 v117, v117, 0, 8
	v_add3_u32 v122, s30, v94, v95
	v_add_u32_e32 v111, 4, v111
	v_mad_u64_u32 v[114:115], s[34:35], v115, v117, v[114:115]
	v_mul_f32_e32 v115, v112, v123
	ds_read2_b32 v[116:117], v122 offset1:1
	v_cvt_f32_i32_e32 v114, v114
	v_add_u32_e32 v110, 32, v110
	v_fmac_f32_e32 v13, v115, v114
	v_add_u32_e32 v114, 0x1080, v113
	ds_read2_b32 v[114:115], v114 offset1:1
	s_waitcnt lgkmcnt(1)
	v_ashrrev_i32_e32 v116, s3, v116
	v_lshlrev_b32_e32 v116, 2, v116
	v_and_b32_e32 v116, 0x4040404, v116
	v_ashrrev_i32_e32 v117, s3, v117
	s_waitcnt lgkmcnt(0)
	v_ashrrev_i32_e32 v114, s29, v114
	v_and_b32_e32 v118, 0x3030303, v114
	v_bfe_u32 v114, v114, 24, 2
	v_sub_u16_e32 v119, v118, v116
	v_sub_u16_sdwa v120, v118, v116 dst_sel:BYTE_1 dst_unused:UNUSED_PAD src0_sel:BYTE_1 src1_sel:BYTE_1
	v_sub_u16_sdwa v114, v114, v116 dst_sel:BYTE_1 dst_unused:UNUSED_PAD src0_sel:DWORD src1_sel:BYTE_3
	v_sub_u16_sdwa v116, v118, v116 dst_sel:DWORD dst_unused:UNUSED_PAD src0_sel:WORD_1 src1_sel:WORD_1
	v_ashrrev_i32_e32 v115, s29, v115
	v_lshlrev_b32_e32 v117, 2, v117
	v_or_b32_sdwa v119, v119, v120 dst_sel:DWORD dst_unused:UNUSED_PAD src0_sel:BYTE_0 src1_sel:DWORD
	v_or_b32_sdwa v114, v116, v114 dst_sel:WORD_1 dst_unused:UNUSED_PAD src0_sel:BYTE_0 src1_sel:DWORD
	v_and_b32_e32 v116, 0x3030303, v115
	v_bfe_u32 v115, v115, 24, 2
	v_and_b32_e32 v117, 0x4040404, v117
	v_or_b32_sdwa v114, v119, v114 dst_sel:DWORD dst_unused:UNUSED_PAD src0_sel:WORD_0 src1_sel:DWORD
	v_sub_u16_e32 v118, v116, v117
	v_sub_u16_sdwa v119, v116, v117 dst_sel:BYTE_1 dst_unused:UNUSED_PAD src0_sel:BYTE_1 src1_sel:BYTE_1
	v_sub_u16_sdwa v115, v115, v117 dst_sel:BYTE_1 dst_unused:UNUSED_PAD src0_sel:DWORD src1_sel:BYTE_3
	v_sub_u16_sdwa v116, v116, v117 dst_sel:DWORD dst_unused:UNUSED_PAD src0_sel:WORD_1 src1_sel:WORD_1
	v_or_b32_sdwa v118, v118, v119 dst_sel:DWORD dst_unused:UNUSED_PAD src0_sel:BYTE_0 src1_sel:DWORD
	v_or_b32_sdwa v115, v116, v115 dst_sel:WORD_1 dst_unused:UNUSED_PAD src0_sel:BYTE_0 src1_sel:DWORD
	v_add_u32_e32 v116, 0x1088, v113
	v_or_b32_sdwa v115, v118, v115 dst_sel:DWORD dst_unused:UNUSED_PAD src0_sel:WORD_0 src1_sel:DWORD
	ds_read2_b32 v[116:117], v116 offset1:1
	ds_read2_b32 v[118:119], v122 offset0:2 offset1:3
	v_dot4_i32_i8 v114, v114, v5, 0
	v_dot4_i32_i8 v114, v115, v6, v114
	s_waitcnt lgkmcnt(1)
	v_ashrrev_i32_e32 v116, s29, v116
	s_waitcnt lgkmcnt(0)
	v_ashrrev_i32_e32 v118, s3, v118
	v_lshlrev_b32_e32 v118, 2, v118
	v_and_b32_e32 v120, 0x3030303, v116
	v_bfe_u32 v116, v116, 24, 2
	v_and_b32_e32 v118, 0x4040404, v118
	v_ashrrev_i32_e32 v119, s3, v119
	v_sub_u16_e32 v121, v120, v118
	v_sub_u16_sdwa v123, v120, v118 dst_sel:BYTE_1 dst_unused:UNUSED_PAD src0_sel:BYTE_1 src1_sel:BYTE_1
	v_sub_u16_sdwa v116, v116, v118 dst_sel:BYTE_1 dst_unused:UNUSED_PAD src0_sel:DWORD src1_sel:BYTE_3
	v_sub_u16_sdwa v118, v120, v118 dst_sel:DWORD dst_unused:UNUSED_PAD src0_sel:WORD_1 src1_sel:WORD_1
	v_ashrrev_i32_e32 v117, s29, v117
	v_lshlrev_b32_e32 v119, 2, v119
	v_or_b32_sdwa v121, v121, v123 dst_sel:DWORD dst_unused:UNUSED_PAD src0_sel:BYTE_0 src1_sel:DWORD
	v_or_b32_sdwa v116, v118, v116 dst_sel:WORD_1 dst_unused:UNUSED_PAD src0_sel:BYTE_0 src1_sel:DWORD
	v_and_b32_e32 v118, 0x3030303, v117
	v_bfe_u32 v117, v117, 24, 2
	v_and_b32_e32 v119, 0x4040404, v119
	v_or_b32_sdwa v116, v121, v116 dst_sel:DWORD dst_unused:UNUSED_PAD src0_sel:WORD_0 src1_sel:DWORD
	v_sub_u16_e32 v120, v118, v119
	v_sub_u16_sdwa v121, v118, v119 dst_sel:BYTE_1 dst_unused:UNUSED_PAD src0_sel:BYTE_1 src1_sel:BYTE_1
	v_sub_u16_sdwa v117, v117, v119 dst_sel:BYTE_1 dst_unused:UNUSED_PAD src0_sel:DWORD src1_sel:BYTE_3
	v_sub_u16_sdwa v118, v118, v119 dst_sel:DWORD dst_unused:UNUSED_PAD src0_sel:WORD_1 src1_sel:WORD_1
	v_or_b32_sdwa v120, v120, v121 dst_sel:DWORD dst_unused:UNUSED_PAD src0_sel:BYTE_0 src1_sel:DWORD
	v_or_b32_sdwa v117, v118, v117 dst_sel:WORD_1 dst_unused:UNUSED_PAD src0_sel:BYTE_0 src1_sel:DWORD
	v_add_u32_e32 v118, 0x1090, v113
	v_or_b32_sdwa v117, v120, v117 dst_sel:DWORD dst_unused:UNUSED_PAD src0_sel:WORD_0 src1_sel:DWORD
	ds_read2_b32 v[118:119], v118 offset1:1
	ds_read2_b32 v[120:121], v122 offset0:4 offset1:5
	v_dot4_i32_i8 v114, v116, v7, v114
	v_dot4_i32_i8 v114, v117, v8, v114
	s_waitcnt lgkmcnt(1)
	v_ashrrev_i32_e32 v118, s29, v118
	s_waitcnt lgkmcnt(0)
	v_ashrrev_i32_e32 v120, s3, v120
	v_lshlrev_b32_e32 v120, 2, v120
	v_and_b32_e32 v123, 0x3030303, v118
	v_bfe_u32 v118, v118, 24, 2
	v_and_b32_e32 v120, 0x4040404, v120
	v_ashrrev_i32_e32 v121, s3, v121
	;; [unrolled: 33-line block ×3, first 2 shown]
	v_sub_u16_e32 v125, v124, v122
	v_sub_u16_sdwa v126, v124, v122 dst_sel:BYTE_1 dst_unused:UNUSED_PAD src0_sel:BYTE_1 src1_sel:BYTE_1
	v_sub_u16_sdwa v120, v120, v122 dst_sel:BYTE_1 dst_unused:UNUSED_PAD src0_sel:DWORD src1_sel:BYTE_3
	v_sub_u16_sdwa v122, v124, v122 dst_sel:DWORD dst_unused:UNUSED_PAD src0_sel:WORD_1 src1_sel:WORD_1
	v_ashrrev_i32_e32 v121, s29, v121
	v_lshlrev_b32_e32 v123, 2, v123
	v_or_b32_sdwa v125, v125, v126 dst_sel:DWORD dst_unused:UNUSED_PAD src0_sel:BYTE_0 src1_sel:DWORD
	v_or_b32_sdwa v120, v122, v120 dst_sel:WORD_1 dst_unused:UNUSED_PAD src0_sel:BYTE_0 src1_sel:DWORD
	v_and_b32_e32 v122, 0x3030303, v121
	v_bfe_u32 v121, v121, 24, 2
	v_and_b32_e32 v123, 0x4040404, v123
	v_or_b32_sdwa v120, v125, v120 dst_sel:DWORD dst_unused:UNUSED_PAD src0_sel:WORD_0 src1_sel:DWORD
	v_sub_u16_e32 v124, v122, v123
	v_sub_u16_sdwa v125, v122, v123 dst_sel:BYTE_1 dst_unused:UNUSED_PAD src0_sel:BYTE_1 src1_sel:BYTE_1
	v_sub_u16_sdwa v121, v121, v123 dst_sel:BYTE_1 dst_unused:UNUSED_PAD src0_sel:DWORD src1_sel:BYTE_3
	v_sub_u16_sdwa v122, v122, v123 dst_sel:DWORD dst_unused:UNUSED_PAD src0_sel:WORD_1 src1_sel:WORD_1
	v_or_b32_sdwa v121, v122, v121 dst_sel:WORD_1 dst_unused:UNUSED_PAD src0_sel:BYTE_0 src1_sel:DWORD
	v_add_u32_e32 v122, s28, v76
	v_add3_u32 v123, s17, v96, v97
	ds_read_b32 v123, v123
	ds_read_u16 v116, v122 offset:26354
	v_or_b32_sdwa v124, v124, v125 dst_sel:DWORD dst_unused:UNUSED_PAD src0_sel:BYTE_0 src1_sel:DWORD
	v_or_b32_sdwa v121, v124, v121 dst_sel:DWORD dst_unused:UNUSED_PAD src0_sel:WORD_0 src1_sel:DWORD
	v_dot4_i32_i8 v115, v120, v3, v115
	v_dot4_i32_i8 v115, v121, v4, v115
	s_waitcnt lgkmcnt(0)
	v_lshrrev_b16_e32 v117, 8, v116
	v_bfe_i32 v116, v116, 0, 8
	v_mul_lo_u32 v114, v114, v116
	v_bfe_i32 v117, v117, 0, 8
	v_add3_u32 v122, s30, v98, v99
	v_mad_u64_u32 v[114:115], s[34:35], v115, v117, v[114:115]
	v_mul_f32_e32 v115, v112, v123
	ds_read2_b32 v[116:117], v122 offset1:1
	v_cvt_f32_i32_e32 v114, v114
	v_fmac_f32_e32 v68, v115, v114
	v_add_u32_e32 v114, 0x2100, v113
	ds_read2_b32 v[114:115], v114 offset1:1
	s_waitcnt lgkmcnt(1)
	v_ashrrev_i32_e32 v116, s3, v116
	v_lshlrev_b32_e32 v116, 2, v116
	v_and_b32_e32 v116, 0x4040404, v116
	v_ashrrev_i32_e32 v117, s3, v117
	s_waitcnt lgkmcnt(0)
	v_ashrrev_i32_e32 v114, s29, v114
	v_and_b32_e32 v118, 0x3030303, v114
	v_bfe_u32 v114, v114, 24, 2
	v_sub_u16_e32 v119, v118, v116
	v_sub_u16_sdwa v120, v118, v116 dst_sel:BYTE_1 dst_unused:UNUSED_PAD src0_sel:BYTE_1 src1_sel:BYTE_1
	v_sub_u16_sdwa v114, v114, v116 dst_sel:BYTE_1 dst_unused:UNUSED_PAD src0_sel:DWORD src1_sel:BYTE_3
	v_sub_u16_sdwa v116, v118, v116 dst_sel:DWORD dst_unused:UNUSED_PAD src0_sel:WORD_1 src1_sel:WORD_1
	v_ashrrev_i32_e32 v115, s29, v115
	v_lshlrev_b32_e32 v117, 2, v117
	v_or_b32_sdwa v119, v119, v120 dst_sel:DWORD dst_unused:UNUSED_PAD src0_sel:BYTE_0 src1_sel:DWORD
	v_or_b32_sdwa v114, v116, v114 dst_sel:WORD_1 dst_unused:UNUSED_PAD src0_sel:BYTE_0 src1_sel:DWORD
	v_and_b32_e32 v116, 0x3030303, v115
	v_bfe_u32 v115, v115, 24, 2
	v_and_b32_e32 v117, 0x4040404, v117
	v_or_b32_sdwa v114, v119, v114 dst_sel:DWORD dst_unused:UNUSED_PAD src0_sel:WORD_0 src1_sel:DWORD
	v_sub_u16_e32 v118, v116, v117
	v_sub_u16_sdwa v119, v116, v117 dst_sel:BYTE_1 dst_unused:UNUSED_PAD src0_sel:BYTE_1 src1_sel:BYTE_1
	v_sub_u16_sdwa v115, v115, v117 dst_sel:BYTE_1 dst_unused:UNUSED_PAD src0_sel:DWORD src1_sel:BYTE_3
	v_sub_u16_sdwa v116, v116, v117 dst_sel:DWORD dst_unused:UNUSED_PAD src0_sel:WORD_1 src1_sel:WORD_1
	v_or_b32_sdwa v118, v118, v119 dst_sel:DWORD dst_unused:UNUSED_PAD src0_sel:BYTE_0 src1_sel:DWORD
	v_or_b32_sdwa v115, v116, v115 dst_sel:WORD_1 dst_unused:UNUSED_PAD src0_sel:BYTE_0 src1_sel:DWORD
	v_add_u32_e32 v116, 0x2108, v113
	v_or_b32_sdwa v115, v118, v115 dst_sel:DWORD dst_unused:UNUSED_PAD src0_sel:WORD_0 src1_sel:DWORD
	ds_read2_b32 v[116:117], v116 offset1:1
	ds_read2_b32 v[118:119], v122 offset0:2 offset1:3
	v_dot4_i32_i8 v114, v114, v5, 0
	v_dot4_i32_i8 v114, v115, v6, v114
	s_waitcnt lgkmcnt(1)
	v_ashrrev_i32_e32 v116, s29, v116
	s_waitcnt lgkmcnt(0)
	v_ashrrev_i32_e32 v118, s3, v118
	v_lshlrev_b32_e32 v118, 2, v118
	v_and_b32_e32 v120, 0x3030303, v116
	v_bfe_u32 v116, v116, 24, 2
	v_and_b32_e32 v118, 0x4040404, v118
	v_ashrrev_i32_e32 v119, s3, v119
	v_sub_u16_e32 v121, v120, v118
	v_sub_u16_sdwa v123, v120, v118 dst_sel:BYTE_1 dst_unused:UNUSED_PAD src0_sel:BYTE_1 src1_sel:BYTE_1
	v_sub_u16_sdwa v116, v116, v118 dst_sel:BYTE_1 dst_unused:UNUSED_PAD src0_sel:DWORD src1_sel:BYTE_3
	v_sub_u16_sdwa v118, v120, v118 dst_sel:DWORD dst_unused:UNUSED_PAD src0_sel:WORD_1 src1_sel:WORD_1
	v_ashrrev_i32_e32 v117, s29, v117
	v_lshlrev_b32_e32 v119, 2, v119
	v_or_b32_sdwa v121, v121, v123 dst_sel:DWORD dst_unused:UNUSED_PAD src0_sel:BYTE_0 src1_sel:DWORD
	v_or_b32_sdwa v116, v118, v116 dst_sel:WORD_1 dst_unused:UNUSED_PAD src0_sel:BYTE_0 src1_sel:DWORD
	v_and_b32_e32 v118, 0x3030303, v117
	v_bfe_u32 v117, v117, 24, 2
	v_and_b32_e32 v119, 0x4040404, v119
	v_or_b32_sdwa v116, v121, v116 dst_sel:DWORD dst_unused:UNUSED_PAD src0_sel:WORD_0 src1_sel:DWORD
	v_sub_u16_e32 v120, v118, v119
	v_sub_u16_sdwa v121, v118, v119 dst_sel:BYTE_1 dst_unused:UNUSED_PAD src0_sel:BYTE_1 src1_sel:BYTE_1
	v_sub_u16_sdwa v117, v117, v119 dst_sel:BYTE_1 dst_unused:UNUSED_PAD src0_sel:DWORD src1_sel:BYTE_3
	v_sub_u16_sdwa v118, v118, v119 dst_sel:DWORD dst_unused:UNUSED_PAD src0_sel:WORD_1 src1_sel:WORD_1
	v_or_b32_sdwa v120, v120, v121 dst_sel:DWORD dst_unused:UNUSED_PAD src0_sel:BYTE_0 src1_sel:DWORD
	v_or_b32_sdwa v117, v118, v117 dst_sel:WORD_1 dst_unused:UNUSED_PAD src0_sel:BYTE_0 src1_sel:DWORD
	v_add_u32_e32 v118, 0x2110, v113
	v_or_b32_sdwa v117, v120, v117 dst_sel:DWORD dst_unused:UNUSED_PAD src0_sel:WORD_0 src1_sel:DWORD
	ds_read2_b32 v[118:119], v118 offset1:1
	ds_read2_b32 v[120:121], v122 offset0:4 offset1:5
	v_dot4_i32_i8 v114, v116, v7, v114
	v_dot4_i32_i8 v114, v117, v8, v114
	s_waitcnt lgkmcnt(1)
	v_ashrrev_i32_e32 v118, s29, v118
	s_waitcnt lgkmcnt(0)
	v_ashrrev_i32_e32 v120, s3, v120
	v_lshlrev_b32_e32 v120, 2, v120
	v_and_b32_e32 v123, 0x3030303, v118
	v_bfe_u32 v118, v118, 24, 2
	v_and_b32_e32 v120, 0x4040404, v120
	v_ashrrev_i32_e32 v121, s3, v121
	;; [unrolled: 33-line block ×3, first 2 shown]
	v_sub_u16_e32 v125, v124, v122
	v_sub_u16_sdwa v126, v124, v122 dst_sel:BYTE_1 dst_unused:UNUSED_PAD src0_sel:BYTE_1 src1_sel:BYTE_1
	v_sub_u16_sdwa v120, v120, v122 dst_sel:BYTE_1 dst_unused:UNUSED_PAD src0_sel:DWORD src1_sel:BYTE_3
	v_sub_u16_sdwa v122, v124, v122 dst_sel:DWORD dst_unused:UNUSED_PAD src0_sel:WORD_1 src1_sel:WORD_1
	v_ashrrev_i32_e32 v121, s29, v121
	v_lshlrev_b32_e32 v123, 2, v123
	v_or_b32_sdwa v125, v125, v126 dst_sel:DWORD dst_unused:UNUSED_PAD src0_sel:BYTE_0 src1_sel:DWORD
	v_or_b32_sdwa v120, v122, v120 dst_sel:WORD_1 dst_unused:UNUSED_PAD src0_sel:BYTE_0 src1_sel:DWORD
	v_and_b32_e32 v122, 0x3030303, v121
	v_bfe_u32 v121, v121, 24, 2
	v_and_b32_e32 v123, 0x4040404, v123
	v_or_b32_sdwa v120, v125, v120 dst_sel:DWORD dst_unused:UNUSED_PAD src0_sel:WORD_0 src1_sel:DWORD
	v_sub_u16_e32 v124, v122, v123
	v_sub_u16_sdwa v125, v122, v123 dst_sel:BYTE_1 dst_unused:UNUSED_PAD src0_sel:BYTE_1 src1_sel:BYTE_1
	v_sub_u16_sdwa v121, v121, v123 dst_sel:BYTE_1 dst_unused:UNUSED_PAD src0_sel:DWORD src1_sel:BYTE_3
	v_sub_u16_sdwa v122, v122, v123 dst_sel:DWORD dst_unused:UNUSED_PAD src0_sel:WORD_1 src1_sel:WORD_1
	v_or_b32_sdwa v121, v122, v121 dst_sel:WORD_1 dst_unused:UNUSED_PAD src0_sel:BYTE_0 src1_sel:DWORD
	v_add_u32_e32 v122, s28, v74
	v_add3_u32 v123, s17, v100, v101
	ds_read_b32 v123, v123
	ds_read_u16 v116, v122 offset:27378
	v_or_b32_sdwa v124, v124, v125 dst_sel:DWORD dst_unused:UNUSED_PAD src0_sel:BYTE_0 src1_sel:DWORD
	v_or_b32_sdwa v121, v124, v121 dst_sel:DWORD dst_unused:UNUSED_PAD src0_sel:WORD_0 src1_sel:DWORD
	v_dot4_i32_i8 v115, v120, v3, v115
	v_dot4_i32_i8 v115, v121, v4, v115
	s_waitcnt lgkmcnt(0)
	v_lshrrev_b16_e32 v117, 8, v116
	v_bfe_i32 v116, v116, 0, 8
	v_mul_lo_u32 v114, v114, v116
	v_bfe_i32 v117, v117, 0, 8
	v_add3_u32 v122, s30, v102, v103
	v_mad_u64_u32 v[114:115], s[34:35], v115, v117, v[114:115]
	v_mul_f32_e32 v115, v112, v123
	ds_read2_b32 v[116:117], v122 offset1:1
	v_cvt_f32_i32_e32 v114, v114
	v_fmac_f32_e32 v64, v115, v114
	v_add_u32_e32 v114, 0x3180, v113
	ds_read2_b32 v[114:115], v114 offset1:1
	s_waitcnt lgkmcnt(1)
	v_ashrrev_i32_e32 v116, s3, v116
	v_lshlrev_b32_e32 v116, 2, v116
	v_and_b32_e32 v116, 0x4040404, v116
	v_ashrrev_i32_e32 v117, s3, v117
	s_waitcnt lgkmcnt(0)
	v_ashrrev_i32_e32 v114, s29, v114
	v_and_b32_e32 v118, 0x3030303, v114
	v_bfe_u32 v114, v114, 24, 2
	v_sub_u16_e32 v119, v118, v116
	v_sub_u16_sdwa v120, v118, v116 dst_sel:BYTE_1 dst_unused:UNUSED_PAD src0_sel:BYTE_1 src1_sel:BYTE_1
	v_sub_u16_sdwa v114, v114, v116 dst_sel:BYTE_1 dst_unused:UNUSED_PAD src0_sel:DWORD src1_sel:BYTE_3
	v_sub_u16_sdwa v116, v118, v116 dst_sel:DWORD dst_unused:UNUSED_PAD src0_sel:WORD_1 src1_sel:WORD_1
	v_ashrrev_i32_e32 v115, s29, v115
	v_lshlrev_b32_e32 v117, 2, v117
	v_or_b32_sdwa v119, v119, v120 dst_sel:DWORD dst_unused:UNUSED_PAD src0_sel:BYTE_0 src1_sel:DWORD
	v_or_b32_sdwa v114, v116, v114 dst_sel:WORD_1 dst_unused:UNUSED_PAD src0_sel:BYTE_0 src1_sel:DWORD
	v_and_b32_e32 v116, 0x3030303, v115
	v_bfe_u32 v115, v115, 24, 2
	v_and_b32_e32 v117, 0x4040404, v117
	v_or_b32_sdwa v114, v119, v114 dst_sel:DWORD dst_unused:UNUSED_PAD src0_sel:WORD_0 src1_sel:DWORD
	v_sub_u16_e32 v118, v116, v117
	v_sub_u16_sdwa v119, v116, v117 dst_sel:BYTE_1 dst_unused:UNUSED_PAD src0_sel:BYTE_1 src1_sel:BYTE_1
	v_sub_u16_sdwa v115, v115, v117 dst_sel:BYTE_1 dst_unused:UNUSED_PAD src0_sel:DWORD src1_sel:BYTE_3
	v_sub_u16_sdwa v116, v116, v117 dst_sel:DWORD dst_unused:UNUSED_PAD src0_sel:WORD_1 src1_sel:WORD_1
	v_or_b32_sdwa v118, v118, v119 dst_sel:DWORD dst_unused:UNUSED_PAD src0_sel:BYTE_0 src1_sel:DWORD
	v_or_b32_sdwa v115, v116, v115 dst_sel:WORD_1 dst_unused:UNUSED_PAD src0_sel:BYTE_0 src1_sel:DWORD
	v_add_u32_e32 v116, 0x3188, v113
	v_or_b32_sdwa v115, v118, v115 dst_sel:DWORD dst_unused:UNUSED_PAD src0_sel:WORD_0 src1_sel:DWORD
	ds_read2_b32 v[116:117], v116 offset1:1
	ds_read2_b32 v[118:119], v122 offset0:2 offset1:3
	v_dot4_i32_i8 v5, v114, v5, 0
	v_dot4_i32_i8 v5, v115, v6, v5
	s_waitcnt lgkmcnt(1)
	v_ashrrev_i32_e32 v116, s29, v116
	s_waitcnt lgkmcnt(0)
	v_ashrrev_i32_e32 v118, s3, v118
	v_lshlrev_b32_e32 v118, 2, v118
	v_and_b32_e32 v120, 0x3030303, v116
	v_bfe_u32 v116, v116, 24, 2
	v_and_b32_e32 v118, 0x4040404, v118
	v_ashrrev_i32_e32 v119, s3, v119
	v_sub_u16_e32 v121, v120, v118
	v_sub_u16_sdwa v123, v120, v118 dst_sel:BYTE_1 dst_unused:UNUSED_PAD src0_sel:BYTE_1 src1_sel:BYTE_1
	v_sub_u16_sdwa v116, v116, v118 dst_sel:BYTE_1 dst_unused:UNUSED_PAD src0_sel:DWORD src1_sel:BYTE_3
	v_sub_u16_sdwa v118, v120, v118 dst_sel:DWORD dst_unused:UNUSED_PAD src0_sel:WORD_1 src1_sel:WORD_1
	v_ashrrev_i32_e32 v117, s29, v117
	v_lshlrev_b32_e32 v119, 2, v119
	v_or_b32_sdwa v121, v121, v123 dst_sel:DWORD dst_unused:UNUSED_PAD src0_sel:BYTE_0 src1_sel:DWORD
	v_or_b32_sdwa v116, v118, v116 dst_sel:WORD_1 dst_unused:UNUSED_PAD src0_sel:BYTE_0 src1_sel:DWORD
	v_and_b32_e32 v118, 0x3030303, v117
	v_bfe_u32 v117, v117, 24, 2
	v_and_b32_e32 v119, 0x4040404, v119
	v_or_b32_sdwa v116, v121, v116 dst_sel:DWORD dst_unused:UNUSED_PAD src0_sel:WORD_0 src1_sel:DWORD
	v_sub_u16_e32 v120, v118, v119
	v_sub_u16_sdwa v121, v118, v119 dst_sel:BYTE_1 dst_unused:UNUSED_PAD src0_sel:BYTE_1 src1_sel:BYTE_1
	v_sub_u16_sdwa v117, v117, v119 dst_sel:BYTE_1 dst_unused:UNUSED_PAD src0_sel:DWORD src1_sel:BYTE_3
	v_sub_u16_sdwa v118, v118, v119 dst_sel:DWORD dst_unused:UNUSED_PAD src0_sel:WORD_1 src1_sel:WORD_1
	v_or_b32_sdwa v120, v120, v121 dst_sel:DWORD dst_unused:UNUSED_PAD src0_sel:BYTE_0 src1_sel:DWORD
	v_or_b32_sdwa v117, v118, v117 dst_sel:WORD_1 dst_unused:UNUSED_PAD src0_sel:BYTE_0 src1_sel:DWORD
	v_add_u32_e32 v118, 0x3190, v113
	v_or_b32_sdwa v117, v120, v117 dst_sel:DWORD dst_unused:UNUSED_PAD src0_sel:WORD_0 src1_sel:DWORD
	ds_read2_b32 v[118:119], v118 offset1:1
	ds_read2_b32 v[120:121], v122 offset0:4 offset1:5
	v_add_u32_e32 v113, 0x3198, v113
	v_dot4_i32_i8 v5, v116, v7, v5
	v_dot4_i32_i8 v5, v117, v8, v5
	s_waitcnt lgkmcnt(1)
	v_ashrrev_i32_e32 v118, s29, v118
	s_waitcnt lgkmcnt(0)
	v_ashrrev_i32_e32 v120, s3, v120
	v_lshlrev_b32_e32 v120, 2, v120
	v_and_b32_e32 v123, 0x3030303, v118
	v_bfe_u32 v118, v118, 24, 2
	v_and_b32_e32 v120, 0x4040404, v120
	v_ashrrev_i32_e32 v121, s3, v121
	v_sub_u16_e32 v124, v123, v120
	v_sub_u16_sdwa v125, v123, v120 dst_sel:BYTE_1 dst_unused:UNUSED_PAD src0_sel:BYTE_1 src1_sel:BYTE_1
	v_sub_u16_sdwa v118, v118, v120 dst_sel:BYTE_1 dst_unused:UNUSED_PAD src0_sel:DWORD src1_sel:BYTE_3
	v_sub_u16_sdwa v120, v123, v120 dst_sel:DWORD dst_unused:UNUSED_PAD src0_sel:WORD_1 src1_sel:WORD_1
	v_ashrrev_i32_e32 v119, s29, v119
	v_lshlrev_b32_e32 v121, 2, v121
	v_or_b32_sdwa v124, v124, v125 dst_sel:DWORD dst_unused:UNUSED_PAD src0_sel:BYTE_0 src1_sel:DWORD
	v_or_b32_sdwa v118, v120, v118 dst_sel:WORD_1 dst_unused:UNUSED_PAD src0_sel:BYTE_0 src1_sel:DWORD
	v_and_b32_e32 v120, 0x3030303, v119
	v_bfe_u32 v119, v119, 24, 2
	v_and_b32_e32 v121, 0x4040404, v121
	v_or_b32_sdwa v118, v124, v118 dst_sel:DWORD dst_unused:UNUSED_PAD src0_sel:WORD_0 src1_sel:DWORD
	v_sub_u16_e32 v123, v120, v121
	v_sub_u16_sdwa v124, v120, v121 dst_sel:BYTE_1 dst_unused:UNUSED_PAD src0_sel:BYTE_1 src1_sel:BYTE_1
	v_sub_u16_sdwa v119, v119, v121 dst_sel:BYTE_1 dst_unused:UNUSED_PAD src0_sel:DWORD src1_sel:BYTE_3
	v_sub_u16_sdwa v120, v120, v121 dst_sel:DWORD dst_unused:UNUSED_PAD src0_sel:WORD_1 src1_sel:WORD_1
	v_or_b32_sdwa v123, v123, v124 dst_sel:DWORD dst_unused:UNUSED_PAD src0_sel:BYTE_0 src1_sel:DWORD
	v_or_b32_sdwa v119, v120, v119 dst_sel:WORD_1 dst_unused:UNUSED_PAD src0_sel:BYTE_0 src1_sel:DWORD
	v_or_b32_sdwa v119, v123, v119 dst_sel:DWORD dst_unused:UNUSED_PAD src0_sel:WORD_0 src1_sel:DWORD
	ds_read2_b32 v[120:121], v113 offset1:1
	ds_read2_b32 v[122:123], v122 offset0:6 offset1:7
	v_dot4_i32_i8 v1, v118, v1, 0
	v_dot4_i32_i8 v1, v119, v2, v1
	s_waitcnt lgkmcnt(1)
	v_ashrrev_i32_e32 v113, s29, v120
	s_waitcnt lgkmcnt(0)
	v_ashrrev_i32_e32 v122, s3, v122
	v_lshlrev_b32_e32 v122, 2, v122
	v_and_b32_e32 v120, 0x3030303, v113
	v_bfe_u32 v113, v113, 24, 2
	v_and_b32_e32 v122, 0x4040404, v122
	v_sub_u16_e32 v124, v120, v122
	v_sub_u16_sdwa v125, v120, v122 dst_sel:BYTE_1 dst_unused:UNUSED_PAD src0_sel:BYTE_1 src1_sel:BYTE_1
	v_sub_u16_sdwa v113, v113, v122 dst_sel:BYTE_1 dst_unused:UNUSED_PAD src0_sel:DWORD src1_sel:BYTE_3
	v_sub_u16_sdwa v120, v120, v122 dst_sel:DWORD dst_unused:UNUSED_PAD src0_sel:WORD_1 src1_sel:WORD_1
	v_ashrrev_i32_e32 v122, s3, v123
	v_or_b32_sdwa v113, v120, v113 dst_sel:WORD_1 dst_unused:UNUSED_PAD src0_sel:BYTE_0 src1_sel:DWORD
	v_ashrrev_i32_e32 v120, s29, v121
	v_lshlrev_b32_e32 v122, 2, v122
	v_or_b32_sdwa v124, v124, v125 dst_sel:DWORD dst_unused:UNUSED_PAD src0_sel:BYTE_0 src1_sel:DWORD
	v_and_b32_e32 v121, 0x3030303, v120
	v_bfe_u32 v120, v120, 24, 2
	v_and_b32_e32 v122, 0x4040404, v122
	v_or_b32_sdwa v113, v124, v113 dst_sel:DWORD dst_unused:UNUSED_PAD src0_sel:WORD_0 src1_sel:DWORD
	v_sub_u16_e32 v123, v121, v122
	v_sub_u16_sdwa v124, v121, v122 dst_sel:BYTE_1 dst_unused:UNUSED_PAD src0_sel:BYTE_1 src1_sel:BYTE_1
	v_sub_u16_sdwa v120, v120, v122 dst_sel:BYTE_1 dst_unused:UNUSED_PAD src0_sel:DWORD src1_sel:BYTE_3
	v_sub_u16_sdwa v121, v121, v122 dst_sel:DWORD dst_unused:UNUSED_PAD src0_sel:WORD_1 src1_sel:WORD_1
	v_or_b32_sdwa v123, v123, v124 dst_sel:DWORD dst_unused:UNUSED_PAD src0_sel:BYTE_0 src1_sel:DWORD
	v_or_b32_sdwa v120, v121, v120 dst_sel:WORD_1 dst_unused:UNUSED_PAD src0_sel:BYTE_0 src1_sel:DWORD
	v_or_b32_sdwa v120, v123, v120 dst_sel:DWORD dst_unused:UNUSED_PAD src0_sel:WORD_0 src1_sel:DWORD
	v_add_u32_e32 v122, s28, v72
	v_add3_u32 v121, s17, v104, v105
	v_dot4_i32_i8 v1, v113, v3, v1
	ds_read_b32 v121, v121
	v_dot4_i32_i8 v2, v120, v4, v1
	ds_read_u16 v1, v122 offset:28402
	s_add_i32 s3, s3, 1
	s_cmp_lt_u32 s16, 22
	s_mov_b32 s17, s16
	s_waitcnt lgkmcnt(0)
	v_lshrrev_b16_e32 v3, 8, v1
	v_bfe_i32 v1, v1, 0, 8
	v_mul_lo_u32 v1, v5, v1
	v_bfe_i32 v3, v3, 0, 8
	v_mad_u64_u32 v[1:2], s[28:29], v2, v3, v[1:2]
	v_mul_f32_e32 v2, v112, v121
	v_cvt_f32_i32_e32 v1, v1
	v_fmac_f32_e32 v9, v2, v1
	s_cbranch_scc1 .LBB189_27
; %bb.28:                               ;   in Loop: Header=BB189_5 Depth=1
	s_or_b32 s2, s26, 0x180
	s_cmp_ge_i32 s2, s15
	s_barrier
	s_cbranch_scc1 .LBB189_4
; %bb.29:                               ;   in Loop: Header=BB189_5 Depth=1
	v_add_u32_e32 v1, s27, v67
	v_cmp_gt_i32_e64 s[2:3], s9, v1
	s_and_b64 s[16:17], s[0:1], s[2:3]
	s_and_saveexec_b64 s[2:3], s[16:17]
	s_cbranch_execz .LBB189_31
; %bb.30:                               ;   in Loop: Header=BB189_5 Depth=1
	v_add_u32_e32 v1, v69, v1
	v_mad_i64_i32 v[1:2], s[16:17], v1, 36, v[10:11]
	global_load_dword v1, v[1:2], off offset:4
	s_waitcnt vmcnt(0)
	ds_write_b32 v61, v1
.LBB189_31:                             ;   in Loop: Header=BB189_5 Depth=1
	s_or_b64 exec, exec, s[2:3]
	s_and_saveexec_b64 s[16:17], vcc
	s_cbranch_execz .LBB189_34
; %bb.32:                               ;   in Loop: Header=BB189_5 Depth=1
	v_or_b32_e32 v1, 12, v109
	v_cmp_gt_i32_e64 s[2:3], s9, v1
	s_and_b64 s[2:3], s[0:1], s[2:3]
	s_and_b64 exec, exec, s[2:3]
	s_cbranch_execz .LBB189_34
; %bb.33:                               ;   in Loop: Header=BB189_5 Depth=1
	v_ashrrev_i32_e32 v1, 31, v109
	v_add_co_u32_e64 v2, s[2:3], v69, v109
	v_addc_co_u32_e64 v3, s[2:3], v71, v1, s[2:3]
	v_mad_u64_u32 v[1:2], s[2:3], v2, 36, s[6:7]
	v_mad_i32_i24 v2, v3, 36, v2
	global_load_dword v1, v[1:2], off offset:432
	s_waitcnt vmcnt(0)
	v_cvt_f32_f16_e32 v1, v1
	ds_write_b32 v63, v1
.LBB189_34:                             ;   in Loop: Header=BB189_5 Depth=1
	s_or_b64 exec, exec, s[16:17]
	s_mov_b32 s2, 24
	s_mov_b32 s17, 22
	;; [unrolled: 1-line block ×3, first 2 shown]
	v_mov_b32_e32 v109, v60
	v_mov_b32_e32 v110, v62
	s_waitcnt lgkmcnt(0)
	s_barrier
.LBB189_35:                             ;   Parent Loop BB189_5 Depth=1
                                        ; =>  This Inner Loop Header: Depth=2
	s_add_i32 s16, s17, 2
	s_lshr_b32 s29, s16, 4
	s_and_b32 s28, s16, 0x3ffffff8
	v_lshl_add_u32 v112, s28, 2, v70
	s_lshl_b32 s28, s29, 5
	s_addk_i32 s28, 0x4200
	v_add3_u32 v121, s28, v106, v93
	ds_read_b32 v111, v110
	ds_read_b128 v[5:8], v109
	ds_read_b128 v[1:4], v109 offset:16
	ds_read2_b32 v[113:114], v112 offset1:1
	ds_read2_b32 v[115:116], v121 offset1:1
	s_sub_i32 s27, s17, 22
	s_and_b32 s26, s2, -16
	s_add_i32 s26, s17, s26
	s_waitcnt lgkmcnt(1)
	v_ashrrev_i32_e32 v113, s27, v113
	s_waitcnt lgkmcnt(0)
	v_ashrrev_i32_e32 v115, s3, v115
	v_lshlrev_b32_e32 v115, 2, v115
	v_and_b32_e32 v117, 0x3030303, v113
	v_bfe_u32 v113, v113, 24, 2
	v_and_b32_e32 v115, 0x4040404, v115
	v_ashrrev_i32_e32 v116, s3, v116
	v_sub_u16_e32 v118, v117, v115
	v_sub_u16_sdwa v119, v117, v115 dst_sel:BYTE_1 dst_unused:UNUSED_PAD src0_sel:BYTE_1 src1_sel:BYTE_1
	v_sub_u16_sdwa v113, v113, v115 dst_sel:BYTE_1 dst_unused:UNUSED_PAD src0_sel:DWORD src1_sel:BYTE_3
	v_sub_u16_sdwa v115, v117, v115 dst_sel:DWORD dst_unused:UNUSED_PAD src0_sel:WORD_1 src1_sel:WORD_1
	v_ashrrev_i32_e32 v114, s27, v114
	v_lshlrev_b32_e32 v116, 2, v116
	v_or_b32_sdwa v118, v118, v119 dst_sel:DWORD dst_unused:UNUSED_PAD src0_sel:BYTE_0 src1_sel:DWORD
	v_or_b32_sdwa v113, v115, v113 dst_sel:WORD_1 dst_unused:UNUSED_PAD src0_sel:BYTE_0 src1_sel:DWORD
	v_and_b32_e32 v115, 0x3030303, v114
	v_bfe_u32 v114, v114, 24, 2
	v_and_b32_e32 v116, 0x4040404, v116
	v_or_b32_sdwa v113, v118, v113 dst_sel:DWORD dst_unused:UNUSED_PAD src0_sel:WORD_0 src1_sel:DWORD
	v_sub_u16_e32 v117, v115, v116
	v_sub_u16_sdwa v118, v115, v116 dst_sel:BYTE_1 dst_unused:UNUSED_PAD src0_sel:BYTE_1 src1_sel:BYTE_1
	v_sub_u16_sdwa v114, v114, v116 dst_sel:BYTE_1 dst_unused:UNUSED_PAD src0_sel:DWORD src1_sel:BYTE_3
	v_sub_u16_sdwa v115, v115, v116 dst_sel:DWORD dst_unused:UNUSED_PAD src0_sel:WORD_1 src1_sel:WORD_1
	v_or_b32_sdwa v117, v117, v118 dst_sel:DWORD dst_unused:UNUSED_PAD src0_sel:BYTE_0 src1_sel:DWORD
	v_or_b32_sdwa v114, v115, v114 dst_sel:WORD_1 dst_unused:UNUSED_PAD src0_sel:BYTE_0 src1_sel:DWORD
	v_or_b32_sdwa v114, v117, v114 dst_sel:DWORD dst_unused:UNUSED_PAD src0_sel:WORD_0 src1_sel:DWORD
	ds_read2_b32 v[115:116], v112 offset0:2 offset1:3
	ds_read2_b32 v[117:118], v121 offset0:2 offset1:3
	s_lshl_b32 s17, s29, 2
	s_addk_i32 s17, 0x7380
	v_dot4_i32_i8 v113, v113, v5, 0
	s_waitcnt lgkmcnt(1)
	v_ashrrev_i32_e32 v115, s27, v115
	s_waitcnt lgkmcnt(0)
	v_ashrrev_i32_e32 v117, s3, v117
	v_lshlrev_b32_e32 v117, 2, v117
	v_and_b32_e32 v119, 0x3030303, v115
	v_bfe_u32 v115, v115, 24, 2
	v_and_b32_e32 v117, 0x4040404, v117
	v_ashrrev_i32_e32 v118, s3, v118
	v_sub_u16_e32 v120, v119, v117
	v_sub_u16_sdwa v122, v119, v117 dst_sel:BYTE_1 dst_unused:UNUSED_PAD src0_sel:BYTE_1 src1_sel:BYTE_1
	v_sub_u16_sdwa v115, v115, v117 dst_sel:BYTE_1 dst_unused:UNUSED_PAD src0_sel:DWORD src1_sel:BYTE_3
	v_sub_u16_sdwa v117, v119, v117 dst_sel:DWORD dst_unused:UNUSED_PAD src0_sel:WORD_1 src1_sel:WORD_1
	v_ashrrev_i32_e32 v116, s27, v116
	v_lshlrev_b32_e32 v118, 2, v118
	v_or_b32_sdwa v120, v120, v122 dst_sel:DWORD dst_unused:UNUSED_PAD src0_sel:BYTE_0 src1_sel:DWORD
	v_or_b32_sdwa v115, v117, v115 dst_sel:WORD_1 dst_unused:UNUSED_PAD src0_sel:BYTE_0 src1_sel:DWORD
	v_and_b32_e32 v117, 0x3030303, v116
	v_bfe_u32 v116, v116, 24, 2
	v_and_b32_e32 v118, 0x4040404, v118
	v_or_b32_sdwa v115, v120, v115 dst_sel:DWORD dst_unused:UNUSED_PAD src0_sel:WORD_0 src1_sel:DWORD
	v_sub_u16_e32 v119, v117, v118
	v_sub_u16_sdwa v120, v117, v118 dst_sel:BYTE_1 dst_unused:UNUSED_PAD src0_sel:BYTE_1 src1_sel:BYTE_1
	v_sub_u16_sdwa v116, v116, v118 dst_sel:BYTE_1 dst_unused:UNUSED_PAD src0_sel:DWORD src1_sel:BYTE_3
	v_sub_u16_sdwa v117, v117, v118 dst_sel:DWORD dst_unused:UNUSED_PAD src0_sel:WORD_1 src1_sel:WORD_1
	v_or_b32_sdwa v119, v119, v120 dst_sel:DWORD dst_unused:UNUSED_PAD src0_sel:BYTE_0 src1_sel:DWORD
	v_or_b32_sdwa v116, v117, v116 dst_sel:WORD_1 dst_unused:UNUSED_PAD src0_sel:BYTE_0 src1_sel:DWORD
	v_or_b32_sdwa v116, v119, v116 dst_sel:DWORD dst_unused:UNUSED_PAD src0_sel:WORD_0 src1_sel:DWORD
	ds_read2_b32 v[117:118], v112 offset0:4 offset1:5
	ds_read2_b32 v[119:120], v121 offset0:4 offset1:5
	v_dot4_i32_i8 v113, v114, v6, v113
	v_dot4_i32_i8 v113, v115, v7, v113
	;; [unrolled: 1-line block ×3, first 2 shown]
	s_waitcnt lgkmcnt(1)
	v_ashrrev_i32_e32 v117, s27, v117
	s_waitcnt lgkmcnt(0)
	v_ashrrev_i32_e32 v119, s3, v119
	v_lshlrev_b32_e32 v119, 2, v119
	v_and_b32_e32 v122, 0x3030303, v117
	v_bfe_u32 v117, v117, 24, 2
	v_and_b32_e32 v119, 0x4040404, v119
	v_ashrrev_i32_e32 v120, s3, v120
	v_sub_u16_e32 v123, v122, v119
	v_sub_u16_sdwa v124, v122, v119 dst_sel:BYTE_1 dst_unused:UNUSED_PAD src0_sel:BYTE_1 src1_sel:BYTE_1
	v_sub_u16_sdwa v117, v117, v119 dst_sel:BYTE_1 dst_unused:UNUSED_PAD src0_sel:DWORD src1_sel:BYTE_3
	v_sub_u16_sdwa v119, v122, v119 dst_sel:DWORD dst_unused:UNUSED_PAD src0_sel:WORD_1 src1_sel:WORD_1
	v_ashrrev_i32_e32 v118, s27, v118
	v_lshlrev_b32_e32 v120, 2, v120
	v_or_b32_sdwa v123, v123, v124 dst_sel:DWORD dst_unused:UNUSED_PAD src0_sel:BYTE_0 src1_sel:DWORD
	v_or_b32_sdwa v117, v119, v117 dst_sel:WORD_1 dst_unused:UNUSED_PAD src0_sel:BYTE_0 src1_sel:DWORD
	v_and_b32_e32 v119, 0x3030303, v118
	v_bfe_u32 v118, v118, 24, 2
	v_and_b32_e32 v120, 0x4040404, v120
	v_or_b32_sdwa v117, v123, v117 dst_sel:DWORD dst_unused:UNUSED_PAD src0_sel:WORD_0 src1_sel:DWORD
	v_sub_u16_e32 v122, v119, v120
	v_sub_u16_sdwa v123, v119, v120 dst_sel:BYTE_1 dst_unused:UNUSED_PAD src0_sel:BYTE_1 src1_sel:BYTE_1
	v_sub_u16_sdwa v118, v118, v120 dst_sel:BYTE_1 dst_unused:UNUSED_PAD src0_sel:DWORD src1_sel:BYTE_3
	v_sub_u16_sdwa v119, v119, v120 dst_sel:DWORD dst_unused:UNUSED_PAD src0_sel:WORD_1 src1_sel:WORD_1
	v_or_b32_sdwa v122, v122, v123 dst_sel:DWORD dst_unused:UNUSED_PAD src0_sel:BYTE_0 src1_sel:DWORD
	v_or_b32_sdwa v118, v119, v118 dst_sel:WORD_1 dst_unused:UNUSED_PAD src0_sel:BYTE_0 src1_sel:DWORD
	v_or_b32_sdwa v118, v122, v118 dst_sel:DWORD dst_unused:UNUSED_PAD src0_sel:WORD_0 src1_sel:DWORD
	ds_read2_b32 v[119:120], v112 offset0:6 offset1:7
	ds_read2_b32 v[121:122], v121 offset0:6 offset1:7
	v_dot4_i32_i8 v114, v117, v1, 0
	v_dot4_i32_i8 v114, v118, v2, v114
	s_add_i32 s2, s2, 2
	s_waitcnt lgkmcnt(1)
	v_ashrrev_i32_e32 v119, s27, v119
	s_waitcnt lgkmcnt(0)
	v_ashrrev_i32_e32 v121, s3, v121
	v_lshlrev_b32_e32 v121, 2, v121
	v_and_b32_e32 v123, 0x3030303, v119
	v_bfe_u32 v119, v119, 24, 2
	v_and_b32_e32 v121, 0x4040404, v121
	v_ashrrev_i32_e32 v122, s3, v122
	v_sub_u16_e32 v124, v123, v121
	v_sub_u16_sdwa v125, v123, v121 dst_sel:BYTE_1 dst_unused:UNUSED_PAD src0_sel:BYTE_1 src1_sel:BYTE_1
	v_sub_u16_sdwa v119, v119, v121 dst_sel:BYTE_1 dst_unused:UNUSED_PAD src0_sel:DWORD src1_sel:BYTE_3
	v_sub_u16_sdwa v121, v123, v121 dst_sel:DWORD dst_unused:UNUSED_PAD src0_sel:WORD_1 src1_sel:WORD_1
	v_ashrrev_i32_e32 v120, s27, v120
	v_lshlrev_b32_e32 v122, 2, v122
	v_or_b32_sdwa v124, v124, v125 dst_sel:DWORD dst_unused:UNUSED_PAD src0_sel:BYTE_0 src1_sel:DWORD
	v_or_b32_sdwa v119, v121, v119 dst_sel:WORD_1 dst_unused:UNUSED_PAD src0_sel:BYTE_0 src1_sel:DWORD
	v_and_b32_e32 v121, 0x3030303, v120
	v_bfe_u32 v120, v120, 24, 2
	v_and_b32_e32 v122, 0x4040404, v122
	v_or_b32_sdwa v119, v124, v119 dst_sel:DWORD dst_unused:UNUSED_PAD src0_sel:WORD_0 src1_sel:DWORD
	v_sub_u16_e32 v123, v121, v122
	v_sub_u16_sdwa v124, v121, v122 dst_sel:BYTE_1 dst_unused:UNUSED_PAD src0_sel:BYTE_1 src1_sel:BYTE_1
	v_sub_u16_sdwa v120, v120, v122 dst_sel:BYTE_1 dst_unused:UNUSED_PAD src0_sel:DWORD src1_sel:BYTE_3
	v_sub_u16_sdwa v121, v121, v122 dst_sel:DWORD dst_unused:UNUSED_PAD src0_sel:WORD_1 src1_sel:WORD_1
	v_or_b32_sdwa v120, v121, v120 dst_sel:WORD_1 dst_unused:UNUSED_PAD src0_sel:BYTE_0 src1_sel:DWORD
	v_add_u32_e32 v121, s26, v78
	v_add3_u32 v122, s17, v107, v108
	ds_read_b32 v122, v122
	ds_read_u16 v115, v121 offset:25330
	v_or_b32_sdwa v123, v123, v124 dst_sel:DWORD dst_unused:UNUSED_PAD src0_sel:BYTE_0 src1_sel:DWORD
	v_or_b32_sdwa v120, v123, v120 dst_sel:DWORD dst_unused:UNUSED_PAD src0_sel:WORD_0 src1_sel:DWORD
	v_dot4_i32_i8 v114, v119, v3, v114
	v_dot4_i32_i8 v114, v120, v4, v114
	s_waitcnt lgkmcnt(0)
	v_lshrrev_b16_e32 v116, 8, v115
	v_bfe_i32 v115, v115, 0, 8
	v_mul_lo_u32 v113, v113, v115
	v_bfe_i32 v116, v116, 0, 8
	v_add3_u32 v121, s28, v94, v95
	v_add_u32_e32 v110, 4, v110
	v_mad_u64_u32 v[113:114], s[30:31], v114, v116, v[113:114]
	v_mul_f32_e32 v114, v111, v122
	ds_read2_b32 v[115:116], v121 offset1:1
	v_cvt_f32_i32_e32 v113, v113
	v_add_u32_e32 v109, 32, v109
	v_fmac_f32_e32 v13, v114, v113
	v_add_u32_e32 v113, 0x1080, v112
	ds_read2_b32 v[113:114], v113 offset1:1
	s_waitcnt lgkmcnt(1)
	v_ashrrev_i32_e32 v115, s3, v115
	v_lshlrev_b32_e32 v115, 2, v115
	v_and_b32_e32 v115, 0x4040404, v115
	v_ashrrev_i32_e32 v116, s3, v116
	s_waitcnt lgkmcnt(0)
	v_ashrrev_i32_e32 v113, s27, v113
	v_and_b32_e32 v117, 0x3030303, v113
	v_bfe_u32 v113, v113, 24, 2
	v_sub_u16_e32 v118, v117, v115
	v_sub_u16_sdwa v119, v117, v115 dst_sel:BYTE_1 dst_unused:UNUSED_PAD src0_sel:BYTE_1 src1_sel:BYTE_1
	v_sub_u16_sdwa v113, v113, v115 dst_sel:BYTE_1 dst_unused:UNUSED_PAD src0_sel:DWORD src1_sel:BYTE_3
	v_sub_u16_sdwa v115, v117, v115 dst_sel:DWORD dst_unused:UNUSED_PAD src0_sel:WORD_1 src1_sel:WORD_1
	v_ashrrev_i32_e32 v114, s27, v114
	v_lshlrev_b32_e32 v116, 2, v116
	v_or_b32_sdwa v118, v118, v119 dst_sel:DWORD dst_unused:UNUSED_PAD src0_sel:BYTE_0 src1_sel:DWORD
	v_or_b32_sdwa v113, v115, v113 dst_sel:WORD_1 dst_unused:UNUSED_PAD src0_sel:BYTE_0 src1_sel:DWORD
	v_and_b32_e32 v115, 0x3030303, v114
	v_bfe_u32 v114, v114, 24, 2
	v_and_b32_e32 v116, 0x4040404, v116
	v_or_b32_sdwa v113, v118, v113 dst_sel:DWORD dst_unused:UNUSED_PAD src0_sel:WORD_0 src1_sel:DWORD
	v_sub_u16_e32 v117, v115, v116
	v_sub_u16_sdwa v118, v115, v116 dst_sel:BYTE_1 dst_unused:UNUSED_PAD src0_sel:BYTE_1 src1_sel:BYTE_1
	v_sub_u16_sdwa v114, v114, v116 dst_sel:BYTE_1 dst_unused:UNUSED_PAD src0_sel:DWORD src1_sel:BYTE_3
	v_sub_u16_sdwa v115, v115, v116 dst_sel:DWORD dst_unused:UNUSED_PAD src0_sel:WORD_1 src1_sel:WORD_1
	v_or_b32_sdwa v117, v117, v118 dst_sel:DWORD dst_unused:UNUSED_PAD src0_sel:BYTE_0 src1_sel:DWORD
	v_or_b32_sdwa v114, v115, v114 dst_sel:WORD_1 dst_unused:UNUSED_PAD src0_sel:BYTE_0 src1_sel:DWORD
	v_add_u32_e32 v115, 0x1088, v112
	v_or_b32_sdwa v114, v117, v114 dst_sel:DWORD dst_unused:UNUSED_PAD src0_sel:WORD_0 src1_sel:DWORD
	ds_read2_b32 v[115:116], v115 offset1:1
	ds_read2_b32 v[117:118], v121 offset0:2 offset1:3
	v_dot4_i32_i8 v113, v113, v5, 0
	v_dot4_i32_i8 v113, v114, v6, v113
	s_waitcnt lgkmcnt(1)
	v_ashrrev_i32_e32 v115, s27, v115
	s_waitcnt lgkmcnt(0)
	v_ashrrev_i32_e32 v117, s3, v117
	v_lshlrev_b32_e32 v117, 2, v117
	v_and_b32_e32 v119, 0x3030303, v115
	v_bfe_u32 v115, v115, 24, 2
	v_and_b32_e32 v117, 0x4040404, v117
	v_ashrrev_i32_e32 v118, s3, v118
	v_sub_u16_e32 v120, v119, v117
	v_sub_u16_sdwa v122, v119, v117 dst_sel:BYTE_1 dst_unused:UNUSED_PAD src0_sel:BYTE_1 src1_sel:BYTE_1
	v_sub_u16_sdwa v115, v115, v117 dst_sel:BYTE_1 dst_unused:UNUSED_PAD src0_sel:DWORD src1_sel:BYTE_3
	v_sub_u16_sdwa v117, v119, v117 dst_sel:DWORD dst_unused:UNUSED_PAD src0_sel:WORD_1 src1_sel:WORD_1
	v_ashrrev_i32_e32 v116, s27, v116
	v_lshlrev_b32_e32 v118, 2, v118
	v_or_b32_sdwa v120, v120, v122 dst_sel:DWORD dst_unused:UNUSED_PAD src0_sel:BYTE_0 src1_sel:DWORD
	v_or_b32_sdwa v115, v117, v115 dst_sel:WORD_1 dst_unused:UNUSED_PAD src0_sel:BYTE_0 src1_sel:DWORD
	v_and_b32_e32 v117, 0x3030303, v116
	v_bfe_u32 v116, v116, 24, 2
	v_and_b32_e32 v118, 0x4040404, v118
	v_or_b32_sdwa v115, v120, v115 dst_sel:DWORD dst_unused:UNUSED_PAD src0_sel:WORD_0 src1_sel:DWORD
	v_sub_u16_e32 v119, v117, v118
	v_sub_u16_sdwa v120, v117, v118 dst_sel:BYTE_1 dst_unused:UNUSED_PAD src0_sel:BYTE_1 src1_sel:BYTE_1
	v_sub_u16_sdwa v116, v116, v118 dst_sel:BYTE_1 dst_unused:UNUSED_PAD src0_sel:DWORD src1_sel:BYTE_3
	v_sub_u16_sdwa v117, v117, v118 dst_sel:DWORD dst_unused:UNUSED_PAD src0_sel:WORD_1 src1_sel:WORD_1
	v_or_b32_sdwa v119, v119, v120 dst_sel:DWORD dst_unused:UNUSED_PAD src0_sel:BYTE_0 src1_sel:DWORD
	v_or_b32_sdwa v116, v117, v116 dst_sel:WORD_1 dst_unused:UNUSED_PAD src0_sel:BYTE_0 src1_sel:DWORD
	v_add_u32_e32 v117, 0x1090, v112
	v_or_b32_sdwa v116, v119, v116 dst_sel:DWORD dst_unused:UNUSED_PAD src0_sel:WORD_0 src1_sel:DWORD
	ds_read2_b32 v[117:118], v117 offset1:1
	ds_read2_b32 v[119:120], v121 offset0:4 offset1:5
	v_dot4_i32_i8 v113, v115, v7, v113
	v_dot4_i32_i8 v113, v116, v8, v113
	s_waitcnt lgkmcnt(1)
	v_ashrrev_i32_e32 v117, s27, v117
	s_waitcnt lgkmcnt(0)
	v_ashrrev_i32_e32 v119, s3, v119
	v_lshlrev_b32_e32 v119, 2, v119
	v_and_b32_e32 v122, 0x3030303, v117
	v_bfe_u32 v117, v117, 24, 2
	v_and_b32_e32 v119, 0x4040404, v119
	v_ashrrev_i32_e32 v120, s3, v120
	;; [unrolled: 33-line block ×3, first 2 shown]
	v_sub_u16_e32 v124, v123, v121
	v_sub_u16_sdwa v125, v123, v121 dst_sel:BYTE_1 dst_unused:UNUSED_PAD src0_sel:BYTE_1 src1_sel:BYTE_1
	v_sub_u16_sdwa v119, v119, v121 dst_sel:BYTE_1 dst_unused:UNUSED_PAD src0_sel:DWORD src1_sel:BYTE_3
	v_sub_u16_sdwa v121, v123, v121 dst_sel:DWORD dst_unused:UNUSED_PAD src0_sel:WORD_1 src1_sel:WORD_1
	v_ashrrev_i32_e32 v120, s27, v120
	v_lshlrev_b32_e32 v122, 2, v122
	v_or_b32_sdwa v124, v124, v125 dst_sel:DWORD dst_unused:UNUSED_PAD src0_sel:BYTE_0 src1_sel:DWORD
	v_or_b32_sdwa v119, v121, v119 dst_sel:WORD_1 dst_unused:UNUSED_PAD src0_sel:BYTE_0 src1_sel:DWORD
	v_and_b32_e32 v121, 0x3030303, v120
	v_bfe_u32 v120, v120, 24, 2
	v_and_b32_e32 v122, 0x4040404, v122
	v_or_b32_sdwa v119, v124, v119 dst_sel:DWORD dst_unused:UNUSED_PAD src0_sel:WORD_0 src1_sel:DWORD
	v_sub_u16_e32 v123, v121, v122
	v_sub_u16_sdwa v124, v121, v122 dst_sel:BYTE_1 dst_unused:UNUSED_PAD src0_sel:BYTE_1 src1_sel:BYTE_1
	v_sub_u16_sdwa v120, v120, v122 dst_sel:BYTE_1 dst_unused:UNUSED_PAD src0_sel:DWORD src1_sel:BYTE_3
	v_sub_u16_sdwa v121, v121, v122 dst_sel:DWORD dst_unused:UNUSED_PAD src0_sel:WORD_1 src1_sel:WORD_1
	v_or_b32_sdwa v120, v121, v120 dst_sel:WORD_1 dst_unused:UNUSED_PAD src0_sel:BYTE_0 src1_sel:DWORD
	v_add_u32_e32 v121, s26, v76
	v_add3_u32 v122, s17, v96, v97
	ds_read_b32 v122, v122
	ds_read_u16 v115, v121 offset:26354
	v_or_b32_sdwa v123, v123, v124 dst_sel:DWORD dst_unused:UNUSED_PAD src0_sel:BYTE_0 src1_sel:DWORD
	v_or_b32_sdwa v120, v123, v120 dst_sel:DWORD dst_unused:UNUSED_PAD src0_sel:WORD_0 src1_sel:DWORD
	v_dot4_i32_i8 v114, v119, v3, v114
	v_dot4_i32_i8 v114, v120, v4, v114
	s_waitcnt lgkmcnt(0)
	v_lshrrev_b16_e32 v116, 8, v115
	v_bfe_i32 v115, v115, 0, 8
	v_mul_lo_u32 v113, v113, v115
	v_bfe_i32 v116, v116, 0, 8
	v_add3_u32 v121, s28, v98, v99
	v_mad_u64_u32 v[113:114], s[30:31], v114, v116, v[113:114]
	v_mul_f32_e32 v114, v111, v122
	ds_read2_b32 v[115:116], v121 offset1:1
	v_cvt_f32_i32_e32 v113, v113
	v_fmac_f32_e32 v68, v114, v113
	v_add_u32_e32 v113, 0x2100, v112
	ds_read2_b32 v[113:114], v113 offset1:1
	s_waitcnt lgkmcnt(1)
	v_ashrrev_i32_e32 v115, s3, v115
	v_lshlrev_b32_e32 v115, 2, v115
	v_and_b32_e32 v115, 0x4040404, v115
	v_ashrrev_i32_e32 v116, s3, v116
	s_waitcnt lgkmcnt(0)
	v_ashrrev_i32_e32 v113, s27, v113
	v_and_b32_e32 v117, 0x3030303, v113
	v_bfe_u32 v113, v113, 24, 2
	v_sub_u16_e32 v118, v117, v115
	v_sub_u16_sdwa v119, v117, v115 dst_sel:BYTE_1 dst_unused:UNUSED_PAD src0_sel:BYTE_1 src1_sel:BYTE_1
	v_sub_u16_sdwa v113, v113, v115 dst_sel:BYTE_1 dst_unused:UNUSED_PAD src0_sel:DWORD src1_sel:BYTE_3
	v_sub_u16_sdwa v115, v117, v115 dst_sel:DWORD dst_unused:UNUSED_PAD src0_sel:WORD_1 src1_sel:WORD_1
	v_ashrrev_i32_e32 v114, s27, v114
	v_lshlrev_b32_e32 v116, 2, v116
	v_or_b32_sdwa v118, v118, v119 dst_sel:DWORD dst_unused:UNUSED_PAD src0_sel:BYTE_0 src1_sel:DWORD
	v_or_b32_sdwa v113, v115, v113 dst_sel:WORD_1 dst_unused:UNUSED_PAD src0_sel:BYTE_0 src1_sel:DWORD
	v_and_b32_e32 v115, 0x3030303, v114
	v_bfe_u32 v114, v114, 24, 2
	v_and_b32_e32 v116, 0x4040404, v116
	v_or_b32_sdwa v113, v118, v113 dst_sel:DWORD dst_unused:UNUSED_PAD src0_sel:WORD_0 src1_sel:DWORD
	v_sub_u16_e32 v117, v115, v116
	v_sub_u16_sdwa v118, v115, v116 dst_sel:BYTE_1 dst_unused:UNUSED_PAD src0_sel:BYTE_1 src1_sel:BYTE_1
	v_sub_u16_sdwa v114, v114, v116 dst_sel:BYTE_1 dst_unused:UNUSED_PAD src0_sel:DWORD src1_sel:BYTE_3
	v_sub_u16_sdwa v115, v115, v116 dst_sel:DWORD dst_unused:UNUSED_PAD src0_sel:WORD_1 src1_sel:WORD_1
	v_or_b32_sdwa v117, v117, v118 dst_sel:DWORD dst_unused:UNUSED_PAD src0_sel:BYTE_0 src1_sel:DWORD
	v_or_b32_sdwa v114, v115, v114 dst_sel:WORD_1 dst_unused:UNUSED_PAD src0_sel:BYTE_0 src1_sel:DWORD
	v_add_u32_e32 v115, 0x2108, v112
	v_or_b32_sdwa v114, v117, v114 dst_sel:DWORD dst_unused:UNUSED_PAD src0_sel:WORD_0 src1_sel:DWORD
	ds_read2_b32 v[115:116], v115 offset1:1
	ds_read2_b32 v[117:118], v121 offset0:2 offset1:3
	v_dot4_i32_i8 v113, v113, v5, 0
	v_dot4_i32_i8 v113, v114, v6, v113
	s_waitcnt lgkmcnt(1)
	v_ashrrev_i32_e32 v115, s27, v115
	s_waitcnt lgkmcnt(0)
	v_ashrrev_i32_e32 v117, s3, v117
	v_lshlrev_b32_e32 v117, 2, v117
	v_and_b32_e32 v119, 0x3030303, v115
	v_bfe_u32 v115, v115, 24, 2
	v_and_b32_e32 v117, 0x4040404, v117
	v_ashrrev_i32_e32 v118, s3, v118
	v_sub_u16_e32 v120, v119, v117
	v_sub_u16_sdwa v122, v119, v117 dst_sel:BYTE_1 dst_unused:UNUSED_PAD src0_sel:BYTE_1 src1_sel:BYTE_1
	v_sub_u16_sdwa v115, v115, v117 dst_sel:BYTE_1 dst_unused:UNUSED_PAD src0_sel:DWORD src1_sel:BYTE_3
	v_sub_u16_sdwa v117, v119, v117 dst_sel:DWORD dst_unused:UNUSED_PAD src0_sel:WORD_1 src1_sel:WORD_1
	v_ashrrev_i32_e32 v116, s27, v116
	v_lshlrev_b32_e32 v118, 2, v118
	v_or_b32_sdwa v120, v120, v122 dst_sel:DWORD dst_unused:UNUSED_PAD src0_sel:BYTE_0 src1_sel:DWORD
	v_or_b32_sdwa v115, v117, v115 dst_sel:WORD_1 dst_unused:UNUSED_PAD src0_sel:BYTE_0 src1_sel:DWORD
	v_and_b32_e32 v117, 0x3030303, v116
	v_bfe_u32 v116, v116, 24, 2
	v_and_b32_e32 v118, 0x4040404, v118
	v_or_b32_sdwa v115, v120, v115 dst_sel:DWORD dst_unused:UNUSED_PAD src0_sel:WORD_0 src1_sel:DWORD
	v_sub_u16_e32 v119, v117, v118
	v_sub_u16_sdwa v120, v117, v118 dst_sel:BYTE_1 dst_unused:UNUSED_PAD src0_sel:BYTE_1 src1_sel:BYTE_1
	v_sub_u16_sdwa v116, v116, v118 dst_sel:BYTE_1 dst_unused:UNUSED_PAD src0_sel:DWORD src1_sel:BYTE_3
	v_sub_u16_sdwa v117, v117, v118 dst_sel:DWORD dst_unused:UNUSED_PAD src0_sel:WORD_1 src1_sel:WORD_1
	v_or_b32_sdwa v119, v119, v120 dst_sel:DWORD dst_unused:UNUSED_PAD src0_sel:BYTE_0 src1_sel:DWORD
	v_or_b32_sdwa v116, v117, v116 dst_sel:WORD_1 dst_unused:UNUSED_PAD src0_sel:BYTE_0 src1_sel:DWORD
	v_add_u32_e32 v117, 0x2110, v112
	v_or_b32_sdwa v116, v119, v116 dst_sel:DWORD dst_unused:UNUSED_PAD src0_sel:WORD_0 src1_sel:DWORD
	ds_read2_b32 v[117:118], v117 offset1:1
	ds_read2_b32 v[119:120], v121 offset0:4 offset1:5
	v_dot4_i32_i8 v113, v115, v7, v113
	v_dot4_i32_i8 v113, v116, v8, v113
	s_waitcnt lgkmcnt(1)
	v_ashrrev_i32_e32 v117, s27, v117
	s_waitcnt lgkmcnt(0)
	v_ashrrev_i32_e32 v119, s3, v119
	v_lshlrev_b32_e32 v119, 2, v119
	v_and_b32_e32 v122, 0x3030303, v117
	v_bfe_u32 v117, v117, 24, 2
	v_and_b32_e32 v119, 0x4040404, v119
	v_ashrrev_i32_e32 v120, s3, v120
	;; [unrolled: 33-line block ×3, first 2 shown]
	v_sub_u16_e32 v124, v123, v121
	v_sub_u16_sdwa v125, v123, v121 dst_sel:BYTE_1 dst_unused:UNUSED_PAD src0_sel:BYTE_1 src1_sel:BYTE_1
	v_sub_u16_sdwa v119, v119, v121 dst_sel:BYTE_1 dst_unused:UNUSED_PAD src0_sel:DWORD src1_sel:BYTE_3
	v_sub_u16_sdwa v121, v123, v121 dst_sel:DWORD dst_unused:UNUSED_PAD src0_sel:WORD_1 src1_sel:WORD_1
	v_ashrrev_i32_e32 v120, s27, v120
	v_lshlrev_b32_e32 v122, 2, v122
	v_or_b32_sdwa v124, v124, v125 dst_sel:DWORD dst_unused:UNUSED_PAD src0_sel:BYTE_0 src1_sel:DWORD
	v_or_b32_sdwa v119, v121, v119 dst_sel:WORD_1 dst_unused:UNUSED_PAD src0_sel:BYTE_0 src1_sel:DWORD
	v_and_b32_e32 v121, 0x3030303, v120
	v_bfe_u32 v120, v120, 24, 2
	v_and_b32_e32 v122, 0x4040404, v122
	v_or_b32_sdwa v119, v124, v119 dst_sel:DWORD dst_unused:UNUSED_PAD src0_sel:WORD_0 src1_sel:DWORD
	v_sub_u16_e32 v123, v121, v122
	v_sub_u16_sdwa v124, v121, v122 dst_sel:BYTE_1 dst_unused:UNUSED_PAD src0_sel:BYTE_1 src1_sel:BYTE_1
	v_sub_u16_sdwa v120, v120, v122 dst_sel:BYTE_1 dst_unused:UNUSED_PAD src0_sel:DWORD src1_sel:BYTE_3
	v_sub_u16_sdwa v121, v121, v122 dst_sel:DWORD dst_unused:UNUSED_PAD src0_sel:WORD_1 src1_sel:WORD_1
	v_or_b32_sdwa v120, v121, v120 dst_sel:WORD_1 dst_unused:UNUSED_PAD src0_sel:BYTE_0 src1_sel:DWORD
	v_add_u32_e32 v121, s26, v74
	v_add3_u32 v122, s17, v100, v101
	ds_read_b32 v122, v122
	ds_read_u16 v115, v121 offset:27378
	v_or_b32_sdwa v123, v123, v124 dst_sel:DWORD dst_unused:UNUSED_PAD src0_sel:BYTE_0 src1_sel:DWORD
	v_or_b32_sdwa v120, v123, v120 dst_sel:DWORD dst_unused:UNUSED_PAD src0_sel:WORD_0 src1_sel:DWORD
	v_dot4_i32_i8 v114, v119, v3, v114
	v_dot4_i32_i8 v114, v120, v4, v114
	s_waitcnt lgkmcnt(0)
	v_lshrrev_b16_e32 v116, 8, v115
	v_bfe_i32 v115, v115, 0, 8
	v_mul_lo_u32 v113, v113, v115
	v_bfe_i32 v116, v116, 0, 8
	v_add3_u32 v121, s28, v102, v103
	v_mad_u64_u32 v[113:114], s[30:31], v114, v116, v[113:114]
	v_mul_f32_e32 v114, v111, v122
	ds_read2_b32 v[115:116], v121 offset1:1
	v_cvt_f32_i32_e32 v113, v113
	v_fmac_f32_e32 v64, v114, v113
	v_add_u32_e32 v113, 0x3180, v112
	ds_read2_b32 v[113:114], v113 offset1:1
	s_waitcnt lgkmcnt(1)
	v_ashrrev_i32_e32 v115, s3, v115
	v_lshlrev_b32_e32 v115, 2, v115
	v_and_b32_e32 v115, 0x4040404, v115
	v_ashrrev_i32_e32 v116, s3, v116
	s_waitcnt lgkmcnt(0)
	v_ashrrev_i32_e32 v113, s27, v113
	v_and_b32_e32 v117, 0x3030303, v113
	v_bfe_u32 v113, v113, 24, 2
	v_sub_u16_e32 v118, v117, v115
	v_sub_u16_sdwa v119, v117, v115 dst_sel:BYTE_1 dst_unused:UNUSED_PAD src0_sel:BYTE_1 src1_sel:BYTE_1
	v_sub_u16_sdwa v113, v113, v115 dst_sel:BYTE_1 dst_unused:UNUSED_PAD src0_sel:DWORD src1_sel:BYTE_3
	v_sub_u16_sdwa v115, v117, v115 dst_sel:DWORD dst_unused:UNUSED_PAD src0_sel:WORD_1 src1_sel:WORD_1
	v_ashrrev_i32_e32 v114, s27, v114
	v_lshlrev_b32_e32 v116, 2, v116
	v_or_b32_sdwa v118, v118, v119 dst_sel:DWORD dst_unused:UNUSED_PAD src0_sel:BYTE_0 src1_sel:DWORD
	v_or_b32_sdwa v113, v115, v113 dst_sel:WORD_1 dst_unused:UNUSED_PAD src0_sel:BYTE_0 src1_sel:DWORD
	v_and_b32_e32 v115, 0x3030303, v114
	v_bfe_u32 v114, v114, 24, 2
	v_and_b32_e32 v116, 0x4040404, v116
	v_or_b32_sdwa v113, v118, v113 dst_sel:DWORD dst_unused:UNUSED_PAD src0_sel:WORD_0 src1_sel:DWORD
	v_sub_u16_e32 v117, v115, v116
	v_sub_u16_sdwa v118, v115, v116 dst_sel:BYTE_1 dst_unused:UNUSED_PAD src0_sel:BYTE_1 src1_sel:BYTE_1
	v_sub_u16_sdwa v114, v114, v116 dst_sel:BYTE_1 dst_unused:UNUSED_PAD src0_sel:DWORD src1_sel:BYTE_3
	v_sub_u16_sdwa v115, v115, v116 dst_sel:DWORD dst_unused:UNUSED_PAD src0_sel:WORD_1 src1_sel:WORD_1
	v_or_b32_sdwa v117, v117, v118 dst_sel:DWORD dst_unused:UNUSED_PAD src0_sel:BYTE_0 src1_sel:DWORD
	v_or_b32_sdwa v114, v115, v114 dst_sel:WORD_1 dst_unused:UNUSED_PAD src0_sel:BYTE_0 src1_sel:DWORD
	v_add_u32_e32 v115, 0x3188, v112
	v_or_b32_sdwa v114, v117, v114 dst_sel:DWORD dst_unused:UNUSED_PAD src0_sel:WORD_0 src1_sel:DWORD
	ds_read2_b32 v[115:116], v115 offset1:1
	ds_read2_b32 v[117:118], v121 offset0:2 offset1:3
	v_dot4_i32_i8 v5, v113, v5, 0
	v_dot4_i32_i8 v5, v114, v6, v5
	s_waitcnt lgkmcnt(1)
	v_ashrrev_i32_e32 v115, s27, v115
	s_waitcnt lgkmcnt(0)
	v_ashrrev_i32_e32 v117, s3, v117
	v_lshlrev_b32_e32 v117, 2, v117
	v_and_b32_e32 v119, 0x3030303, v115
	v_bfe_u32 v115, v115, 24, 2
	v_and_b32_e32 v117, 0x4040404, v117
	v_ashrrev_i32_e32 v118, s3, v118
	v_sub_u16_e32 v120, v119, v117
	v_sub_u16_sdwa v122, v119, v117 dst_sel:BYTE_1 dst_unused:UNUSED_PAD src0_sel:BYTE_1 src1_sel:BYTE_1
	v_sub_u16_sdwa v115, v115, v117 dst_sel:BYTE_1 dst_unused:UNUSED_PAD src0_sel:DWORD src1_sel:BYTE_3
	v_sub_u16_sdwa v117, v119, v117 dst_sel:DWORD dst_unused:UNUSED_PAD src0_sel:WORD_1 src1_sel:WORD_1
	v_ashrrev_i32_e32 v116, s27, v116
	v_lshlrev_b32_e32 v118, 2, v118
	v_or_b32_sdwa v120, v120, v122 dst_sel:DWORD dst_unused:UNUSED_PAD src0_sel:BYTE_0 src1_sel:DWORD
	v_or_b32_sdwa v115, v117, v115 dst_sel:WORD_1 dst_unused:UNUSED_PAD src0_sel:BYTE_0 src1_sel:DWORD
	v_and_b32_e32 v117, 0x3030303, v116
	v_bfe_u32 v116, v116, 24, 2
	v_and_b32_e32 v118, 0x4040404, v118
	v_or_b32_sdwa v115, v120, v115 dst_sel:DWORD dst_unused:UNUSED_PAD src0_sel:WORD_0 src1_sel:DWORD
	v_sub_u16_e32 v119, v117, v118
	v_sub_u16_sdwa v120, v117, v118 dst_sel:BYTE_1 dst_unused:UNUSED_PAD src0_sel:BYTE_1 src1_sel:BYTE_1
	v_sub_u16_sdwa v116, v116, v118 dst_sel:BYTE_1 dst_unused:UNUSED_PAD src0_sel:DWORD src1_sel:BYTE_3
	v_sub_u16_sdwa v117, v117, v118 dst_sel:DWORD dst_unused:UNUSED_PAD src0_sel:WORD_1 src1_sel:WORD_1
	v_or_b32_sdwa v119, v119, v120 dst_sel:DWORD dst_unused:UNUSED_PAD src0_sel:BYTE_0 src1_sel:DWORD
	v_or_b32_sdwa v116, v117, v116 dst_sel:WORD_1 dst_unused:UNUSED_PAD src0_sel:BYTE_0 src1_sel:DWORD
	v_add_u32_e32 v117, 0x3190, v112
	v_or_b32_sdwa v116, v119, v116 dst_sel:DWORD dst_unused:UNUSED_PAD src0_sel:WORD_0 src1_sel:DWORD
	ds_read2_b32 v[117:118], v117 offset1:1
	ds_read2_b32 v[119:120], v121 offset0:4 offset1:5
	v_add_u32_e32 v112, 0x3198, v112
	v_dot4_i32_i8 v5, v115, v7, v5
	v_dot4_i32_i8 v5, v116, v8, v5
	s_waitcnt lgkmcnt(1)
	v_ashrrev_i32_e32 v117, s27, v117
	s_waitcnt lgkmcnt(0)
	v_ashrrev_i32_e32 v119, s3, v119
	v_lshlrev_b32_e32 v119, 2, v119
	v_and_b32_e32 v122, 0x3030303, v117
	v_bfe_u32 v117, v117, 24, 2
	v_and_b32_e32 v119, 0x4040404, v119
	v_ashrrev_i32_e32 v120, s3, v120
	v_sub_u16_e32 v123, v122, v119
	v_sub_u16_sdwa v124, v122, v119 dst_sel:BYTE_1 dst_unused:UNUSED_PAD src0_sel:BYTE_1 src1_sel:BYTE_1
	v_sub_u16_sdwa v117, v117, v119 dst_sel:BYTE_1 dst_unused:UNUSED_PAD src0_sel:DWORD src1_sel:BYTE_3
	v_sub_u16_sdwa v119, v122, v119 dst_sel:DWORD dst_unused:UNUSED_PAD src0_sel:WORD_1 src1_sel:WORD_1
	v_ashrrev_i32_e32 v118, s27, v118
	v_lshlrev_b32_e32 v120, 2, v120
	v_or_b32_sdwa v123, v123, v124 dst_sel:DWORD dst_unused:UNUSED_PAD src0_sel:BYTE_0 src1_sel:DWORD
	v_or_b32_sdwa v117, v119, v117 dst_sel:WORD_1 dst_unused:UNUSED_PAD src0_sel:BYTE_0 src1_sel:DWORD
	v_and_b32_e32 v119, 0x3030303, v118
	v_bfe_u32 v118, v118, 24, 2
	v_and_b32_e32 v120, 0x4040404, v120
	v_or_b32_sdwa v117, v123, v117 dst_sel:DWORD dst_unused:UNUSED_PAD src0_sel:WORD_0 src1_sel:DWORD
	v_sub_u16_e32 v122, v119, v120
	v_sub_u16_sdwa v123, v119, v120 dst_sel:BYTE_1 dst_unused:UNUSED_PAD src0_sel:BYTE_1 src1_sel:BYTE_1
	v_sub_u16_sdwa v118, v118, v120 dst_sel:BYTE_1 dst_unused:UNUSED_PAD src0_sel:DWORD src1_sel:BYTE_3
	v_sub_u16_sdwa v119, v119, v120 dst_sel:DWORD dst_unused:UNUSED_PAD src0_sel:WORD_1 src1_sel:WORD_1
	v_or_b32_sdwa v122, v122, v123 dst_sel:DWORD dst_unused:UNUSED_PAD src0_sel:BYTE_0 src1_sel:DWORD
	v_or_b32_sdwa v118, v119, v118 dst_sel:WORD_1 dst_unused:UNUSED_PAD src0_sel:BYTE_0 src1_sel:DWORD
	v_or_b32_sdwa v118, v122, v118 dst_sel:DWORD dst_unused:UNUSED_PAD src0_sel:WORD_0 src1_sel:DWORD
	ds_read2_b32 v[119:120], v112 offset1:1
	ds_read2_b32 v[121:122], v121 offset0:6 offset1:7
	v_dot4_i32_i8 v1, v117, v1, 0
	v_dot4_i32_i8 v1, v118, v2, v1
	s_waitcnt lgkmcnt(1)
	v_ashrrev_i32_e32 v112, s27, v119
	s_waitcnt lgkmcnt(0)
	v_ashrrev_i32_e32 v121, s3, v121
	v_lshlrev_b32_e32 v121, 2, v121
	v_and_b32_e32 v119, 0x3030303, v112
	v_bfe_u32 v112, v112, 24, 2
	v_and_b32_e32 v121, 0x4040404, v121
	v_sub_u16_e32 v123, v119, v121
	v_sub_u16_sdwa v124, v119, v121 dst_sel:BYTE_1 dst_unused:UNUSED_PAD src0_sel:BYTE_1 src1_sel:BYTE_1
	v_sub_u16_sdwa v112, v112, v121 dst_sel:BYTE_1 dst_unused:UNUSED_PAD src0_sel:DWORD src1_sel:BYTE_3
	v_sub_u16_sdwa v119, v119, v121 dst_sel:DWORD dst_unused:UNUSED_PAD src0_sel:WORD_1 src1_sel:WORD_1
	v_ashrrev_i32_e32 v121, s3, v122
	v_or_b32_sdwa v112, v119, v112 dst_sel:WORD_1 dst_unused:UNUSED_PAD src0_sel:BYTE_0 src1_sel:DWORD
	v_ashrrev_i32_e32 v119, s27, v120
	v_lshlrev_b32_e32 v121, 2, v121
	v_or_b32_sdwa v123, v123, v124 dst_sel:DWORD dst_unused:UNUSED_PAD src0_sel:BYTE_0 src1_sel:DWORD
	v_and_b32_e32 v120, 0x3030303, v119
	v_bfe_u32 v119, v119, 24, 2
	v_and_b32_e32 v121, 0x4040404, v121
	v_or_b32_sdwa v112, v123, v112 dst_sel:DWORD dst_unused:UNUSED_PAD src0_sel:WORD_0 src1_sel:DWORD
	v_sub_u16_e32 v122, v120, v121
	v_sub_u16_sdwa v123, v120, v121 dst_sel:BYTE_1 dst_unused:UNUSED_PAD src0_sel:BYTE_1 src1_sel:BYTE_1
	v_sub_u16_sdwa v119, v119, v121 dst_sel:BYTE_1 dst_unused:UNUSED_PAD src0_sel:DWORD src1_sel:BYTE_3
	v_sub_u16_sdwa v120, v120, v121 dst_sel:DWORD dst_unused:UNUSED_PAD src0_sel:WORD_1 src1_sel:WORD_1
	v_or_b32_sdwa v122, v122, v123 dst_sel:DWORD dst_unused:UNUSED_PAD src0_sel:BYTE_0 src1_sel:DWORD
	v_or_b32_sdwa v119, v120, v119 dst_sel:WORD_1 dst_unused:UNUSED_PAD src0_sel:BYTE_0 src1_sel:DWORD
	v_or_b32_sdwa v119, v122, v119 dst_sel:DWORD dst_unused:UNUSED_PAD src0_sel:WORD_0 src1_sel:DWORD
	v_add_u32_e32 v121, s26, v72
	v_add3_u32 v120, s17, v104, v105
	v_dot4_i32_i8 v1, v112, v3, v1
	ds_read_b32 v120, v120
	v_dot4_i32_i8 v2, v119, v4, v1
	ds_read_u16 v1, v121 offset:28402
	s_add_i32 s3, s3, 1
	s_cmp_lt_u32 s16, 30
	s_mov_b32 s17, s16
	s_waitcnt lgkmcnt(0)
	v_lshrrev_b16_e32 v3, 8, v1
	v_bfe_i32 v1, v1, 0, 8
	v_mul_lo_u32 v1, v5, v1
	v_bfe_i32 v3, v3, 0, 8
	v_mad_u64_u32 v[1:2], s[26:27], v2, v3, v[1:2]
	v_mul_f32_e32 v2, v111, v120
	v_cvt_f32_i32_e32 v1, v1
	v_fmac_f32_e32 v9, v2, v1
	s_cbranch_scc1 .LBB189_35
; %bb.36:                               ;   in Loop: Header=BB189_5 Depth=1
	s_barrier
	s_branch .LBB189_4
.LBB189_37:
	s_mul_i32 s0, s11, s8
	s_waitcnt vmcnt(0)
	v_cmp_gt_i32_e32 vcc, s0, v12
	s_and_saveexec_b64 s[0:1], vcc
	s_cbranch_execz .LBB189_46
; %bb.38:
	v_mul_lo_u32 v1, v12, s10
	v_add_u32_e32 v0, s18, v0
	v_cmp_gt_u32_e32 vcc, s10, v0
	s_and_saveexec_b64 s[0:1], vcc
	s_cbranch_execz .LBB189_40
; %bb.39:
	v_add_u32_e32 v2, v1, v0
	v_mov_b32_e32 v3, 0
	v_lshlrev_b64 v[2:3], 2, v[2:3]
	v_mov_b32_e32 v4, s13
	v_add_co_u32_e32 v2, vcc, s12, v2
	v_addc_co_u32_e32 v3, vcc, v4, v3, vcc
	global_store_dword v[2:3], v13, off
.LBB189_40:
	s_or_b64 exec, exec, s[0:1]
	v_add_u32_e32 v2, 32, v0
	v_cmp_gt_u32_e32 vcc, s10, v2
	s_and_saveexec_b64 s[0:1], vcc
	s_cbranch_execz .LBB189_42
; %bb.41:
	v_add_u32_e32 v2, v1, v2
	v_mov_b32_e32 v3, 0
	v_lshlrev_b64 v[2:3], 2, v[2:3]
	v_mov_b32_e32 v4, s13
	v_add_co_u32_e32 v2, vcc, s12, v2
	v_addc_co_u32_e32 v3, vcc, v4, v3, vcc
	global_store_dword v[2:3], v68, off
.LBB189_42:
	s_or_b64 exec, exec, s[0:1]
	;; [unrolled: 14-line block ×3, first 2 shown]
	v_add_u32_e32 v0, 0x60, v0
	v_cmp_gt_u32_e32 vcc, s10, v0
	s_and_b64 exec, exec, vcc
	s_cbranch_execz .LBB189_46
; %bb.45:
	v_add_u32_e32 v0, v1, v0
	v_mov_b32_e32 v1, 0
	v_lshlrev_b64 v[0:1], 2, v[0:1]
	v_mov_b32_e32 v2, s13
	v_add_co_u32_e32 v0, vcc, s12, v0
	v_addc_co_u32_e32 v1, vcc, v2, v1, vcc
	global_store_dword v[0:1], v9, off
.LBB189_46:
	s_endpgm
	.section	.rodata,"a",@progbits
	.p2align	6, 0x0
	.amdhsa_kernel _ZL8moe_q3_KIfLb0EEvPKvS1_PT_PKiS5_S5_iiiiiii
		.amdhsa_group_segment_fixed_size 31776
		.amdhsa_private_segment_fixed_size 0
		.amdhsa_kernarg_size 76
		.amdhsa_user_sgpr_count 6
		.amdhsa_user_sgpr_private_segment_buffer 1
		.amdhsa_user_sgpr_dispatch_ptr 0
		.amdhsa_user_sgpr_queue_ptr 0
		.amdhsa_user_sgpr_kernarg_segment_ptr 1
		.amdhsa_user_sgpr_dispatch_id 0
		.amdhsa_user_sgpr_flat_scratch_init 0
		.amdhsa_user_sgpr_private_segment_size 0
		.amdhsa_uses_dynamic_stack 0
		.amdhsa_system_sgpr_private_segment_wavefront_offset 0
		.amdhsa_system_sgpr_workgroup_id_x 1
		.amdhsa_system_sgpr_workgroup_id_y 1
		.amdhsa_system_sgpr_workgroup_id_z 0
		.amdhsa_system_sgpr_workgroup_info 0
		.amdhsa_system_vgpr_workitem_id 1
		.amdhsa_next_free_vgpr 127
		.amdhsa_next_free_sgpr 98
		.amdhsa_reserve_vcc 1
		.amdhsa_reserve_flat_scratch 0
		.amdhsa_float_round_mode_32 0
		.amdhsa_float_round_mode_16_64 0
		.amdhsa_float_denorm_mode_32 3
		.amdhsa_float_denorm_mode_16_64 3
		.amdhsa_dx10_clamp 1
		.amdhsa_ieee_mode 1
		.amdhsa_fp16_overflow 0
		.amdhsa_exception_fp_ieee_invalid_op 0
		.amdhsa_exception_fp_denorm_src 0
		.amdhsa_exception_fp_ieee_div_zero 0
		.amdhsa_exception_fp_ieee_overflow 0
		.amdhsa_exception_fp_ieee_underflow 0
		.amdhsa_exception_fp_ieee_inexact 0
		.amdhsa_exception_int_div_zero 0
	.end_amdhsa_kernel
	.section	.text._ZL8moe_q3_KIfLb0EEvPKvS1_PT_PKiS5_S5_iiiiiii,"axG",@progbits,_ZL8moe_q3_KIfLb0EEvPKvS1_PT_PKiS5_S5_iiiiiii,comdat
.Lfunc_end189:
	.size	_ZL8moe_q3_KIfLb0EEvPKvS1_PT_PKiS5_S5_iiiiiii, .Lfunc_end189-_ZL8moe_q3_KIfLb0EEvPKvS1_PT_PKiS5_S5_iiiiiii
                                        ; -- End function
	.set _ZL8moe_q3_KIfLb0EEvPKvS1_PT_PKiS5_S5_iiiiiii.num_vgpr, 127
	.set _ZL8moe_q3_KIfLb0EEvPKvS1_PT_PKiS5_S5_iiiiiii.num_agpr, 0
	.set _ZL8moe_q3_KIfLb0EEvPKvS1_PT_PKiS5_S5_iiiiiii.numbered_sgpr, 36
	.set _ZL8moe_q3_KIfLb0EEvPKvS1_PT_PKiS5_S5_iiiiiii.num_named_barrier, 0
	.set _ZL8moe_q3_KIfLb0EEvPKvS1_PT_PKiS5_S5_iiiiiii.private_seg_size, 0
	.set _ZL8moe_q3_KIfLb0EEvPKvS1_PT_PKiS5_S5_iiiiiii.uses_vcc, 1
	.set _ZL8moe_q3_KIfLb0EEvPKvS1_PT_PKiS5_S5_iiiiiii.uses_flat_scratch, 0
	.set _ZL8moe_q3_KIfLb0EEvPKvS1_PT_PKiS5_S5_iiiiiii.has_dyn_sized_stack, 0
	.set _ZL8moe_q3_KIfLb0EEvPKvS1_PT_PKiS5_S5_iiiiiii.has_recursion, 0
	.set _ZL8moe_q3_KIfLb0EEvPKvS1_PT_PKiS5_S5_iiiiiii.has_indirect_call, 0
	.section	.AMDGPU.csdata,"",@progbits
; Kernel info:
; codeLenInByte = 20448
; TotalNumSgprs: 40
; NumVgprs: 127
; ScratchSize: 0
; MemoryBound: 0
; FloatMode: 240
; IeeeMode: 1
; LDSByteSize: 31776 bytes/workgroup (compile time only)
; SGPRBlocks: 12
; VGPRBlocks: 31
; NumSGPRsForWavesPerEU: 102
; NumVGPRsForWavesPerEU: 127
; Occupancy: 2
; WaveLimiterHint : 1
; COMPUTE_PGM_RSRC2:SCRATCH_EN: 0
; COMPUTE_PGM_RSRC2:USER_SGPR: 6
; COMPUTE_PGM_RSRC2:TRAP_HANDLER: 0
; COMPUTE_PGM_RSRC2:TGID_X_EN: 1
; COMPUTE_PGM_RSRC2:TGID_Y_EN: 1
; COMPUTE_PGM_RSRC2:TGID_Z_EN: 0
; COMPUTE_PGM_RSRC2:TIDIG_COMP_CNT: 1
	.section	.text._ZL8moe_q3_KIfLb1EEvPKvS1_PT_PKiS5_S5_iiiiiii,"axG",@progbits,_ZL8moe_q3_KIfLb1EEvPKvS1_PT_PKiS5_S5_iiiiiii,comdat
	.globl	_ZL8moe_q3_KIfLb1EEvPKvS1_PT_PKiS5_S5_iiiiiii ; -- Begin function _ZL8moe_q3_KIfLb1EEvPKvS1_PT_PKiS5_S5_iiiiiii
	.p2align	8
	.type	_ZL8moe_q3_KIfLb1EEvPKvS1_PT_PKiS5_S5_iiiiiii,@function
_ZL8moe_q3_KIfLb1EEvPKvS1_PT_PKiS5_S5_iiiiiii: ; @_ZL8moe_q3_KIfLb1EEvPKvS1_PT_PKiS5_S5_iiiiiii
; %bb.0:
	s_mov_b64 s[38:39], s[2:3]
	s_mov_b64 s[36:37], s[0:1]
	s_load_dwordx4 s[0:3], s[4:5], 0x18
	s_add_u32 s36, s36, s8
	s_mov_b32 s8, s7
	s_mov_b32 s9, 0
	s_addc_u32 s37, s37, 0
	s_lshl_b64 s[10:11], s[8:9], 2
	s_waitcnt lgkmcnt(0)
	s_add_u32 s2, s2, s10
	s_addc_u32 s3, s3, s11
	s_load_dword s2, s[2:3], 0x0
	s_waitcnt lgkmcnt(0)
	s_cmpk_gt_u32 s2, 0xff
	s_cbranch_scc1 .LBB190_47
; %bb.1:
	s_load_dwordx2 s[10:11], s[4:5], 0x28
	s_lshl_b32 s3, s8, 3
	s_waitcnt lgkmcnt(0)
	s_load_dword s7, s[10:11], 0x0
	s_waitcnt lgkmcnt(0)
	s_cmp_gt_u32 s3, s7
	s_cbranch_scc1 .LBB190_47
; %bb.2:
	v_add_u32_e32 v24, s3, v1
	v_mov_b32_e32 v25, 0
	v_lshlrev_b64 v[2:3], 2, v[24:25]
	v_mov_b32_e32 v4, s1
	v_add_co_u32_e32 v2, vcc, s0, v2
	v_addc_co_u32_e32 v3, vcc, v4, v3, vcc
	global_load_dword v81, v[2:3], off
	s_load_dwordx8 s[8:15], s[4:5], 0x30
	s_load_dwordx2 s[16:17], s[4:5], 0x10
	s_waitcnt lgkmcnt(0)
	s_lshl_b32 s15, s6, 7
	v_mov_b32_e32 v75, v25
	v_mov_b32_e32 v76, v25
	s_cmpk_lt_i32 s9, 0x100
	v_mov_b32_e32 v29, v25
	s_cbranch_scc1 .LBB190_38
; %bb.3:
	s_ashr_i32 s0, s9, 31
	s_lshr_b32 s0, s0, 24
	s_load_dwordx4 s[4:7], s[4:5], 0x0
	s_add_i32 s0, s9, s0
	s_ashr_i32 s20, s0, 8
	s_ashr_i32 s0, s12, 31
	s_lshr_b32 s0, s0, 27
	s_add_i32 s0, s12, s0
	s_mul_i32 s2, s2, s8
	s_ashr_i32 s12, s0, 5
	s_ashr_i32 s0, s2, 31
	s_waitcnt lgkmcnt(0)
	s_add_u32 s1, s4, s2
	s_mul_i32 s2, s20, s15
	s_addc_u32 s0, s5, s0
	s_mul_hi_i32 s3, s2, 0x6e
	s_mulk_i32 s2, 0x6e
	s_add_u32 s21, s1, s2
	s_addc_u32 s22, s0, s3
	s_not_b32 s0, s15
	s_add_i32 s0, s10, s0
	v_and_b32_e32 v3, 15, v0
	v_min_i32_e32 v4, s0, v1
	v_lshlrev_b32_e32 v2, 2, v0
	s_movk_i32 s1, 0x84
	v_mul_lo_u32 v32, v4, s20
	v_mad_u64_u32 v[9:10], s[2:3], v4, s1, v[2:3]
	v_add_u32_e32 v4, 8, v1
	v_min_i32_e32 v4, s0, v4
	v_mul_lo_u32 v33, v4, s20
	v_mad_u64_u32 v[10:11], s[2:3], v4, s1, v[2:3]
	v_add_u32_e32 v4, 16, v1
	v_min_i32_e32 v4, s0, v4
	;; [unrolled: 4-line block ×15, first 2 shown]
	v_mul_lo_u32 v47, v4, s20
	v_mad_u64_u32 v[24:25], s[2:3], v4, s1, v[2:3]
	v_lshlrev_b32_e32 v4, 4, v1
	v_lshrrev_b32_e32 v49, 1, v0
	v_add_u32_e32 v5, v49, v4
	v_and_b32_e32 v5, 0x7f, v5
	v_min_i32_e32 v5, s0, v5
	v_ashrrev_i32_e32 v6, 31, v5
	v_lshrrev_b32_e32 v6, 28, v6
	v_add_u32_e32 v6, v5, v6
	v_and_b32_e32 v48, 1, v0
	v_ashrrev_i32_e32 v6, 4, v6
	v_lshrrev_b32_e32 v30, 4, v0
	v_lshlrev_b32_e32 v6, 2, v6
	v_lshlrev_b32_e32 v7, 2, v48
	s_movk_i32 s1, 0x7380
	v_add3_u32 v6, v6, v7, s1
	v_lshl_add_u32 v7, v1, 1, v30
	v_add_u32_e32 v28, 32, v7
	v_min_i32_e32 v28, s0, v28
	v_lshrrev_b32_e32 v56, 31, v28
	v_add_lshl_u32 v56, v28, v56, 1
	v_lshlrev_b32_e32 v31, 2, v3
	s_movk_i32 s1, 0x4200
	v_and_b32_e32 v56, -4, v56
	v_add3_u32 v75, v56, v31, s1
	v_add_u32_e32 v56, 48, v7
	v_min_i32_e32 v57, s0, v56
	v_lshrrev_b32_e32 v58, 31, v57
	v_add_lshl_u32 v58, v57, v58, 1
	v_mul_lo_u32 v56, v57, s20
	v_and_b32_e32 v58, -4, v58
	v_lshlrev_b32_e32 v85, 6, v57
	v_add_u32_e32 v57, 64, v7
	v_add3_u32 v76, v58, v31, s1
	v_min_i32_e32 v58, s0, v57
	v_lshrrev_b32_e32 v59, 31, v58
	v_add_lshl_u32 v59, v58, v59, 1
	v_mul_lo_u32 v57, v58, s20
	v_and_b32_e32 v59, -4, v59
	v_lshlrev_b32_e32 v87, 6, v58
	v_add_u32_e32 v58, 0x50, v7
	v_add3_u32 v86, v59, v31, s1
	;; [unrolled: 8-line block ×3, first 2 shown]
	v_min_i32_e32 v60, s0, v59
	v_lshrrev_b32_e32 v61, 31, v60
	v_min_i32_e32 v8, s0, v7
	v_add_u32_e32 v26, 16, v7
	v_add_lshl_u32 v61, v60, v61, 1
	v_add_u32_e32 v7, 0x70, v7
	v_and_b32_e32 v61, -4, v61
	v_min_i32_e32 v7, s0, v7
	v_add3_u32 v93, v61, v31, s1
	v_lshrrev_b32_e32 v61, 31, v7
	v_cmp_lt_u32_e32 vcc, 7, v3
	v_and_b32_e32 v3, 7, v0
	v_add_lshl_u32 v61, v7, v61, 1
	v_cndmask_b32_e64 v51, 0, 1, vcc
	v_lshlrev_b32_e32 v52, 2, v3
	v_and_b32_e32 v61, -4, v61
	v_cmp_lt_u32_e32 vcc, 3, v3
	v_and_b32_e32 v3, 3, v0
	v_add3_u32 v95, v61, v31, s1
	v_lshrrev_b32_e32 v61, 3, v0
	v_cndmask_b32_e64 v62, 0, 1, vcc
	v_add_u16_e32 v63, -2, v3
	v_cmp_gt_u32_e32 vcc, 2, v3
	v_lshl_add_u32 v70, v1, 2, v61
	v_cndmask_b32_e32 v65, v63, v3, vcc
	v_mov_b32_e32 v66, 2
	v_min_i32_e32 v26, s0, v26
	v_lshlrev_b32_sdwa v65, v66, v65 dst_sel:DWORD dst_unused:UNUSED_PAD src0_sel:DWORD src1_sel:BYTE_0
	v_lshlrev_b32_e32 v66, 1, v3
	v_min_i32_e32 v3, s0, v70
	v_lshrrev_b32_e32 v25, 31, v8
	v_lshrrev_b32_e32 v27, 31, v26
	v_ashrrev_i32_e32 v68, 31, v3
	v_add_lshl_u32 v25, v8, v25, 1
	v_add_lshl_u32 v27, v26, v27, 1
	v_lshrrev_b32_e32 v68, 30, v68
	v_and_b32_e32 v25, -4, v25
	v_and_b32_e32 v27, -4, v27
	v_add_u32_e32 v68, v3, v68
	v_add3_u32 v25, v25, v31, s1
	v_add3_u32 v27, v27, v31, s1
	v_and_b32_e32 v68, -4, v68
	s_movk_i32 s1, 0x6300
	v_add3_u32 v96, v68, v52, s1
	v_add_u32_e32 v68, 32, v70
	v_min_i32_e32 v69, s0, v68
	v_ashrrev_i32_e32 v71, 31, v69
	v_lshrrev_b32_e32 v71, 30, v71
	v_add_u32_e32 v71, v69, v71
	v_mul_lo_u32 v68, v69, s20
	v_and_b32_e32 v71, -4, v71
	v_lshlrev_b32_e32 v98, 5, v69
	v_add_u32_e32 v69, 64, v70
	v_add3_u32 v97, v71, v52, s1
	v_min_i32_e32 v71, s0, v69
	v_ashrrev_i32_e32 v72, 31, v71
	v_lshrrev_b32_e32 v72, 30, v72
	v_add_u32_e32 v72, v71, v72
	v_add_u32_e32 v70, 0x60, v70
	s_abs_i32 s2, s14
	v_mul_lo_u32 v69, v71, s20
	v_and_b32_e32 v72, -4, v72
	v_lshlrev_b32_e32 v100, 5, v71
	v_min_i32_e32 v71, s0, v70
	v_cvt_f32_u32_e32 v73, s2
	v_add3_u32 v99, v72, v52, s1
	v_ashrrev_i32_e32 v72, 31, v71
	v_lshrrev_b32_e32 v72, 30, v72
	v_mul_lo_u32 v70, v71, s20
	v_add_u32_e32 v72, v71, v72
	v_lshlrev_b32_e32 v102, 5, v71
	v_mov_b32_e32 v71, 0x77a0
	v_lshl_add_u32 v71, v1, 7, v71
	v_rcp_iflag_f32_e32 v1, v73
	s_sub_i32 s0, 0, s2
	s_waitcnt vmcnt(0)
	v_sub_u32_e32 v79, 0, v81
	v_max_i32_e32 v79, v81, v79
	v_mul_f32_e32 v1, 0x4f7ffffe, v1
	v_cvt_u32_f32_e32 v1, v1
	v_and_b32_e32 v72, -4, v72
	v_add3_u32 v101, v72, v52, s1
	buffer_store_dword v81, off, s[36:39], 0 offset:16 ; 4-byte Folded Spill
	v_mul_lo_u32 v78, s0, v1
	v_xor_b32_e32 v81, s14, v81
	v_and_b32_e32 v77, 28, v2
	v_ashrrev_i32_e32 v81, 31, v81
	v_mul_hi_u32 v78, v1, v78
	v_mul_lo_u32 v55, v28, s20
	v_lshlrev_b32_e32 v28, 6, v28
	v_add_u32_e32 v90, 32, v0
	v_add_u32_e32 v1, v1, v78
	v_mul_hi_u32 v1, v79, v1
	v_mul_lo_u32 v50, v5, s20
	v_mul_lo_u32 v53, v8, s20
	;; [unrolled: 1-line block ×5, first 2 shown]
	v_lshlrev_b32_e32 v94, 6, v60
	v_mul_lo_u32 v60, v7, s20
	v_sub_u32_e32 v78, v79, v78
	v_add_u32_e32 v79, 1, v1
	v_cmp_le_u32_e64 s[0:1], s2, v78
	v_cndmask_b32_e64 v1, v1, v79, s[0:1]
	v_subrev_u32_e32 v79, s2, v78
	v_cndmask_b32_e64 v78, v78, v79, s[0:1]
	v_add_u32_e32 v79, 1, v1
	v_cmp_le_u32_e64 s[0:1], s2, v78
	v_cndmask_b32_e64 v1, v1, v79, s[0:1]
	v_xor_b32_e32 v1, v1, v81
	v_mov_b32_e32 v78, s7
	v_add_co_u32_e64 v77, s[0:1], s6, v77
	v_sub_u32_e32 v1, v1, v81
	v_addc_co_u32_e64 v78, s[0:1], 0, v78, s[0:1]
	v_mul_lo_u32 v67, v3, s20
	v_lshlrev_b32_e32 v103, 4, v90
	v_lshrrev_b32_e32 v104, 1, v90
	v_lshlrev_b32_e32 v105, 1, v90
	v_lshrrev_b32_e32 v106, 4, v90
	v_add_u32_e32 v91, 64, v0
	v_add_u32_e32 v92, 0x60, v0
	buffer_store_dword v77, off, s[36:39], 0 ; 4-byte Folded Spill
	s_nop 0
	buffer_store_dword v78, off, s[36:39], 0 offset:4 ; 4-byte Folded Spill
	v_and_b32_e32 v79, 0x1fc, v90
	v_add_u32_e32 v84, v75, v28
	v_lshrrev_b32_e32 v28, 3, v90
	v_mul_lo_u32 v90, v1, s12
	v_lshlrev_b32_e32 v5, 3, v5
	v_lshlrev_b32_e32 v8, 6, v8
	;; [unrolled: 1-line block ×3, first 2 shown]
	v_add_u32_e32 v73, 0x7ba0, v4
	v_lshlrev_b32_e32 v80, 5, v0
	v_and_b32_e32 v77, 0x1fc, v92
	v_and_b32_e32 v78, 0x1fc, v91
	;; [unrolled: 1-line block ×3, first 2 shown]
	v_lshlrev_b32_e32 v7, 6, v7
	v_lshlrev_b32_e32 v63, 1, v0
	;; [unrolled: 1-line block ×3, first 2 shown]
	v_and_b32_e32 v72, 31, v0
	v_cmp_gt_u32_e32 vcc, 4, v0
	v_add_u32_e32 v74, v73, v2
	v_mul_u32_u24_e32 v2, 33, v0
	v_lshlrev_b32_e32 v4, 4, v0
	v_lshlrev_b32_e32 v107, 4, v91
	v_add_u32_e32 v77, v80, v77
	v_add_u32_e32 v78, v80, v78
	v_add_u32_e32 v79, v80, v79
	v_add_u32_e32 v80, v80, v81
	v_lshrrev_b32_e32 v108, 1, v91
	v_add_u32_e32 v81, v6, v5
	v_lshlrev_b32_e32 v5, 1, v91
	v_add_u32_e32 v82, v25, v8
	v_lshrrev_b32_e32 v6, 4, v91
	v_add_u32_e32 v83, v27, v26
	v_lshlrev_b32_e32 v8, 4, v92
	v_lshrrev_b32_e32 v25, 1, v92
	v_lshlrev_b32_e32 v26, 1, v92
	v_lshrrev_b32_e32 v27, 4, v92
	v_lshrrev_b32_e32 v61, 3, v91
	v_cmp_gt_i32_e64 s[0:1], s11, v1
	s_movk_i32 s8, 0x6e
	s_mov_b32 s10, 0
	v_mov_b32_e32 v29, 0
	v_and_b32_e32 v64, 4, v63
	v_lshl_add_u32 v72, v72, 2, v71
	v_add_u32_e32 v85, v76, v85
	v_add_u32_e32 v86, v86, v87
	buffer_store_dword v61, off, s[36:39], 0 offset:8 ; 4-byte Folded Spill
	v_lshrrev_b32_e32 v61, 3, v92
	s_and_b64 s[4:5], vcc, s[0:1]
	v_lshlrev_b32_e32 v91, 2, v2
	v_add_u32_e32 v92, v88, v89
	v_add_u32_e32 v94, v93, v94
	;; [unrolled: 1-line block ×5, first 2 shown]
	s_mov_b32 s23, 0x30303030
	s_movk_i32 s24, 0x3f00
	s_movk_i32 s25, 0xe000
	v_add_u32_e32 v98, v99, v100
	v_add_u32_e32 v99, v101, v102
	v_mov_b32_e32 v100, 8
	v_lshlrev_b32_e32 v101, 2, v4
	v_lshlrev_b32_e32 v102, 2, v104
	;; [unrolled: 1-line block ×13, first 2 shown]
	v_mov_b32_e32 v76, 0
	v_mov_b32_e32 v75, 0
	;; [unrolled: 1-line block ×3, first 2 shown]
	buffer_store_dword v61, off, s[36:39], 0 offset:12 ; 4-byte Folded Spill
	s_branch .LBB190_5
.LBB190_4:                              ;   in Loop: Header=BB190_5 Depth=1
	s_add_i32 s10, s10, 2
	s_cmp_ge_i32 s10, s20
	s_cbranch_scc1 .LBB190_37
.LBB190_5:                              ; =>This Loop Header: Depth=1
                                        ;     Child Loop BB190_11 Depth 2
                                        ;     Child Loop BB190_19 Depth 2
	;; [unrolled: 1-line block ×4, first 2 shown]
	s_mul_i32 s2, s10, 0x6e
	s_mul_hi_u32 s3, s10, 0x6e
	s_add_u32 s2, s21, s2
	s_addc_u32 s3, s22, s3
	v_mov_b32_e32 v1, s2
	v_mov_b32_e32 v2, s3
	v_mad_u64_u32 v[3:4], s[2:3], v30, s8, v[1:2]
	s_lshl_b32 s26, s10, 8
	s_cmp_lt_i32 s26, s9
	v_mad_i64_i32 v[5:6], s[2:3], v32, s8, v[3:4]
	v_add_co_u32_e64 v5, s[2:3], v5, v31
	v_addc_co_u32_e64 v6, s[2:3], 0, v6, s[2:3]
	global_load_dword v5, v[5:6], off offset:32
	s_waitcnt vmcnt(0)
	ds_write_b32 v9, v5
	v_mad_i64_i32 v[5:6], s[2:3], v33, s8, v[3:4]
	v_add_co_u32_e64 v5, s[2:3], v5, v31
	v_addc_co_u32_e64 v6, s[2:3], 0, v6, s[2:3]
	global_load_dword v5, v[5:6], off offset:32
	s_waitcnt vmcnt(0)
	ds_write_b32 v10, v5
	;; [unrolled: 6-line block ×14, first 2 shown]
	v_mad_i64_i32 v[5:6], s[2:3], v46, s8, v[3:4]
	v_add_co_u32_e64 v5, s[2:3], v5, v31
	v_addc_co_u32_e64 v6, s[2:3], 0, v6, s[2:3]
	v_mad_i64_i32 v[3:4], s[2:3], v47, s8, v[3:4]
	global_load_dword v5, v[5:6], off offset:32
	v_add_co_u32_e64 v3, s[2:3], v3, v31
	v_addc_co_u32_e64 v4, s[2:3], 0, v4, s[2:3]
	global_load_dword v3, v[3:4], off offset:32
	s_waitcnt vmcnt(1)
	ds_write_b32 v23, v5
	s_waitcnt vmcnt(0)
	ds_write_b32 v24, v3
	v_mad_i64_i32 v[3:4], s[2:3], v50, s8, v[1:2]
	v_mad_u64_u32 v[3:4], s[2:3], v48, s8, v[3:4]
	global_load_ushort v3, v[3:4], off offset:108
	s_waitcnt vmcnt(0)
	v_cvt_f32_f16_e32 v3, v3
	ds_write_b32 v81, v3
	v_mad_u64_u32 v[3:4], s[2:3], v51, s8, v[1:2]
	v_add_co_u32_e64 v3, s[2:3], v3, v52
	v_addc_co_u32_e64 v4, s[2:3], 0, v4, s[2:3]
	v_mad_i64_i32 v[5:6], s[2:3], v53, s8, v[3:4]
	v_mad_u64_u32 v[1:2], s[2:3], v62, s8, v[1:2]
	global_load_dword v5, v[5:6], off
	s_waitcnt vmcnt(0)
	v_not_b32_e32 v5, v5
	ds_write_b32 v82, v5
	v_mad_i64_i32 v[5:6], s[2:3], v54, s8, v[3:4]
	global_load_dword v5, v[5:6], off
	s_waitcnt vmcnt(0)
	v_not_b32_e32 v5, v5
	ds_write_b32 v83, v5
	v_mad_i64_i32 v[5:6], s[2:3], v55, s8, v[3:4]
	global_load_dword v5, v[5:6], off
	s_waitcnt vmcnt(0)
	v_not_b32_e32 v5, v5
	ds_write_b32 v84, v5
	v_mad_i64_i32 v[5:6], s[2:3], v56, s8, v[3:4]
	global_load_dword v5, v[5:6], off
	s_waitcnt vmcnt(0)
	v_not_b32_e32 v5, v5
	ds_write_b32 v85, v5
	v_mad_i64_i32 v[5:6], s[2:3], v57, s8, v[3:4]
	global_load_dword v5, v[5:6], off
	s_waitcnt vmcnt(0)
	v_not_b32_e32 v5, v5
	ds_write_b32 v86, v5
	v_mad_i64_i32 v[5:6], s[2:3], v58, s8, v[3:4]
	global_load_dword v5, v[5:6], off
	s_waitcnt vmcnt(0)
	v_not_b32_e32 v5, v5
	ds_write_b32 v92, v5
	v_mad_i64_i32 v[5:6], s[2:3], v59, s8, v[3:4]
	v_mad_i64_i32 v[3:4], s[2:3], v60, s8, v[3:4]
	global_load_dword v5, v[5:6], off
	s_nop 0
	global_load_dword v3, v[3:4], off
	s_waitcnt vmcnt(1)
	v_not_b32_e32 v5, v5
	ds_write_b32 v94, v5
	s_waitcnt vmcnt(0)
	v_not_b32_e32 v3, v3
	ds_write_b32 v95, v3
	v_mad_i64_i32 v[3:4], s[2:3], v67, s8, v[1:2]
	v_add_co_u32_e64 v5, s[2:3], v3, v65
	v_addc_co_u32_e64 v6, s[2:3], 0, v4, s[2:3]
	global_load_dword v5, v[5:6], off offset:96
	s_nop 0
	global_load_dword v3, v[3:4], off offset:104
	s_waitcnt vmcnt(1)
	v_ashrrev_i32_e32 v5, v64, v5
	v_and_b32_e32 v5, 0xf0f0f0f, v5
	s_waitcnt vmcnt(0)
	v_ashrrev_i32_e32 v3, v66, v3
	v_lshlrev_b32_e32 v3, 4, v3
	v_and_or_b32 v3, v3, s23, v5
	v_lshlrev_b16_e32 v5, 8, v3
	v_and_b32_e32 v4, 0x3f00, v3
	v_add_u16_e32 v5, 0xe000, v5
	v_or_b32_sdwa v4, v4, v5 dst_sel:DWORD dst_unused:UNUSED_PAD src0_sel:DWORD src1_sel:BYTE_1
	v_and_b32_sdwa v5, v3, s24 dst_sel:DWORD dst_unused:UNUSED_PAD src0_sel:WORD_1 src1_sel:DWORD
	v_lshlrev_b16_sdwa v3, v100, v3 dst_sel:DWORD dst_unused:UNUSED_PAD src0_sel:DWORD src1_sel:WORD_1
	v_add_u16_e32 v3, 0xe000, v3
	v_or_b32_sdwa v3, v5, v3 dst_sel:DWORD dst_unused:UNUSED_PAD src0_sel:DWORD src1_sel:BYTE_1
	v_add_u16_e32 v4, 0xe000, v4
	v_add_u16_sdwa v3, v3, s25 dst_sel:WORD_1 dst_unused:UNUSED_PAD src0_sel:DWORD src1_sel:DWORD
	v_or_b32_e32 v3, v4, v3
	ds_write_b32 v96, v3
	v_mad_i64_i32 v[3:4], s[2:3], v68, s8, v[1:2]
	v_add_co_u32_e64 v5, s[2:3], v3, v65
	v_addc_co_u32_e64 v6, s[2:3], 0, v4, s[2:3]
	global_load_dword v5, v[5:6], off offset:96
	s_nop 0
	global_load_dword v3, v[3:4], off offset:104
	s_waitcnt vmcnt(1)
	v_ashrrev_i32_e32 v5, v64, v5
	v_and_b32_e32 v5, 0xf0f0f0f, v5
	s_waitcnt vmcnt(0)
	v_ashrrev_i32_e32 v3, v66, v3
	v_lshlrev_b32_e32 v3, 4, v3
	v_and_or_b32 v3, v3, s23, v5
	v_lshlrev_b16_e32 v5, 8, v3
	v_and_b32_e32 v4, 0x3f00, v3
	v_add_u16_e32 v5, 0xe000, v5
	v_or_b32_sdwa v4, v4, v5 dst_sel:DWORD dst_unused:UNUSED_PAD src0_sel:DWORD src1_sel:BYTE_1
	v_and_b32_sdwa v5, v3, s24 dst_sel:DWORD dst_unused:UNUSED_PAD src0_sel:WORD_1 src1_sel:DWORD
	v_lshlrev_b16_sdwa v3, v100, v3 dst_sel:DWORD dst_unused:UNUSED_PAD src0_sel:DWORD src1_sel:WORD_1
	v_add_u16_e32 v3, 0xe000, v3
	v_or_b32_sdwa v3, v5, v3 dst_sel:DWORD dst_unused:UNUSED_PAD src0_sel:DWORD src1_sel:BYTE_1
	v_add_u16_e32 v4, 0xe000, v4
	v_add_u16_sdwa v3, v3, s25 dst_sel:WORD_1 dst_unused:UNUSED_PAD src0_sel:DWORD src1_sel:DWORD
	v_or_b32_e32 v3, v4, v3
	;; [unrolled: 25-line block ×4, first 2 shown]
	ds_write_b32 v99, v1
	s_cbranch_scc0 .LBB190_4
; %bb.6:                                ;   in Loop: Header=BB190_5 Depth=1
	s_lshl_b32 s27, s10, 3
	v_lshrrev_b32_e32 v1, 3, v0
	v_add_u32_e32 v1, s27, v1
	v_cmp_gt_i32_e64 s[2:3], s12, v1
	s_and_b64 s[18:19], s[0:1], s[2:3]
	s_and_saveexec_b64 s[2:3], s[18:19]
	s_cbranch_execz .LBB190_8
; %bb.7:                                ;   in Loop: Header=BB190_5 Depth=1
	buffer_load_dword v2, off, s[36:39], 0  ; 4-byte Folded Reload
	buffer_load_dword v3, off, s[36:39], 0 offset:4 ; 4-byte Folded Reload
	v_add_u32_e32 v1, v90, v1
	s_waitcnt vmcnt(0)
	v_mad_i64_i32 v[1:2], s[18:19], v1, 36, v[2:3]
	global_load_dword v1, v[1:2], off offset:4
	s_waitcnt vmcnt(0)
	ds_write_b32 v72, v1
.LBB190_8:                              ;   in Loop: Header=BB190_5 Depth=1
	s_or_b64 exec, exec, s[2:3]
	v_add_u32_e32 v117, s27, v0
	v_cmp_gt_i32_e64 s[2:3], s12, v117
	s_and_b64 s[18:19], s[4:5], s[2:3]
	s_and_saveexec_b64 s[2:3], s[18:19]
	s_cbranch_execz .LBB190_10
; %bb.9:                                ;   in Loop: Header=BB190_5 Depth=1
	v_add_u32_e32 v1, v90, v117
	v_mad_i64_i32 v[1:2], s[18:19], v1, 36, s[6:7]
	global_load_dword v1, v[1:2], off
	s_waitcnt vmcnt(0)
	v_cvt_f32_f16_e32 v1, v1
	ds_write_b32 v74, v1
.LBB190_10:                             ;   in Loop: Header=BB190_5 Depth=1
	s_or_b64 exec, exec, s[2:3]
	s_mov_b32 s19, -2
	s_mov_b32 s2, 0
	v_mov_b32_e32 v118, v73
	v_mov_b32_e32 v119, v71
	s_mov_b32 s3, 0
	s_waitcnt lgkmcnt(0)
	s_barrier
.LBB190_11:                             ;   Parent Loop BB190_5 Depth=1
                                        ; =>  This Inner Loop Header: Depth=2
	s_add_i32 s18, s19, 2
	s_lshr_b32 s30, s18, 4
	s_and_b32 s29, s18, 0x3ffffff8
	v_lshl_add_u32 v121, s29, 2, v91
	s_lshl_b32 s29, s30, 5
	s_addk_i32 s29, 0x4200
	v_lshlrev_b32_e32 v114, 2, v49
	v_add3_u32 v87, s29, v114, v101
	ds_read_b32 v120, v118
	ds_read_b128 v[5:8], v119
	ds_read_b128 v[1:4], v119 offset:16
	ds_read2_b32 v[88:89], v121 offset1:1
	ds_read2_b32 v[115:116], v87 offset1:1
	ds_read2_b32 v[122:123], v87 offset0:2 offset1:3
	ds_read2_b32 v[124:125], v87 offset0:4 offset1:5
	ds_read2_b32 v[126:127], v87 offset0:6 offset1:7
	s_waitcnt lgkmcnt(4)
	v_ashrrev_i32_e32 v26, s18, v88
	s_waitcnt lgkmcnt(3)
	v_ashrrev_i32_e32 v88, s2, v115
	v_lshlrev_b32_e32 v88, 2, v88
	v_and_b32_e32 v27, 0x3030303, v26
	v_bfe_u32 v26, v26, 24, 2
	v_and_b32_e32 v88, 0x4040404, v88
	v_sub_u16_e32 v93, v27, v88
	v_sub_u16_sdwa v115, v27, v88 dst_sel:BYTE_1 dst_unused:UNUSED_PAD src0_sel:BYTE_1 src1_sel:BYTE_1
	v_sub_u16_sdwa v26, v26, v88 dst_sel:BYTE_1 dst_unused:UNUSED_PAD src0_sel:DWORD src1_sel:BYTE_3
	v_sub_u16_sdwa v27, v27, v88 dst_sel:DWORD dst_unused:UNUSED_PAD src0_sel:WORD_1 src1_sel:WORD_1
	v_or_b32_sdwa v93, v93, v115 dst_sel:DWORD dst_unused:UNUSED_PAD src0_sel:BYTE_0 src1_sel:DWORD
	v_or_b32_sdwa v26, v27, v26 dst_sel:WORD_1 dst_unused:UNUSED_PAD src0_sel:BYTE_0 src1_sel:DWORD
	v_ashrrev_i32_e32 v88, s2, v116
	v_or_b32_sdwa v93, v93, v26 dst_sel:DWORD dst_unused:UNUSED_PAD src0_sel:WORD_0 src1_sel:DWORD
	v_ashrrev_i32_e32 v26, s18, v89
	v_lshlrev_b32_e32 v88, 2, v88
	v_and_b32_e32 v27, 0x3030303, v26
	v_and_b32_e32 v88, 0x4040404, v88
	v_sub_u16_e32 v89, v27, v88
	v_sub_u16_sdwa v115, v27, v88 dst_sel:BYTE_1 dst_unused:UNUSED_PAD src0_sel:BYTE_1 src1_sel:BYTE_1
	v_or_b32_sdwa v89, v89, v115 dst_sel:DWORD dst_unused:UNUSED_PAD src0_sel:BYTE_0 src1_sel:DWORD
	ds_read2_b32 v[115:116], v121 offset0:2 offset1:3
	v_bfe_u32 v26, v26, 24, 2
	v_sub_u16_sdwa v26, v26, v88 dst_sel:BYTE_1 dst_unused:UNUSED_PAD src0_sel:DWORD src1_sel:BYTE_3
	v_sub_u16_sdwa v27, v27, v88 dst_sel:DWORD dst_unused:UNUSED_PAD src0_sel:WORD_1 src1_sel:WORD_1
	v_or_b32_sdwa v26, v27, v26 dst_sel:WORD_1 dst_unused:UNUSED_PAD src0_sel:BYTE_0 src1_sel:DWORD
	s_waitcnt lgkmcnt(3)
	v_ashrrev_i32_e32 v88, s2, v122
	v_or_b32_sdwa v89, v89, v26 dst_sel:DWORD dst_unused:UNUSED_PAD src0_sel:WORD_0 src1_sel:DWORD
	s_waitcnt lgkmcnt(0)
	v_ashrrev_i32_e32 v26, s18, v115
	v_lshlrev_b32_e32 v88, 2, v88
	v_and_b32_e32 v27, 0x3030303, v26
	v_bfe_u32 v26, v26, 24, 2
	v_and_b32_e32 v88, 0x4040404, v88
	v_sub_u16_e32 v115, v27, v88
	v_sub_u16_sdwa v122, v27, v88 dst_sel:BYTE_1 dst_unused:UNUSED_PAD src0_sel:BYTE_1 src1_sel:BYTE_1
	v_sub_u16_sdwa v26, v26, v88 dst_sel:BYTE_1 dst_unused:UNUSED_PAD src0_sel:DWORD src1_sel:BYTE_3
	v_sub_u16_sdwa v27, v27, v88 dst_sel:DWORD dst_unused:UNUSED_PAD src0_sel:WORD_1 src1_sel:WORD_1
	v_or_b32_sdwa v115, v115, v122 dst_sel:DWORD dst_unused:UNUSED_PAD src0_sel:BYTE_0 src1_sel:DWORD
	v_or_b32_sdwa v26, v27, v26 dst_sel:WORD_1 dst_unused:UNUSED_PAD src0_sel:BYTE_0 src1_sel:DWORD
	v_ashrrev_i32_e32 v88, s2, v123
	v_or_b32_sdwa v122, v115, v26 dst_sel:DWORD dst_unused:UNUSED_PAD src0_sel:WORD_0 src1_sel:DWORD
	v_ashrrev_i32_e32 v26, s18, v116
	v_lshlrev_b32_e32 v88, 2, v88
	v_and_b32_e32 v27, 0x3030303, v26
	v_bfe_u32 v26, v26, 24, 2
	v_and_b32_e32 v88, 0x4040404, v88
	v_sub_u16_e32 v115, v27, v88
	v_sub_u16_sdwa v116, v27, v88 dst_sel:BYTE_1 dst_unused:UNUSED_PAD src0_sel:BYTE_1 src1_sel:BYTE_1
	v_sub_u16_sdwa v26, v26, v88 dst_sel:BYTE_1 dst_unused:UNUSED_PAD src0_sel:DWORD src1_sel:BYTE_3
	v_sub_u16_sdwa v27, v27, v88 dst_sel:DWORD dst_unused:UNUSED_PAD src0_sel:WORD_1 src1_sel:WORD_1
	v_or_b32_sdwa v115, v115, v116 dst_sel:DWORD dst_unused:UNUSED_PAD src0_sel:BYTE_0 src1_sel:DWORD
	v_or_b32_sdwa v26, v27, v26 dst_sel:WORD_1 dst_unused:UNUSED_PAD src0_sel:BYTE_0 src1_sel:DWORD
	v_or_b32_sdwa v123, v115, v26 dst_sel:DWORD dst_unused:UNUSED_PAD src0_sel:WORD_0 src1_sel:DWORD
	ds_read2_b32 v[115:116], v121 offset0:4 offset1:5
	v_ashrrev_i32_e32 v88, s2, v124
	v_lshlrev_b32_e32 v88, 2, v88
	v_and_b32_e32 v88, 0x4040404, v88
	v_ashrrev_i32_e32 v87, s2, v126
	s_waitcnt lgkmcnt(0)
	v_ashrrev_i32_e32 v26, s18, v115
	v_and_b32_e32 v27, 0x3030303, v26
	v_bfe_u32 v26, v26, 24, 2
	v_sub_u16_e32 v115, v27, v88
	v_sub_u16_sdwa v124, v27, v88 dst_sel:BYTE_1 dst_unused:UNUSED_PAD src0_sel:BYTE_1 src1_sel:BYTE_1
	v_sub_u16_sdwa v26, v26, v88 dst_sel:BYTE_1 dst_unused:UNUSED_PAD src0_sel:DWORD src1_sel:BYTE_3
	v_sub_u16_sdwa v27, v27, v88 dst_sel:DWORD dst_unused:UNUSED_PAD src0_sel:WORD_1 src1_sel:WORD_1
	v_or_b32_sdwa v115, v115, v124 dst_sel:DWORD dst_unused:UNUSED_PAD src0_sel:BYTE_0 src1_sel:DWORD
	v_or_b32_sdwa v26, v27, v26 dst_sel:WORD_1 dst_unused:UNUSED_PAD src0_sel:BYTE_0 src1_sel:DWORD
	v_ashrrev_i32_e32 v88, s2, v125
	v_or_b32_sdwa v124, v115, v26 dst_sel:DWORD dst_unused:UNUSED_PAD src0_sel:WORD_0 src1_sel:DWORD
	v_ashrrev_i32_e32 v26, s18, v116
	v_lshlrev_b32_e32 v88, 2, v88
	v_and_b32_e32 v27, 0x3030303, v26
	v_bfe_u32 v26, v26, 24, 2
	v_and_b32_e32 v88, 0x4040404, v88
	v_sub_u16_e32 v115, v27, v88
	v_sub_u16_sdwa v116, v27, v88 dst_sel:BYTE_1 dst_unused:UNUSED_PAD src0_sel:BYTE_1 src1_sel:BYTE_1
	v_sub_u16_sdwa v26, v26, v88 dst_sel:BYTE_1 dst_unused:UNUSED_PAD src0_sel:DWORD src1_sel:BYTE_3
	v_sub_u16_sdwa v27, v27, v88 dst_sel:DWORD dst_unused:UNUSED_PAD src0_sel:WORD_1 src1_sel:WORD_1
	v_or_b32_sdwa v115, v115, v116 dst_sel:DWORD dst_unused:UNUSED_PAD src0_sel:BYTE_0 src1_sel:DWORD
	v_or_b32_sdwa v26, v27, v26 dst_sel:WORD_1 dst_unused:UNUSED_PAD src0_sel:BYTE_0 src1_sel:DWORD
	v_or_b32_sdwa v125, v115, v26 dst_sel:DWORD dst_unused:UNUSED_PAD src0_sel:WORD_0 src1_sel:DWORD
	ds_read2_b32 v[115:116], v121 offset0:6 offset1:7
	v_lshlrev_b32_e32 v87, 2, v87
	v_and_b32_e32 v87, 0x4040404, v87
	s_and_b32 s28, s3, -16
	s_add_i32 s28, s19, s28
	s_waitcnt lgkmcnt(0)
	v_ashrrev_i32_e32 v26, s18, v115
	v_and_b32_e32 v27, 0x3030303, v26
	v_bfe_u32 v26, v26, 24, 2
	v_sub_u16_e32 v88, v27, v87
	v_sub_u16_sdwa v115, v27, v87 dst_sel:BYTE_1 dst_unused:UNUSED_PAD src0_sel:BYTE_1 src1_sel:BYTE_1
	v_sub_u16_sdwa v26, v26, v87 dst_sel:BYTE_1 dst_unused:UNUSED_PAD src0_sel:DWORD src1_sel:BYTE_3
	v_sub_u16_sdwa v27, v27, v87 dst_sel:DWORD dst_unused:UNUSED_PAD src0_sel:WORD_1 src1_sel:WORD_1
	v_or_b32_sdwa v88, v88, v115 dst_sel:DWORD dst_unused:UNUSED_PAD src0_sel:BYTE_0 src1_sel:DWORD
	v_or_b32_sdwa v26, v27, v26 dst_sel:WORD_1 dst_unused:UNUSED_PAD src0_sel:BYTE_0 src1_sel:DWORD
	v_ashrrev_i32_e32 v87, s2, v127
	v_or_b32_sdwa v126, v88, v26 dst_sel:DWORD dst_unused:UNUSED_PAD src0_sel:WORD_0 src1_sel:DWORD
	v_ashrrev_i32_e32 v26, s18, v116
	v_lshlrev_b32_e32 v87, 2, v87
	v_and_b32_e32 v27, 0x3030303, v26
	v_bfe_u32 v26, v26, 24, 2
	v_and_b32_e32 v87, 0x4040404, v87
	v_sub_u16_e32 v88, v27, v87
	v_sub_u16_sdwa v115, v27, v87 dst_sel:BYTE_1 dst_unused:UNUSED_PAD src0_sel:BYTE_1 src1_sel:BYTE_1
	v_sub_u16_sdwa v26, v26, v87 dst_sel:BYTE_1 dst_unused:UNUSED_PAD src0_sel:DWORD src1_sel:BYTE_3
	v_sub_u16_sdwa v27, v27, v87 dst_sel:DWORD dst_unused:UNUSED_PAD src0_sel:WORD_1 src1_sel:WORD_1
	v_or_b32_sdwa v88, v88, v115 dst_sel:DWORD dst_unused:UNUSED_PAD src0_sel:BYTE_0 src1_sel:DWORD
	v_or_b32_sdwa v26, v27, v26 dst_sel:WORD_1 dst_unused:UNUSED_PAD src0_sel:BYTE_0 src1_sel:DWORD
	v_or_b32_sdwa v127, v88, v26 dst_sel:DWORD dst_unused:UNUSED_PAD src0_sel:WORD_0 src1_sel:DWORD
	v_add_u32_e32 v26, 0x6300, v80
	v_add_u32_e32 v88, s28, v26
	ds_read_u16 v88, v88 offset:2
	v_dot4_i32_i8 v27, v93, v5, 0
	v_dot4_i32_i8 v27, v89, v6, v27
	;; [unrolled: 1-line block ×4, first 2 shown]
	s_waitcnt lgkmcnt(0)
	v_lshrrev_b16_e32 v89, 8, v88
	v_bfe_i32 v88, v88, 0, 8
	v_dot4_i32_i8 v87, v124, v1, 0
	v_mul_lo_u32 v88, v27, v88
	v_dot4_i32_i8 v87, v125, v2, v87
	v_dot4_i32_i8 v87, v126, v3, v87
	s_lshl_b32 s19, s30, 2
	v_dot4_i32_i8 v87, v127, v4, v87
	v_bfe_i32 v89, v89, 0, 8
	s_addk_i32 s19, 0x7380
	v_lshlrev_b32_e32 v115, 2, v30
	v_lshlrev_b32_e32 v116, 2, v63
	v_mad_u64_u32 v[88:89], s[30:31], v87, v89, v[88:89]
	v_add3_u32 v26, s19, v115, v116
	ds_read_b32 v26, v26
	v_cvt_f32_i32_e32 v27, v88
	v_add3_u32 v87, s29, v102, v103
	ds_read2_b32 v[122:123], v87 offset1:1
	s_add_i32 s3, s3, 2
	s_waitcnt lgkmcnt(1)
	v_mul_f32_e32 v26, v120, v26
	v_fmac_f32_e32 v29, v26, v27
	v_add_u32_e32 v26, 0x1080, v121
	ds_read2_b32 v[88:89], v26 offset1:1
	v_add_u32_e32 v119, 32, v119
	v_add_u32_e32 v118, 4, v118
	s_waitcnt lgkmcnt(0)
	v_ashrrev_i32_e32 v26, s18, v88
	v_ashrrev_i32_e32 v88, s2, v122
	v_lshlrev_b32_e32 v88, 2, v88
	v_and_b32_e32 v27, 0x3030303, v26
	v_bfe_u32 v26, v26, 24, 2
	v_and_b32_e32 v88, 0x4040404, v88
	v_sub_u16_e32 v93, v27, v88
	v_sub_u16_sdwa v122, v27, v88 dst_sel:BYTE_1 dst_unused:UNUSED_PAD src0_sel:BYTE_1 src1_sel:BYTE_1
	v_sub_u16_sdwa v26, v26, v88 dst_sel:BYTE_1 dst_unused:UNUSED_PAD src0_sel:DWORD src1_sel:BYTE_3
	v_sub_u16_sdwa v27, v27, v88 dst_sel:DWORD dst_unused:UNUSED_PAD src0_sel:WORD_1 src1_sel:WORD_1
	v_or_b32_sdwa v26, v27, v26 dst_sel:WORD_1 dst_unused:UNUSED_PAD src0_sel:BYTE_0 src1_sel:DWORD
	v_ashrrev_i32_e32 v27, s18, v89
	v_ashrrev_i32_e32 v89, s2, v123
	v_lshlrev_b32_e32 v89, 2, v89
	v_or_b32_sdwa v93, v93, v122 dst_sel:DWORD dst_unused:UNUSED_PAD src0_sel:BYTE_0 src1_sel:DWORD
	v_and_b32_e32 v88, 0x3030303, v27
	v_bfe_u32 v27, v27, 24, 2
	v_and_b32_e32 v89, 0x4040404, v89
	v_or_b32_sdwa v26, v93, v26 dst_sel:DWORD dst_unused:UNUSED_PAD src0_sel:WORD_0 src1_sel:DWORD
	v_sub_u16_e32 v93, v88, v89
	v_sub_u16_sdwa v122, v88, v89 dst_sel:BYTE_1 dst_unused:UNUSED_PAD src0_sel:BYTE_1 src1_sel:BYTE_1
	v_sub_u16_sdwa v27, v27, v89 dst_sel:BYTE_1 dst_unused:UNUSED_PAD src0_sel:DWORD src1_sel:BYTE_3
	v_sub_u16_sdwa v88, v88, v89 dst_sel:DWORD dst_unused:UNUSED_PAD src0_sel:WORD_1 src1_sel:WORD_1
	v_or_b32_sdwa v27, v88, v27 dst_sel:WORD_1 dst_unused:UNUSED_PAD src0_sel:BYTE_0 src1_sel:DWORD
	v_add_u32_e32 v88, 0x1088, v121
	v_or_b32_sdwa v93, v93, v122 dst_sel:DWORD dst_unused:UNUSED_PAD src0_sel:BYTE_0 src1_sel:DWORD
	ds_read2_b32 v[88:89], v88 offset1:1
	ds_read2_b32 v[122:123], v87 offset0:2 offset1:3
	v_or_b32_sdwa v27, v93, v27 dst_sel:DWORD dst_unused:UNUSED_PAD src0_sel:WORD_0 src1_sel:DWORD
	v_dot4_i32_i8 v26, v26, v5, 0
	v_dot4_i32_i8 v26, v27, v6, v26
	s_waitcnt lgkmcnt(1)
	v_ashrrev_i32_e32 v88, s18, v88
	s_waitcnt lgkmcnt(0)
	v_ashrrev_i32_e32 v122, s2, v122
	v_lshlrev_b32_e32 v122, 2, v122
	v_and_b32_e32 v93, 0x3030303, v88
	v_bfe_u32 v88, v88, 24, 2
	v_and_b32_e32 v122, 0x4040404, v122
	v_sub_u16_e32 v124, v93, v122
	v_sub_u16_sdwa v125, v93, v122 dst_sel:BYTE_1 dst_unused:UNUSED_PAD src0_sel:BYTE_1 src1_sel:BYTE_1
	v_sub_u16_sdwa v88, v88, v122 dst_sel:BYTE_1 dst_unused:UNUSED_PAD src0_sel:DWORD src1_sel:BYTE_3
	v_sub_u16_sdwa v93, v93, v122 dst_sel:DWORD dst_unused:UNUSED_PAD src0_sel:WORD_1 src1_sel:WORD_1
	v_or_b32_sdwa v124, v124, v125 dst_sel:DWORD dst_unused:UNUSED_PAD src0_sel:BYTE_0 src1_sel:DWORD
	v_or_b32_sdwa v88, v93, v88 dst_sel:WORD_1 dst_unused:UNUSED_PAD src0_sel:BYTE_0 src1_sel:DWORD
	v_ashrrev_i32_e32 v122, s2, v123
	v_or_b32_sdwa v93, v124, v88 dst_sel:DWORD dst_unused:UNUSED_PAD src0_sel:WORD_0 src1_sel:DWORD
	v_ashrrev_i32_e32 v88, s18, v89
	v_lshlrev_b32_e32 v122, 2, v122
	v_and_b32_e32 v89, 0x3030303, v88
	v_bfe_u32 v88, v88, 24, 2
	v_and_b32_e32 v122, 0x4040404, v122
	v_sub_u16_e32 v123, v89, v122
	v_sub_u16_sdwa v124, v89, v122 dst_sel:BYTE_1 dst_unused:UNUSED_PAD src0_sel:BYTE_1 src1_sel:BYTE_1
	v_sub_u16_sdwa v88, v88, v122 dst_sel:BYTE_1 dst_unused:UNUSED_PAD src0_sel:DWORD src1_sel:BYTE_3
	v_sub_u16_sdwa v89, v89, v122 dst_sel:DWORD dst_unused:UNUSED_PAD src0_sel:WORD_1 src1_sel:WORD_1
	v_or_b32_sdwa v123, v123, v124 dst_sel:DWORD dst_unused:UNUSED_PAD src0_sel:BYTE_0 src1_sel:DWORD
	v_or_b32_sdwa v88, v89, v88 dst_sel:WORD_1 dst_unused:UNUSED_PAD src0_sel:BYTE_0 src1_sel:DWORD
	v_or_b32_sdwa v124, v123, v88 dst_sel:DWORD dst_unused:UNUSED_PAD src0_sel:WORD_0 src1_sel:DWORD
	v_add_u32_e32 v88, 0x1090, v121
	ds_read2_b32 v[88:89], v88 offset1:1
	ds_read2_b32 v[122:123], v87 offset0:4 offset1:5
	v_dot4_i32_i8 v26, v93, v7, v26
	v_dot4_i32_i8 v26, v124, v8, v26
	s_waitcnt lgkmcnt(1)
	v_ashrrev_i32_e32 v88, s18, v88
	s_waitcnt lgkmcnt(0)
	v_ashrrev_i32_e32 v122, s2, v122
	v_lshlrev_b32_e32 v122, 2, v122
	v_and_b32_e32 v125, 0x3030303, v88
	v_bfe_u32 v88, v88, 24, 2
	v_and_b32_e32 v122, 0x4040404, v122
	v_sub_u16_e32 v126, v125, v122
	v_sub_u16_sdwa v127, v125, v122 dst_sel:BYTE_1 dst_unused:UNUSED_PAD src0_sel:BYTE_1 src1_sel:BYTE_1
	v_sub_u16_sdwa v88, v88, v122 dst_sel:BYTE_1 dst_unused:UNUSED_PAD src0_sel:DWORD src1_sel:BYTE_3
	v_sub_u16_sdwa v122, v125, v122 dst_sel:DWORD dst_unused:UNUSED_PAD src0_sel:WORD_1 src1_sel:WORD_1
	v_or_b32_sdwa v126, v126, v127 dst_sel:DWORD dst_unused:UNUSED_PAD src0_sel:BYTE_0 src1_sel:DWORD
	v_or_b32_sdwa v88, v122, v88 dst_sel:WORD_1 dst_unused:UNUSED_PAD src0_sel:BYTE_0 src1_sel:DWORD
	v_ashrrev_i32_e32 v122, s2, v123
	v_or_b32_sdwa v125, v126, v88 dst_sel:DWORD dst_unused:UNUSED_PAD src0_sel:WORD_0 src1_sel:DWORD
	v_ashrrev_i32_e32 v88, s18, v89
	v_lshlrev_b32_e32 v122, 2, v122
	v_and_b32_e32 v89, 0x3030303, v88
	v_bfe_u32 v88, v88, 24, 2
	v_and_b32_e32 v122, 0x4040404, v122
	v_sub_u16_e32 v123, v89, v122
	v_sub_u16_sdwa v126, v89, v122 dst_sel:BYTE_1 dst_unused:UNUSED_PAD src0_sel:BYTE_1 src1_sel:BYTE_1
	v_sub_u16_sdwa v88, v88, v122 dst_sel:BYTE_1 dst_unused:UNUSED_PAD src0_sel:DWORD src1_sel:BYTE_3
	v_sub_u16_sdwa v89, v89, v122 dst_sel:DWORD dst_unused:UNUSED_PAD src0_sel:WORD_1 src1_sel:WORD_1
	v_or_b32_sdwa v123, v123, v126 dst_sel:DWORD dst_unused:UNUSED_PAD src0_sel:BYTE_0 src1_sel:DWORD
	v_or_b32_sdwa v88, v89, v88 dst_sel:WORD_1 dst_unused:UNUSED_PAD src0_sel:BYTE_0 src1_sel:DWORD
	v_or_b32_sdwa v126, v123, v88 dst_sel:DWORD dst_unused:UNUSED_PAD src0_sel:WORD_0 src1_sel:DWORD
	v_add_u32_e32 v88, 0x1098, v121
	ds_read2_b32 v[88:89], v88 offset1:1
	ds_read2_b32 v[122:123], v87 offset0:6 offset1:7
	v_dot4_i32_i8 v27, v125, v1, 0
	v_dot4_i32_i8 v27, v126, v2, v27
	s_waitcnt lgkmcnt(1)
	v_ashrrev_i32_e32 v88, s18, v88
	s_waitcnt lgkmcnt(0)
	v_ashrrev_i32_e32 v87, s2, v122
	v_lshlrev_b32_e32 v87, 2, v87
	v_and_b32_e32 v127, 0x3030303, v88
	v_bfe_u32 v88, v88, 24, 2
	v_and_b32_e32 v87, 0x4040404, v87
	v_sub_u16_e32 v122, v127, v87
	v_sub_u16_sdwa v61, v127, v87 dst_sel:BYTE_1 dst_unused:UNUSED_PAD src0_sel:BYTE_1 src1_sel:BYTE_1
	v_sub_u16_sdwa v88, v88, v87 dst_sel:BYTE_1 dst_unused:UNUSED_PAD src0_sel:DWORD src1_sel:BYTE_3
	v_sub_u16_sdwa v87, v127, v87 dst_sel:DWORD dst_unused:UNUSED_PAD src0_sel:WORD_1 src1_sel:WORD_1
	v_or_b32_sdwa v61, v122, v61 dst_sel:DWORD dst_unused:UNUSED_PAD src0_sel:BYTE_0 src1_sel:DWORD
	v_or_b32_sdwa v87, v87, v88 dst_sel:WORD_1 dst_unused:UNUSED_PAD src0_sel:BYTE_0 src1_sel:DWORD
	v_or_b32_sdwa v61, v61, v87 dst_sel:DWORD dst_unused:UNUSED_PAD src0_sel:WORD_0 src1_sel:DWORD
	v_ashrrev_i32_e32 v87, s18, v89
	v_ashrrev_i32_e32 v89, s2, v123
	v_lshlrev_b32_e32 v89, 2, v89
	v_and_b32_e32 v88, 0x3030303, v87
	v_bfe_u32 v87, v87, 24, 2
	v_and_b32_e32 v89, 0x4040404, v89
	v_sub_u16_e32 v122, v88, v89
	v_sub_u16_sdwa v123, v88, v89 dst_sel:BYTE_1 dst_unused:UNUSED_PAD src0_sel:BYTE_1 src1_sel:BYTE_1
	v_sub_u16_sdwa v87, v87, v89 dst_sel:BYTE_1 dst_unused:UNUSED_PAD src0_sel:DWORD src1_sel:BYTE_3
	v_sub_u16_sdwa v88, v88, v89 dst_sel:DWORD dst_unused:UNUSED_PAD src0_sel:WORD_1 src1_sel:WORD_1
	v_or_b32_sdwa v87, v88, v87 dst_sel:WORD_1 dst_unused:UNUSED_PAD src0_sel:BYTE_0 src1_sel:DWORD
	v_add_u32_e32 v88, 0x6700, v79
	v_or_b32_sdwa v122, v122, v123 dst_sel:DWORD dst_unused:UNUSED_PAD src0_sel:BYTE_0 src1_sel:DWORD
	v_add_u32_e32 v88, s28, v88
	v_add3_u32 v89, s19, v104, v105
	v_or_b32_sdwa v87, v122, v87 dst_sel:DWORD dst_unused:UNUSED_PAD src0_sel:WORD_0 src1_sel:DWORD
	ds_read_b32 v122, v89
	v_dot4_i32_i8 v27, v61, v3, v27
	ds_read_u16 v61, v88 offset:2
	v_dot4_i32_i8 v27, v87, v4, v27
	s_waitcnt lgkmcnt(0)
	v_lshrrev_b16_e32 v87, 8, v61
	v_bfe_i32 v61, v61, 0, 8
	v_mul_lo_u32 v88, v26, v61
	v_bfe_i32 v87, v87, 0, 8
	v_mul_f32_e32 v26, v120, v122
	v_add3_u32 v61, s29, v106, v107
	v_mad_u64_u32 v[88:89], s[30:31], v27, v87, v[88:89]
	ds_read2_b32 v[124:125], v61 offset1:1
	ds_read2_b32 v[126:127], v61 offset0:4 offset1:5
	v_cvt_f32_i32_e32 v27, v88
	s_waitcnt lgkmcnt(1)
	v_ashrrev_i32_e32 v87, s2, v124
	v_fmac_f32_e32 v76, v26, v27
	v_add_u32_e32 v26, 0x2100, v121
	ds_read2_b32 v[122:123], v26 offset1:1
	v_lshlrev_b32_e32 v87, 2, v87
	v_and_b32_e32 v87, 0x4040404, v87
	s_waitcnt lgkmcnt(0)
	v_ashrrev_i32_e32 v26, s18, v122
	v_and_b32_e32 v27, 0x3030303, v26
	v_bfe_u32 v26, v26, 24, 2
	v_sub_u16_e32 v88, v27, v87
	v_sub_u16_sdwa v89, v27, v87 dst_sel:BYTE_1 dst_unused:UNUSED_PAD src0_sel:BYTE_1 src1_sel:BYTE_1
	v_sub_u16_sdwa v26, v26, v87 dst_sel:BYTE_1 dst_unused:UNUSED_PAD src0_sel:DWORD src1_sel:BYTE_3
	v_sub_u16_sdwa v27, v27, v87 dst_sel:DWORD dst_unused:UNUSED_PAD src0_sel:WORD_1 src1_sel:WORD_1
	v_or_b32_sdwa v88, v88, v89 dst_sel:DWORD dst_unused:UNUSED_PAD src0_sel:BYTE_0 src1_sel:DWORD
	v_or_b32_sdwa v26, v27, v26 dst_sel:WORD_1 dst_unused:UNUSED_PAD src0_sel:BYTE_0 src1_sel:DWORD
	v_ashrrev_i32_e32 v87, s2, v125
	v_or_b32_sdwa v89, v88, v26 dst_sel:DWORD dst_unused:UNUSED_PAD src0_sel:WORD_0 src1_sel:DWORD
	v_ashrrev_i32_e32 v26, s18, v123
	v_lshlrev_b32_e32 v87, 2, v87
	v_and_b32_e32 v27, 0x3030303, v26
	v_bfe_u32 v26, v26, 24, 2
	v_and_b32_e32 v87, 0x4040404, v87
	v_sub_u16_e32 v88, v27, v87
	v_sub_u16_sdwa v93, v27, v87 dst_sel:BYTE_1 dst_unused:UNUSED_PAD src0_sel:BYTE_1 src1_sel:BYTE_1
	v_sub_u16_sdwa v26, v26, v87 dst_sel:BYTE_1 dst_unused:UNUSED_PAD src0_sel:DWORD src1_sel:BYTE_3
	v_sub_u16_sdwa v27, v27, v87 dst_sel:DWORD dst_unused:UNUSED_PAD src0_sel:WORD_1 src1_sel:WORD_1
	v_or_b32_sdwa v88, v88, v93 dst_sel:DWORD dst_unused:UNUSED_PAD src0_sel:BYTE_0 src1_sel:DWORD
	v_or_b32_sdwa v26, v27, v26 dst_sel:WORD_1 dst_unused:UNUSED_PAD src0_sel:BYTE_0 src1_sel:DWORD
	v_or_b32_sdwa v93, v88, v26 dst_sel:DWORD dst_unused:UNUSED_PAD src0_sel:WORD_0 src1_sel:DWORD
	v_add_u32_e32 v26, 0x2108, v121
	ds_read2_b32 v[122:123], v26 offset1:1
	ds_read2_b32 v[124:125], v61 offset0:2 offset1:3
	s_waitcnt lgkmcnt(1)
	v_ashrrev_i32_e32 v26, s18, v122
	s_waitcnt lgkmcnt(0)
	v_ashrrev_i32_e32 v87, s2, v124
	v_lshlrev_b32_e32 v87, 2, v87
	v_and_b32_e32 v27, 0x3030303, v26
	v_bfe_u32 v26, v26, 24, 2
	v_and_b32_e32 v87, 0x4040404, v87
	v_sub_u16_e32 v88, v27, v87
	v_sub_u16_sdwa v122, v27, v87 dst_sel:BYTE_1 dst_unused:UNUSED_PAD src0_sel:BYTE_1 src1_sel:BYTE_1
	v_sub_u16_sdwa v26, v26, v87 dst_sel:BYTE_1 dst_unused:UNUSED_PAD src0_sel:DWORD src1_sel:BYTE_3
	v_sub_u16_sdwa v27, v27, v87 dst_sel:DWORD dst_unused:UNUSED_PAD src0_sel:WORD_1 src1_sel:WORD_1
	v_or_b32_sdwa v88, v88, v122 dst_sel:DWORD dst_unused:UNUSED_PAD src0_sel:BYTE_0 src1_sel:DWORD
	v_or_b32_sdwa v26, v27, v26 dst_sel:WORD_1 dst_unused:UNUSED_PAD src0_sel:BYTE_0 src1_sel:DWORD
	v_ashrrev_i32_e32 v87, s2, v125
	v_or_b32_sdwa v122, v88, v26 dst_sel:DWORD dst_unused:UNUSED_PAD src0_sel:WORD_0 src1_sel:DWORD
	v_ashrrev_i32_e32 v26, s18, v123
	v_lshlrev_b32_e32 v87, 2, v87
	v_and_b32_e32 v27, 0x3030303, v26
	v_bfe_u32 v26, v26, 24, 2
	v_and_b32_e32 v87, 0x4040404, v87
	v_sub_u16_e32 v88, v27, v87
	v_sub_u16_sdwa v123, v27, v87 dst_sel:BYTE_1 dst_unused:UNUSED_PAD src0_sel:BYTE_1 src1_sel:BYTE_1
	v_sub_u16_sdwa v26, v26, v87 dst_sel:BYTE_1 dst_unused:UNUSED_PAD src0_sel:DWORD src1_sel:BYTE_3
	v_sub_u16_sdwa v27, v27, v87 dst_sel:DWORD dst_unused:UNUSED_PAD src0_sel:WORD_1 src1_sel:WORD_1
	v_or_b32_sdwa v88, v88, v123 dst_sel:DWORD dst_unused:UNUSED_PAD src0_sel:BYTE_0 src1_sel:DWORD
	v_or_b32_sdwa v26, v27, v26 dst_sel:WORD_1 dst_unused:UNUSED_PAD src0_sel:BYTE_0 src1_sel:DWORD
	v_or_b32_sdwa v123, v88, v26 dst_sel:DWORD dst_unused:UNUSED_PAD src0_sel:WORD_0 src1_sel:DWORD
	v_add_u32_e32 v26, 0x2110, v121
	ds_read2_b32 v[124:125], v26 offset1:1
	v_ashrrev_i32_e32 v87, s2, v126
	v_lshlrev_b32_e32 v87, 2, v87
	v_and_b32_e32 v87, 0x4040404, v87
	s_waitcnt lgkmcnt(0)
	v_ashrrev_i32_e32 v26, s18, v124
	v_and_b32_e32 v27, 0x3030303, v26
	v_bfe_u32 v26, v26, 24, 2
	v_sub_u16_e32 v88, v27, v87
	v_sub_u16_sdwa v124, v27, v87 dst_sel:BYTE_1 dst_unused:UNUSED_PAD src0_sel:BYTE_1 src1_sel:BYTE_1
	v_sub_u16_sdwa v26, v26, v87 dst_sel:BYTE_1 dst_unused:UNUSED_PAD src0_sel:DWORD src1_sel:BYTE_3
	v_sub_u16_sdwa v27, v27, v87 dst_sel:DWORD dst_unused:UNUSED_PAD src0_sel:WORD_1 src1_sel:WORD_1
	v_or_b32_sdwa v88, v88, v124 dst_sel:DWORD dst_unused:UNUSED_PAD src0_sel:BYTE_0 src1_sel:DWORD
	v_or_b32_sdwa v26, v27, v26 dst_sel:WORD_1 dst_unused:UNUSED_PAD src0_sel:BYTE_0 src1_sel:DWORD
	v_ashrrev_i32_e32 v87, s2, v127
	v_or_b32_sdwa v124, v88, v26 dst_sel:DWORD dst_unused:UNUSED_PAD src0_sel:WORD_0 src1_sel:DWORD
	v_ashrrev_i32_e32 v26, s18, v125
	v_lshlrev_b32_e32 v87, 2, v87
	v_and_b32_e32 v27, 0x3030303, v26
	v_bfe_u32 v26, v26, 24, 2
	v_and_b32_e32 v87, 0x4040404, v87
	v_sub_u16_e32 v88, v27, v87
	v_sub_u16_sdwa v125, v27, v87 dst_sel:BYTE_1 dst_unused:UNUSED_PAD src0_sel:BYTE_1 src1_sel:BYTE_1
	v_sub_u16_sdwa v26, v26, v87 dst_sel:BYTE_1 dst_unused:UNUSED_PAD src0_sel:DWORD src1_sel:BYTE_3
	v_sub_u16_sdwa v27, v27, v87 dst_sel:DWORD dst_unused:UNUSED_PAD src0_sel:WORD_1 src1_sel:WORD_1
	v_or_b32_sdwa v88, v88, v125 dst_sel:DWORD dst_unused:UNUSED_PAD src0_sel:BYTE_0 src1_sel:DWORD
	v_or_b32_sdwa v26, v27, v26 dst_sel:WORD_1 dst_unused:UNUSED_PAD src0_sel:BYTE_0 src1_sel:DWORD
	v_or_b32_sdwa v125, v88, v26 dst_sel:DWORD dst_unused:UNUSED_PAD src0_sel:WORD_0 src1_sel:DWORD
	v_add_u32_e32 v26, 0x2118, v121
	ds_read2_b32 v[126:127], v26 offset1:1
	ds_read2_b32 v[87:88], v61 offset0:6 offset1:7
	s_waitcnt lgkmcnt(1)
	v_ashrrev_i32_e32 v26, s18, v126
	s_waitcnt lgkmcnt(0)
	v_ashrrev_i32_e32 v61, s2, v87
	v_lshlrev_b32_e32 v61, 2, v61
	v_and_b32_e32 v27, 0x3030303, v26
	v_bfe_u32 v26, v26, 24, 2
	v_and_b32_e32 v61, 0x4040404, v61
	v_sub_u16_e32 v87, v27, v61
	v_sub_u16_sdwa v126, v27, v61 dst_sel:BYTE_1 dst_unused:UNUSED_PAD src0_sel:BYTE_1 src1_sel:BYTE_1
	v_sub_u16_sdwa v26, v26, v61 dst_sel:BYTE_1 dst_unused:UNUSED_PAD src0_sel:DWORD src1_sel:BYTE_3
	v_sub_u16_sdwa v27, v27, v61 dst_sel:DWORD dst_unused:UNUSED_PAD src0_sel:WORD_1 src1_sel:WORD_1
	v_or_b32_sdwa v87, v87, v126 dst_sel:DWORD dst_unused:UNUSED_PAD src0_sel:BYTE_0 src1_sel:DWORD
	v_or_b32_sdwa v26, v27, v26 dst_sel:WORD_1 dst_unused:UNUSED_PAD src0_sel:BYTE_0 src1_sel:DWORD
	v_ashrrev_i32_e32 v61, s2, v88
	v_or_b32_sdwa v126, v87, v26 dst_sel:DWORD dst_unused:UNUSED_PAD src0_sel:WORD_0 src1_sel:DWORD
	v_ashrrev_i32_e32 v26, s18, v127
	v_lshlrev_b32_e32 v61, 2, v61
	v_and_b32_e32 v27, 0x3030303, v26
	v_bfe_u32 v26, v26, 24, 2
	v_and_b32_e32 v61, 0x4040404, v61
	v_sub_u16_e32 v87, v27, v61
	v_sub_u16_sdwa v88, v27, v61 dst_sel:BYTE_1 dst_unused:UNUSED_PAD src0_sel:BYTE_1 src1_sel:BYTE_1
	v_sub_u16_sdwa v26, v26, v61 dst_sel:BYTE_1 dst_unused:UNUSED_PAD src0_sel:DWORD src1_sel:BYTE_3
	v_sub_u16_sdwa v27, v27, v61 dst_sel:DWORD dst_unused:UNUSED_PAD src0_sel:WORD_1 src1_sel:WORD_1
	v_or_b32_sdwa v87, v87, v88 dst_sel:DWORD dst_unused:UNUSED_PAD src0_sel:BYTE_0 src1_sel:DWORD
	v_or_b32_sdwa v26, v27, v26 dst_sel:WORD_1 dst_unused:UNUSED_PAD src0_sel:BYTE_0 src1_sel:DWORD
	v_or_b32_sdwa v127, v87, v26 dst_sel:DWORD dst_unused:UNUSED_PAD src0_sel:WORD_0 src1_sel:DWORD
	v_add_u32_e32 v26, 0x6b00, v78
	v_add_u32_e32 v26, s28, v26
	v_add3_u32 v27, s19, v108, v109
	ds_read_b32 v27, v27
	ds_read_u16 v26, v26 offset:2
	v_dot4_i32_i8 v61, v89, v5, 0
	v_dot4_i32_i8 v87, v124, v1, 0
	;; [unrolled: 1-line block ×8, first 2 shown]
	s_waitcnt lgkmcnt(0)
	v_lshrrev_b16_e32 v87, 8, v26
	v_bfe_i32 v26, v26, 0, 8
	v_bfe_i32 v89, v87, 0, 8
	v_mul_lo_u32 v87, v61, v26
	v_mul_f32_e32 v26, v120, v27
	v_add3_u32 v61, s29, v110, v111
	ds_read2_b32 v[122:123], v61 offset1:1
	v_mad_u64_u32 v[87:88], s[30:31], v88, v89, v[87:88]
	ds_read2_b32 v[124:125], v61 offset0:2 offset1:3
	ds_read2_b32 v[126:127], v61 offset0:4 offset1:5
	v_cvt_f32_i32_e32 v27, v87
	v_fmac_f32_e32 v75, v26, v27
	v_add_u32_e32 v26, 0x3180, v121
	ds_read2_b32 v[87:88], v26 offset1:1
	s_waitcnt lgkmcnt(0)
	v_ashrrev_i32_e32 v26, s18, v87
	v_ashrrev_i32_e32 v87, s2, v122
	v_lshlrev_b32_e32 v87, 2, v87
	v_and_b32_e32 v27, 0x3030303, v26
	v_bfe_u32 v26, v26, 24, 2
	v_and_b32_e32 v87, 0x4040404, v87
	v_sub_u16_e32 v89, v27, v87
	v_sub_u16_sdwa v93, v27, v87 dst_sel:BYTE_1 dst_unused:UNUSED_PAD src0_sel:BYTE_1 src1_sel:BYTE_1
	v_sub_u16_sdwa v26, v26, v87 dst_sel:BYTE_1 dst_unused:UNUSED_PAD src0_sel:DWORD src1_sel:BYTE_3
	v_sub_u16_sdwa v27, v27, v87 dst_sel:DWORD dst_unused:UNUSED_PAD src0_sel:WORD_1 src1_sel:WORD_1
	v_or_b32_sdwa v89, v89, v93 dst_sel:DWORD dst_unused:UNUSED_PAD src0_sel:BYTE_0 src1_sel:DWORD
	v_or_b32_sdwa v26, v27, v26 dst_sel:WORD_1 dst_unused:UNUSED_PAD src0_sel:BYTE_0 src1_sel:DWORD
	v_ashrrev_i32_e32 v87, s2, v123
	v_or_b32_sdwa v122, v89, v26 dst_sel:DWORD dst_unused:UNUSED_PAD src0_sel:WORD_0 src1_sel:DWORD
	v_ashrrev_i32_e32 v26, s18, v88
	v_lshlrev_b32_e32 v87, 2, v87
	v_and_b32_e32 v27, 0x3030303, v26
	v_bfe_u32 v26, v26, 24, 2
	v_and_b32_e32 v87, 0x4040404, v87
	v_sub_u16_e32 v88, v27, v87
	v_sub_u16_sdwa v89, v27, v87 dst_sel:BYTE_1 dst_unused:UNUSED_PAD src0_sel:BYTE_1 src1_sel:BYTE_1
	v_sub_u16_sdwa v26, v26, v87 dst_sel:BYTE_1 dst_unused:UNUSED_PAD src0_sel:DWORD src1_sel:BYTE_3
	v_sub_u16_sdwa v27, v27, v87 dst_sel:DWORD dst_unused:UNUSED_PAD src0_sel:WORD_1 src1_sel:WORD_1
	v_or_b32_sdwa v88, v88, v89 dst_sel:DWORD dst_unused:UNUSED_PAD src0_sel:BYTE_0 src1_sel:DWORD
	v_or_b32_sdwa v26, v27, v26 dst_sel:WORD_1 dst_unused:UNUSED_PAD src0_sel:BYTE_0 src1_sel:DWORD
	v_or_b32_sdwa v123, v88, v26 dst_sel:DWORD dst_unused:UNUSED_PAD src0_sel:WORD_0 src1_sel:DWORD
	v_add_u32_e32 v26, 0x3188, v121
	ds_read2_b32 v[87:88], v26 offset1:1
	v_dot4_i32_i8 v5, v122, v5, 0
	v_dot4_i32_i8 v5, v123, v6, v5
	s_waitcnt lgkmcnt(0)
	v_ashrrev_i32_e32 v26, s18, v87
	v_ashrrev_i32_e32 v87, s2, v124
	v_lshlrev_b32_e32 v87, 2, v87
	v_and_b32_e32 v27, 0x3030303, v26
	v_bfe_u32 v26, v26, 24, 2
	v_and_b32_e32 v87, 0x4040404, v87
	v_sub_u16_e32 v89, v27, v87
	v_sub_u16_sdwa v93, v27, v87 dst_sel:BYTE_1 dst_unused:UNUSED_PAD src0_sel:BYTE_1 src1_sel:BYTE_1
	v_sub_u16_sdwa v26, v26, v87 dst_sel:BYTE_1 dst_unused:UNUSED_PAD src0_sel:DWORD src1_sel:BYTE_3
	v_sub_u16_sdwa v27, v27, v87 dst_sel:DWORD dst_unused:UNUSED_PAD src0_sel:WORD_1 src1_sel:WORD_1
	v_or_b32_sdwa v89, v89, v93 dst_sel:DWORD dst_unused:UNUSED_PAD src0_sel:BYTE_0 src1_sel:DWORD
	v_or_b32_sdwa v26, v27, v26 dst_sel:WORD_1 dst_unused:UNUSED_PAD src0_sel:BYTE_0 src1_sel:DWORD
	v_ashrrev_i32_e32 v87, s2, v125
	v_or_b32_sdwa v124, v89, v26 dst_sel:DWORD dst_unused:UNUSED_PAD src0_sel:WORD_0 src1_sel:DWORD
	v_ashrrev_i32_e32 v26, s18, v88
	v_lshlrev_b32_e32 v87, 2, v87
	v_and_b32_e32 v27, 0x3030303, v26
	v_bfe_u32 v26, v26, 24, 2
	v_and_b32_e32 v87, 0x4040404, v87
	v_sub_u16_e32 v88, v27, v87
	v_sub_u16_sdwa v89, v27, v87 dst_sel:BYTE_1 dst_unused:UNUSED_PAD src0_sel:BYTE_1 src1_sel:BYTE_1
	v_sub_u16_sdwa v26, v26, v87 dst_sel:BYTE_1 dst_unused:UNUSED_PAD src0_sel:DWORD src1_sel:BYTE_3
	v_sub_u16_sdwa v27, v27, v87 dst_sel:DWORD dst_unused:UNUSED_PAD src0_sel:WORD_1 src1_sel:WORD_1
	v_or_b32_sdwa v88, v88, v89 dst_sel:DWORD dst_unused:UNUSED_PAD src0_sel:BYTE_0 src1_sel:DWORD
	v_or_b32_sdwa v26, v27, v26 dst_sel:WORD_1 dst_unused:UNUSED_PAD src0_sel:BYTE_0 src1_sel:DWORD
	v_or_b32_sdwa v125, v88, v26 dst_sel:DWORD dst_unused:UNUSED_PAD src0_sel:WORD_0 src1_sel:DWORD
	v_add_u32_e32 v26, 0x3190, v121
	ds_read2_b32 v[87:88], v26 offset1:1
	v_dot4_i32_i8 v5, v124, v7, v5
	v_dot4_i32_i8 v5, v125, v8, v5
	;; [unrolled: 31-line block ×3, first 2 shown]
	s_waitcnt lgkmcnt(0)
	v_ashrrev_i32_e32 v26, s18, v87
	v_and_b32_e32 v87, 0x3030303, v26
	v_bfe_u32 v89, v26, 24, 2
	ds_read2_b32 v[26:27], v61 offset0:6 offset1:7
	s_waitcnt lgkmcnt(0)
	v_ashrrev_i32_e32 v26, s2, v26
	v_lshlrev_b32_e32 v26, 2, v26
	v_and_b32_e32 v26, 0x4040404, v26
	v_sub_u16_e32 v61, v87, v26
	v_sub_u16_sdwa v93, v87, v26 dst_sel:BYTE_1 dst_unused:UNUSED_PAD src0_sel:BYTE_1 src1_sel:BYTE_1
	v_sub_u16_sdwa v89, v89, v26 dst_sel:BYTE_1 dst_unused:UNUSED_PAD src0_sel:DWORD src1_sel:BYTE_3
	v_sub_u16_sdwa v26, v87, v26 dst_sel:DWORD dst_unused:UNUSED_PAD src0_sel:WORD_1 src1_sel:WORD_1
	v_or_b32_sdwa v61, v61, v93 dst_sel:DWORD dst_unused:UNUSED_PAD src0_sel:BYTE_0 src1_sel:DWORD
	v_or_b32_sdwa v26, v26, v89 dst_sel:WORD_1 dst_unused:UNUSED_PAD src0_sel:BYTE_0 src1_sel:DWORD
	v_ashrrev_i32_e32 v27, s2, v27
	v_or_b32_sdwa v121, v61, v26 dst_sel:DWORD dst_unused:UNUSED_PAD src0_sel:WORD_0 src1_sel:DWORD
	v_ashrrev_i32_e32 v26, s18, v88
	v_lshlrev_b32_e32 v27, 2, v27
	v_and_b32_e32 v61, 0x3030303, v26
	v_bfe_u32 v26, v26, 24, 2
	v_and_b32_e32 v27, 0x4040404, v27
	v_sub_u16_e32 v87, v61, v27
	v_sub_u16_sdwa v88, v61, v27 dst_sel:BYTE_1 dst_unused:UNUSED_PAD src0_sel:BYTE_1 src1_sel:BYTE_1
	v_sub_u16_sdwa v26, v26, v27 dst_sel:BYTE_1 dst_unused:UNUSED_PAD src0_sel:DWORD src1_sel:BYTE_3
	v_sub_u16_sdwa v27, v61, v27 dst_sel:DWORD dst_unused:UNUSED_PAD src0_sel:WORD_1 src1_sel:WORD_1
	v_or_b32_sdwa v87, v87, v88 dst_sel:DWORD dst_unused:UNUSED_PAD src0_sel:BYTE_0 src1_sel:DWORD
	v_or_b32_sdwa v26, v27, v26 dst_sel:WORD_1 dst_unused:UNUSED_PAD src0_sel:BYTE_0 src1_sel:DWORD
	v_add_u32_e32 v89, 0x6f00, v77
	v_or_b32_sdwa v93, v87, v26 dst_sel:DWORD dst_unused:UNUSED_PAD src0_sel:WORD_0 src1_sel:DWORD
	v_add_u32_e32 v88, s28, v89
	v_add3_u32 v26, s19, v112, v113
	v_dot4_i32_i8 v1, v121, v3, v1
	ds_read_b32 v89, v26
	v_dot4_i32_i8 v2, v93, v4, v1
	ds_read_u16 v1, v88 offset:2
	s_add_i32 s2, s2, 1
	s_cmp_lt_u32 s18, 6
	s_mov_b32 s19, s18
	s_waitcnt lgkmcnt(0)
	v_lshrrev_b16_e32 v3, 8, v1
	v_bfe_i32 v1, v1, 0, 8
	v_mul_lo_u32 v1, v5, v1
	v_bfe_i32 v3, v3, 0, 8
	v_mad_u64_u32 v[1:2], s[28:29], v2, v3, v[1:2]
	v_mul_f32_e32 v2, v120, v89
	v_cvt_f32_i32_e32 v1, v1
	v_fmac_f32_e32 v25, v2, v1
	s_cbranch_scc1 .LBB190_11
; %bb.12:                               ;   in Loop: Header=BB190_5 Depth=1
	s_or_b32 s2, s26, 0x80
	s_cmp_ge_i32 s2, s9
	s_barrier
	s_cbranch_scc1 .LBB190_4
; %bb.13:                               ;   in Loop: Header=BB190_5 Depth=1
	v_add_u32_e32 v1, s27, v28
	v_cmp_gt_i32_e64 s[2:3], s12, v1
	s_and_b64 s[18:19], s[0:1], s[2:3]
	s_and_saveexec_b64 s[2:3], s[18:19]
	s_cbranch_execz .LBB190_15
; %bb.14:                               ;   in Loop: Header=BB190_5 Depth=1
	buffer_load_dword v2, off, s[36:39], 0  ; 4-byte Folded Reload
	buffer_load_dword v3, off, s[36:39], 0 offset:4 ; 4-byte Folded Reload
	v_add_u32_e32 v1, v90, v1
	s_waitcnt vmcnt(0)
	v_mad_i64_i32 v[1:2], s[18:19], v1, 36, v[2:3]
	global_load_dword v1, v[1:2], off offset:4
	s_waitcnt vmcnt(0)
	ds_write_b32 v72, v1
.LBB190_15:                             ;   in Loop: Header=BB190_5 Depth=1
	s_or_b64 exec, exec, s[2:3]
	s_and_saveexec_b64 s[18:19], vcc
	s_cbranch_execz .LBB190_18
; %bb.16:                               ;   in Loop: Header=BB190_5 Depth=1
	v_or_b32_e32 v1, 4, v117
	v_cmp_gt_i32_e64 s[2:3], s12, v1
	s_and_b64 s[2:3], s[0:1], s[2:3]
	s_and_b64 exec, exec, s[2:3]
	s_cbranch_execz .LBB190_18
; %bb.17:                               ;   in Loop: Header=BB190_5 Depth=1
	v_ashrrev_i32_e32 v1, 31, v117
	v_add_co_u32_e64 v2, s[2:3], v90, v117
	v_ashrrev_i32_e32 v3, 31, v90
	v_addc_co_u32_e64 v3, s[2:3], v3, v1, s[2:3]
	v_mad_u64_u32 v[1:2], s[2:3], v2, 36, s[6:7]
	v_mad_i32_i24 v2, v3, 36, v2
	global_load_dword v1, v[1:2], off offset:144
	s_waitcnt vmcnt(0)
	v_cvt_f32_f16_e32 v1, v1
	ds_write_b32 v74, v1
.LBB190_18:                             ;   in Loop: Header=BB190_5 Depth=1
	s_or_b64 exec, exec, s[18:19]
	s_mov_b32 s2, 8
	s_mov_b32 s19, 6
	;; [unrolled: 1-line block ×3, first 2 shown]
	v_mov_b32_e32 v118, v71
	v_mov_b32_e32 v119, v73
	s_waitcnt lgkmcnt(0)
	s_barrier
.LBB190_19:                             ;   Parent Loop BB190_5 Depth=1
                                        ; =>  This Inner Loop Header: Depth=2
	s_add_i32 s18, s19, 2
	s_lshr_b32 s31, s18, 4
	s_and_b32 s30, s18, 0x3ffffff8
	v_lshl_add_u32 v121, s30, 2, v91
	s_lshl_b32 s30, s31, 5
	s_addk_i32 s30, 0x4200
	v_add3_u32 v126, s30, v114, v101
	ds_read_b32 v120, v119
	ds_read_b128 v[5:8], v118
	ds_read_b128 v[1:4], v118 offset:16
	ds_read2_b32 v[26:27], v121 offset1:1
	ds_read2_b32 v[87:88], v126 offset1:1
	s_add_i32 s29, s19, -6
	s_and_b32 s28, s2, -16
	s_add_i32 s28, s19, s28
	s_waitcnt lgkmcnt(1)
	v_ashrrev_i32_e32 v26, s29, v26
	s_waitcnt lgkmcnt(0)
	v_ashrrev_i32_e32 v87, s3, v87
	v_lshlrev_b32_e32 v87, 2, v87
	v_and_b32_e32 v61, 0x3030303, v26
	v_bfe_u32 v26, v26, 24, 2
	v_and_b32_e32 v87, 0x4040404, v87
	v_sub_u16_e32 v89, v61, v87
	v_sub_u16_sdwa v93, v61, v87 dst_sel:BYTE_1 dst_unused:UNUSED_PAD src0_sel:BYTE_1 src1_sel:BYTE_1
	v_sub_u16_sdwa v26, v26, v87 dst_sel:BYTE_1 dst_unused:UNUSED_PAD src0_sel:DWORD src1_sel:BYTE_3
	v_sub_u16_sdwa v61, v61, v87 dst_sel:DWORD dst_unused:UNUSED_PAD src0_sel:WORD_1 src1_sel:WORD_1
	v_or_b32_sdwa v89, v89, v93 dst_sel:DWORD dst_unused:UNUSED_PAD src0_sel:BYTE_0 src1_sel:DWORD
	v_or_b32_sdwa v26, v61, v26 dst_sel:WORD_1 dst_unused:UNUSED_PAD src0_sel:BYTE_0 src1_sel:DWORD
	v_ashrrev_i32_e32 v61, s3, v88
	v_or_b32_sdwa v93, v89, v26 dst_sel:DWORD dst_unused:UNUSED_PAD src0_sel:WORD_0 src1_sel:DWORD
	v_ashrrev_i32_e32 v26, s29, v27
	v_lshlrev_b32_e32 v61, 2, v61
	v_and_b32_e32 v27, 0x3030303, v26
	v_bfe_u32 v26, v26, 24, 2
	v_and_b32_e32 v61, 0x4040404, v61
	v_sub_u16_e32 v87, v27, v61
	v_sub_u16_sdwa v88, v27, v61 dst_sel:BYTE_1 dst_unused:UNUSED_PAD src0_sel:BYTE_1 src1_sel:BYTE_1
	v_sub_u16_sdwa v26, v26, v61 dst_sel:BYTE_1 dst_unused:UNUSED_PAD src0_sel:DWORD src1_sel:BYTE_3
	v_sub_u16_sdwa v27, v27, v61 dst_sel:DWORD dst_unused:UNUSED_PAD src0_sel:WORD_1 src1_sel:WORD_1
	v_or_b32_sdwa v87, v87, v88 dst_sel:DWORD dst_unused:UNUSED_PAD src0_sel:BYTE_0 src1_sel:DWORD
	v_or_b32_sdwa v26, v27, v26 dst_sel:WORD_1 dst_unused:UNUSED_PAD src0_sel:BYTE_0 src1_sel:DWORD
	v_or_b32_sdwa v122, v87, v26 dst_sel:DWORD dst_unused:UNUSED_PAD src0_sel:WORD_0 src1_sel:DWORD
	ds_read2_b32 v[26:27], v121 offset0:2 offset1:3
	ds_read2_b32 v[87:88], v126 offset0:2 offset1:3
	s_lshl_b32 s19, s31, 2
	s_addk_i32 s19, 0x7380
	s_add_i32 s2, s2, 2
	s_waitcnt lgkmcnt(1)
	v_ashrrev_i32_e32 v26, s29, v26
	s_waitcnt lgkmcnt(0)
	v_ashrrev_i32_e32 v87, s3, v87
	v_lshlrev_b32_e32 v87, 2, v87
	v_and_b32_e32 v61, 0x3030303, v26
	v_bfe_u32 v26, v26, 24, 2
	v_and_b32_e32 v87, 0x4040404, v87
	v_sub_u16_e32 v89, v61, v87
	v_sub_u16_sdwa v123, v61, v87 dst_sel:BYTE_1 dst_unused:UNUSED_PAD src0_sel:BYTE_1 src1_sel:BYTE_1
	v_sub_u16_sdwa v26, v26, v87 dst_sel:BYTE_1 dst_unused:UNUSED_PAD src0_sel:DWORD src1_sel:BYTE_3
	v_sub_u16_sdwa v61, v61, v87 dst_sel:DWORD dst_unused:UNUSED_PAD src0_sel:WORD_1 src1_sel:WORD_1
	v_or_b32_sdwa v89, v89, v123 dst_sel:DWORD dst_unused:UNUSED_PAD src0_sel:BYTE_0 src1_sel:DWORD
	v_or_b32_sdwa v26, v61, v26 dst_sel:WORD_1 dst_unused:UNUSED_PAD src0_sel:BYTE_0 src1_sel:DWORD
	v_ashrrev_i32_e32 v61, s3, v88
	v_or_b32_sdwa v123, v89, v26 dst_sel:DWORD dst_unused:UNUSED_PAD src0_sel:WORD_0 src1_sel:DWORD
	v_ashrrev_i32_e32 v26, s29, v27
	v_lshlrev_b32_e32 v61, 2, v61
	v_and_b32_e32 v27, 0x3030303, v26
	v_bfe_u32 v26, v26, 24, 2
	v_and_b32_e32 v61, 0x4040404, v61
	v_sub_u16_e32 v87, v27, v61
	v_sub_u16_sdwa v88, v27, v61 dst_sel:BYTE_1 dst_unused:UNUSED_PAD src0_sel:BYTE_1 src1_sel:BYTE_1
	v_sub_u16_sdwa v26, v26, v61 dst_sel:BYTE_1 dst_unused:UNUSED_PAD src0_sel:DWORD src1_sel:BYTE_3
	v_sub_u16_sdwa v27, v27, v61 dst_sel:DWORD dst_unused:UNUSED_PAD src0_sel:WORD_1 src1_sel:WORD_1
	v_or_b32_sdwa v87, v87, v88 dst_sel:DWORD dst_unused:UNUSED_PAD src0_sel:BYTE_0 src1_sel:DWORD
	v_or_b32_sdwa v26, v27, v26 dst_sel:WORD_1 dst_unused:UNUSED_PAD src0_sel:BYTE_0 src1_sel:DWORD
	v_or_b32_sdwa v89, v87, v26 dst_sel:DWORD dst_unused:UNUSED_PAD src0_sel:WORD_0 src1_sel:DWORD
	ds_read2_b32 v[26:27], v121 offset0:4 offset1:5
	ds_read2_b32 v[87:88], v126 offset0:4 offset1:5
	v_add_u32_e32 v119, 4, v119
	v_add_u32_e32 v118, 32, v118
	s_waitcnt lgkmcnt(1)
	v_ashrrev_i32_e32 v26, s29, v26
	s_waitcnt lgkmcnt(0)
	v_ashrrev_i32_e32 v87, s3, v87
	v_lshlrev_b32_e32 v87, 2, v87
	v_and_b32_e32 v61, 0x3030303, v26
	v_bfe_u32 v26, v26, 24, 2
	v_and_b32_e32 v87, 0x4040404, v87
	v_sub_u16_e32 v124, v61, v87
	v_sub_u16_sdwa v125, v61, v87 dst_sel:BYTE_1 dst_unused:UNUSED_PAD src0_sel:BYTE_1 src1_sel:BYTE_1
	v_sub_u16_sdwa v26, v26, v87 dst_sel:BYTE_1 dst_unused:UNUSED_PAD src0_sel:DWORD src1_sel:BYTE_3
	v_sub_u16_sdwa v61, v61, v87 dst_sel:DWORD dst_unused:UNUSED_PAD src0_sel:WORD_1 src1_sel:WORD_1
	v_or_b32_sdwa v124, v124, v125 dst_sel:DWORD dst_unused:UNUSED_PAD src0_sel:BYTE_0 src1_sel:DWORD
	v_or_b32_sdwa v26, v61, v26 dst_sel:WORD_1 dst_unused:UNUSED_PAD src0_sel:BYTE_0 src1_sel:DWORD
	v_ashrrev_i32_e32 v61, s3, v88
	v_or_b32_sdwa v124, v124, v26 dst_sel:DWORD dst_unused:UNUSED_PAD src0_sel:WORD_0 src1_sel:DWORD
	v_ashrrev_i32_e32 v26, s29, v27
	v_lshlrev_b32_e32 v61, 2, v61
	v_and_b32_e32 v27, 0x3030303, v26
	v_bfe_u32 v26, v26, 24, 2
	v_and_b32_e32 v61, 0x4040404, v61
	v_sub_u16_e32 v87, v27, v61
	v_sub_u16_sdwa v88, v27, v61 dst_sel:BYTE_1 dst_unused:UNUSED_PAD src0_sel:BYTE_1 src1_sel:BYTE_1
	v_sub_u16_sdwa v26, v26, v61 dst_sel:BYTE_1 dst_unused:UNUSED_PAD src0_sel:DWORD src1_sel:BYTE_3
	v_sub_u16_sdwa v27, v27, v61 dst_sel:DWORD dst_unused:UNUSED_PAD src0_sel:WORD_1 src1_sel:WORD_1
	v_or_b32_sdwa v87, v87, v88 dst_sel:DWORD dst_unused:UNUSED_PAD src0_sel:BYTE_0 src1_sel:DWORD
	v_or_b32_sdwa v26, v27, v26 dst_sel:WORD_1 dst_unused:UNUSED_PAD src0_sel:BYTE_0 src1_sel:DWORD
	v_or_b32_sdwa v125, v87, v26 dst_sel:DWORD dst_unused:UNUSED_PAD src0_sel:WORD_0 src1_sel:DWORD
	ds_read2_b32 v[26:27], v121 offset0:6 offset1:7
	ds_read2_b32 v[87:88], v126 offset0:6 offset1:7
	s_waitcnt lgkmcnt(1)
	v_ashrrev_i32_e32 v26, s29, v26
	s_waitcnt lgkmcnt(0)
	v_ashrrev_i32_e32 v87, s3, v87
	v_lshlrev_b32_e32 v87, 2, v87
	v_and_b32_e32 v61, 0x3030303, v26
	v_bfe_u32 v26, v26, 24, 2
	v_and_b32_e32 v87, 0x4040404, v87
	v_sub_u16_e32 v126, v61, v87
	v_sub_u16_sdwa v127, v61, v87 dst_sel:BYTE_1 dst_unused:UNUSED_PAD src0_sel:BYTE_1 src1_sel:BYTE_1
	v_sub_u16_sdwa v26, v26, v87 dst_sel:BYTE_1 dst_unused:UNUSED_PAD src0_sel:DWORD src1_sel:BYTE_3
	v_sub_u16_sdwa v61, v61, v87 dst_sel:DWORD dst_unused:UNUSED_PAD src0_sel:WORD_1 src1_sel:WORD_1
	v_or_b32_sdwa v126, v126, v127 dst_sel:DWORD dst_unused:UNUSED_PAD src0_sel:BYTE_0 src1_sel:DWORD
	v_or_b32_sdwa v26, v61, v26 dst_sel:WORD_1 dst_unused:UNUSED_PAD src0_sel:BYTE_0 src1_sel:DWORD
	v_ashrrev_i32_e32 v61, s3, v88
	v_or_b32_sdwa v126, v126, v26 dst_sel:DWORD dst_unused:UNUSED_PAD src0_sel:WORD_0 src1_sel:DWORD
	v_ashrrev_i32_e32 v26, s29, v27
	v_lshlrev_b32_e32 v61, 2, v61
	v_and_b32_e32 v27, 0x3030303, v26
	v_bfe_u32 v26, v26, 24, 2
	v_and_b32_e32 v61, 0x4040404, v61
	v_sub_u16_e32 v87, v27, v61
	v_sub_u16_sdwa v88, v27, v61 dst_sel:BYTE_1 dst_unused:UNUSED_PAD src0_sel:BYTE_1 src1_sel:BYTE_1
	v_sub_u16_sdwa v26, v26, v61 dst_sel:BYTE_1 dst_unused:UNUSED_PAD src0_sel:DWORD src1_sel:BYTE_3
	v_sub_u16_sdwa v27, v27, v61 dst_sel:DWORD dst_unused:UNUSED_PAD src0_sel:WORD_1 src1_sel:WORD_1
	v_or_b32_sdwa v87, v87, v88 dst_sel:DWORD dst_unused:UNUSED_PAD src0_sel:BYTE_0 src1_sel:DWORD
	v_or_b32_sdwa v26, v27, v26 dst_sel:WORD_1 dst_unused:UNUSED_PAD src0_sel:BYTE_0 src1_sel:DWORD
	v_or_b32_sdwa v127, v87, v26 dst_sel:DWORD dst_unused:UNUSED_PAD src0_sel:WORD_0 src1_sel:DWORD
	v_add_u32_e32 v26, s28, v80
	v_add3_u32 v27, s19, v115, v116
	ds_read_b32 v61, v27
	ds_read_u16 v26, v26 offset:25346
	v_dot4_i32_i8 v27, v93, v5, 0
	v_dot4_i32_i8 v27, v122, v6, v27
	;; [unrolled: 1-line block ×4, first 2 shown]
	s_waitcnt lgkmcnt(0)
	v_lshrrev_b16_e32 v88, 8, v26
	v_bfe_i32 v26, v26, 0, 8
	v_dot4_i32_i8 v87, v124, v1, 0
	v_mul_lo_u32 v26, v27, v26
	v_dot4_i32_i8 v87, v125, v2, v87
	v_dot4_i32_i8 v87, v126, v3, v87
	;; [unrolled: 1-line block ×3, first 2 shown]
	v_bfe_i32 v88, v88, 0, 8
                                        ; kill: def $vgpr27 killed $sgpr0 killed $exec
	v_add3_u32 v126, s30, v102, v103
	v_mad_u64_u32 v[26:27], s[34:35], v87, v88, v[26:27]
	v_mul_f32_e32 v27, v120, v61
	ds_read2_b32 v[87:88], v126 offset1:1
	v_cvt_f32_i32_e32 v26, v26
	v_fmac_f32_e32 v29, v27, v26
	v_add_u32_e32 v26, 0x1080, v121
	ds_read2_b32 v[26:27], v26 offset1:1
	s_waitcnt lgkmcnt(1)
	v_ashrrev_i32_e32 v87, s3, v87
	v_lshlrev_b32_e32 v87, 2, v87
	v_and_b32_e32 v87, 0x4040404, v87
	s_waitcnt lgkmcnt(0)
	v_ashrrev_i32_e32 v26, s29, v26
	v_and_b32_e32 v61, 0x3030303, v26
	v_bfe_u32 v26, v26, 24, 2
	v_sub_u16_e32 v89, v61, v87
	v_sub_u16_sdwa v93, v61, v87 dst_sel:BYTE_1 dst_unused:UNUSED_PAD src0_sel:BYTE_1 src1_sel:BYTE_1
	v_sub_u16_sdwa v26, v26, v87 dst_sel:BYTE_1 dst_unused:UNUSED_PAD src0_sel:DWORD src1_sel:BYTE_3
	v_sub_u16_sdwa v61, v61, v87 dst_sel:DWORD dst_unused:UNUSED_PAD src0_sel:WORD_1 src1_sel:WORD_1
	v_or_b32_sdwa v89, v89, v93 dst_sel:DWORD dst_unused:UNUSED_PAD src0_sel:BYTE_0 src1_sel:DWORD
	v_or_b32_sdwa v26, v61, v26 dst_sel:WORD_1 dst_unused:UNUSED_PAD src0_sel:BYTE_0 src1_sel:DWORD
	v_ashrrev_i32_e32 v61, s3, v88
	v_or_b32_sdwa v89, v89, v26 dst_sel:DWORD dst_unused:UNUSED_PAD src0_sel:WORD_0 src1_sel:DWORD
	v_ashrrev_i32_e32 v26, s29, v27
	v_lshlrev_b32_e32 v61, 2, v61
	v_and_b32_e32 v27, 0x3030303, v26
	v_bfe_u32 v26, v26, 24, 2
	v_and_b32_e32 v61, 0x4040404, v61
	v_sub_u16_e32 v87, v27, v61
	v_sub_u16_sdwa v88, v27, v61 dst_sel:BYTE_1 dst_unused:UNUSED_PAD src0_sel:BYTE_1 src1_sel:BYTE_1
	v_sub_u16_sdwa v26, v26, v61 dst_sel:BYTE_1 dst_unused:UNUSED_PAD src0_sel:DWORD src1_sel:BYTE_3
	v_sub_u16_sdwa v27, v27, v61 dst_sel:DWORD dst_unused:UNUSED_PAD src0_sel:WORD_1 src1_sel:WORD_1
	v_or_b32_sdwa v87, v87, v88 dst_sel:DWORD dst_unused:UNUSED_PAD src0_sel:BYTE_0 src1_sel:DWORD
	v_or_b32_sdwa v26, v27, v26 dst_sel:WORD_1 dst_unused:UNUSED_PAD src0_sel:BYTE_0 src1_sel:DWORD
	v_or_b32_sdwa v93, v87, v26 dst_sel:DWORD dst_unused:UNUSED_PAD src0_sel:WORD_0 src1_sel:DWORD
	v_add_u32_e32 v26, 0x1088, v121
	ds_read2_b32 v[26:27], v26 offset1:1
	ds_read2_b32 v[87:88], v126 offset0:2 offset1:3
	s_waitcnt lgkmcnt(1)
	v_ashrrev_i32_e32 v26, s29, v26
	s_waitcnt lgkmcnt(0)
	v_ashrrev_i32_e32 v87, s3, v87
	v_lshlrev_b32_e32 v87, 2, v87
	v_and_b32_e32 v61, 0x3030303, v26
	v_bfe_u32 v26, v26, 24, 2
	v_and_b32_e32 v87, 0x4040404, v87
	v_sub_u16_e32 v122, v61, v87
	v_sub_u16_sdwa v123, v61, v87 dst_sel:BYTE_1 dst_unused:UNUSED_PAD src0_sel:BYTE_1 src1_sel:BYTE_1
	v_sub_u16_sdwa v26, v26, v87 dst_sel:BYTE_1 dst_unused:UNUSED_PAD src0_sel:DWORD src1_sel:BYTE_3
	v_sub_u16_sdwa v61, v61, v87 dst_sel:DWORD dst_unused:UNUSED_PAD src0_sel:WORD_1 src1_sel:WORD_1
	v_or_b32_sdwa v122, v122, v123 dst_sel:DWORD dst_unused:UNUSED_PAD src0_sel:BYTE_0 src1_sel:DWORD
	v_or_b32_sdwa v26, v61, v26 dst_sel:WORD_1 dst_unused:UNUSED_PAD src0_sel:BYTE_0 src1_sel:DWORD
	v_ashrrev_i32_e32 v61, s3, v88
	v_or_b32_sdwa v122, v122, v26 dst_sel:DWORD dst_unused:UNUSED_PAD src0_sel:WORD_0 src1_sel:DWORD
	v_ashrrev_i32_e32 v26, s29, v27
	v_lshlrev_b32_e32 v61, 2, v61
	v_and_b32_e32 v27, 0x3030303, v26
	v_bfe_u32 v26, v26, 24, 2
	v_and_b32_e32 v61, 0x4040404, v61
	v_sub_u16_e32 v87, v27, v61
	v_sub_u16_sdwa v88, v27, v61 dst_sel:BYTE_1 dst_unused:UNUSED_PAD src0_sel:BYTE_1 src1_sel:BYTE_1
	v_sub_u16_sdwa v26, v26, v61 dst_sel:BYTE_1 dst_unused:UNUSED_PAD src0_sel:DWORD src1_sel:BYTE_3
	v_sub_u16_sdwa v27, v27, v61 dst_sel:DWORD dst_unused:UNUSED_PAD src0_sel:WORD_1 src1_sel:WORD_1
	v_or_b32_sdwa v87, v87, v88 dst_sel:DWORD dst_unused:UNUSED_PAD src0_sel:BYTE_0 src1_sel:DWORD
	v_or_b32_sdwa v26, v27, v26 dst_sel:WORD_1 dst_unused:UNUSED_PAD src0_sel:BYTE_0 src1_sel:DWORD
	v_or_b32_sdwa v123, v87, v26 dst_sel:DWORD dst_unused:UNUSED_PAD src0_sel:WORD_0 src1_sel:DWORD
	v_add_u32_e32 v26, 0x1090, v121
	ds_read2_b32 v[26:27], v26 offset1:1
	ds_read2_b32 v[87:88], v126 offset0:4 offset1:5
	s_waitcnt lgkmcnt(1)
	v_ashrrev_i32_e32 v26, s29, v26
	s_waitcnt lgkmcnt(0)
	v_ashrrev_i32_e32 v87, s3, v87
	v_lshlrev_b32_e32 v87, 2, v87
	v_and_b32_e32 v61, 0x3030303, v26
	v_bfe_u32 v26, v26, 24, 2
	v_and_b32_e32 v87, 0x4040404, v87
	;; [unrolled: 31-line block ×3, first 2 shown]
	v_sub_u16_e32 v126, v61, v87
	v_sub_u16_sdwa v127, v61, v87 dst_sel:BYTE_1 dst_unused:UNUSED_PAD src0_sel:BYTE_1 src1_sel:BYTE_1
	v_sub_u16_sdwa v26, v26, v87 dst_sel:BYTE_1 dst_unused:UNUSED_PAD src0_sel:DWORD src1_sel:BYTE_3
	v_sub_u16_sdwa v61, v61, v87 dst_sel:DWORD dst_unused:UNUSED_PAD src0_sel:WORD_1 src1_sel:WORD_1
	v_or_b32_sdwa v126, v126, v127 dst_sel:DWORD dst_unused:UNUSED_PAD src0_sel:BYTE_0 src1_sel:DWORD
	v_or_b32_sdwa v26, v61, v26 dst_sel:WORD_1 dst_unused:UNUSED_PAD src0_sel:BYTE_0 src1_sel:DWORD
	v_ashrrev_i32_e32 v61, s3, v88
	v_or_b32_sdwa v126, v126, v26 dst_sel:DWORD dst_unused:UNUSED_PAD src0_sel:WORD_0 src1_sel:DWORD
	v_ashrrev_i32_e32 v26, s29, v27
	v_lshlrev_b32_e32 v61, 2, v61
	v_and_b32_e32 v27, 0x3030303, v26
	v_bfe_u32 v26, v26, 24, 2
	v_and_b32_e32 v61, 0x4040404, v61
	v_sub_u16_e32 v87, v27, v61
	v_sub_u16_sdwa v88, v27, v61 dst_sel:BYTE_1 dst_unused:UNUSED_PAD src0_sel:BYTE_1 src1_sel:BYTE_1
	v_sub_u16_sdwa v26, v26, v61 dst_sel:BYTE_1 dst_unused:UNUSED_PAD src0_sel:DWORD src1_sel:BYTE_3
	v_sub_u16_sdwa v27, v27, v61 dst_sel:DWORD dst_unused:UNUSED_PAD src0_sel:WORD_1 src1_sel:WORD_1
	v_or_b32_sdwa v87, v87, v88 dst_sel:DWORD dst_unused:UNUSED_PAD src0_sel:BYTE_0 src1_sel:DWORD
	v_or_b32_sdwa v26, v27, v26 dst_sel:WORD_1 dst_unused:UNUSED_PAD src0_sel:BYTE_0 src1_sel:DWORD
	v_or_b32_sdwa v127, v87, v26 dst_sel:DWORD dst_unused:UNUSED_PAD src0_sel:WORD_0 src1_sel:DWORD
	v_add_u32_e32 v26, s28, v79
	v_add3_u32 v27, s19, v104, v105
	ds_read_b32 v61, v27
	ds_read_u16 v26, v26 offset:26370
	v_dot4_i32_i8 v27, v89, v5, 0
	v_dot4_i32_i8 v27, v93, v6, v27
	;; [unrolled: 1-line block ×4, first 2 shown]
	s_waitcnt lgkmcnt(0)
	v_lshrrev_b16_e32 v88, 8, v26
	v_bfe_i32 v26, v26, 0, 8
	v_dot4_i32_i8 v87, v124, v1, 0
	v_mul_lo_u32 v26, v27, v26
	v_dot4_i32_i8 v87, v125, v2, v87
	v_dot4_i32_i8 v87, v126, v3, v87
	;; [unrolled: 1-line block ×3, first 2 shown]
	v_bfe_i32 v88, v88, 0, 8
                                        ; kill: def $vgpr27 killed $sgpr0 killed $exec
	v_add3_u32 v89, s30, v106, v107
	v_mad_u64_u32 v[26:27], s[34:35], v87, v88, v[26:27]
	v_mul_f32_e32 v27, v120, v61
	ds_read2_b32 v[87:88], v89 offset1:1
	v_cvt_f32_i32_e32 v26, v26
	v_fmac_f32_e32 v76, v27, v26
	v_add_u32_e32 v26, 0x2100, v121
	ds_read2_b32 v[26:27], v26 offset1:1
	s_waitcnt lgkmcnt(1)
	v_ashrrev_i32_e32 v87, s3, v87
	v_lshlrev_b32_e32 v87, 2, v87
	v_and_b32_e32 v87, 0x4040404, v87
	s_waitcnt lgkmcnt(0)
	v_ashrrev_i32_e32 v26, s29, v26
	v_and_b32_e32 v61, 0x3030303, v26
	v_bfe_u32 v26, v26, 24, 2
	v_sub_u16_e32 v93, v61, v87
	v_sub_u16_sdwa v122, v61, v87 dst_sel:BYTE_1 dst_unused:UNUSED_PAD src0_sel:BYTE_1 src1_sel:BYTE_1
	v_sub_u16_sdwa v26, v26, v87 dst_sel:BYTE_1 dst_unused:UNUSED_PAD src0_sel:DWORD src1_sel:BYTE_3
	v_sub_u16_sdwa v61, v61, v87 dst_sel:DWORD dst_unused:UNUSED_PAD src0_sel:WORD_1 src1_sel:WORD_1
	v_or_b32_sdwa v93, v93, v122 dst_sel:DWORD dst_unused:UNUSED_PAD src0_sel:BYTE_0 src1_sel:DWORD
	v_or_b32_sdwa v26, v61, v26 dst_sel:WORD_1 dst_unused:UNUSED_PAD src0_sel:BYTE_0 src1_sel:DWORD
	v_ashrrev_i32_e32 v61, s3, v88
	v_or_b32_sdwa v93, v93, v26 dst_sel:DWORD dst_unused:UNUSED_PAD src0_sel:WORD_0 src1_sel:DWORD
	v_ashrrev_i32_e32 v26, s29, v27
	v_lshlrev_b32_e32 v61, 2, v61
	v_and_b32_e32 v27, 0x3030303, v26
	v_bfe_u32 v26, v26, 24, 2
	v_and_b32_e32 v61, 0x4040404, v61
	v_sub_u16_e32 v87, v27, v61
	v_sub_u16_sdwa v88, v27, v61 dst_sel:BYTE_1 dst_unused:UNUSED_PAD src0_sel:BYTE_1 src1_sel:BYTE_1
	v_sub_u16_sdwa v26, v26, v61 dst_sel:BYTE_1 dst_unused:UNUSED_PAD src0_sel:DWORD src1_sel:BYTE_3
	v_sub_u16_sdwa v27, v27, v61 dst_sel:DWORD dst_unused:UNUSED_PAD src0_sel:WORD_1 src1_sel:WORD_1
	v_or_b32_sdwa v87, v87, v88 dst_sel:DWORD dst_unused:UNUSED_PAD src0_sel:BYTE_0 src1_sel:DWORD
	v_or_b32_sdwa v26, v27, v26 dst_sel:WORD_1 dst_unused:UNUSED_PAD src0_sel:BYTE_0 src1_sel:DWORD
	v_or_b32_sdwa v122, v87, v26 dst_sel:DWORD dst_unused:UNUSED_PAD src0_sel:WORD_0 src1_sel:DWORD
	v_add_u32_e32 v26, 0x2108, v121
	ds_read2_b32 v[26:27], v26 offset1:1
	ds_read2_b32 v[87:88], v89 offset0:2 offset1:3
	s_waitcnt lgkmcnt(1)
	v_ashrrev_i32_e32 v26, s29, v26
	s_waitcnt lgkmcnt(0)
	v_ashrrev_i32_e32 v87, s3, v87
	v_lshlrev_b32_e32 v87, 2, v87
	v_and_b32_e32 v61, 0x3030303, v26
	v_bfe_u32 v26, v26, 24, 2
	v_and_b32_e32 v87, 0x4040404, v87
	v_sub_u16_e32 v123, v61, v87
	v_sub_u16_sdwa v124, v61, v87 dst_sel:BYTE_1 dst_unused:UNUSED_PAD src0_sel:BYTE_1 src1_sel:BYTE_1
	v_sub_u16_sdwa v26, v26, v87 dst_sel:BYTE_1 dst_unused:UNUSED_PAD src0_sel:DWORD src1_sel:BYTE_3
	v_sub_u16_sdwa v61, v61, v87 dst_sel:DWORD dst_unused:UNUSED_PAD src0_sel:WORD_1 src1_sel:WORD_1
	v_or_b32_sdwa v123, v123, v124 dst_sel:DWORD dst_unused:UNUSED_PAD src0_sel:BYTE_0 src1_sel:DWORD
	v_or_b32_sdwa v26, v61, v26 dst_sel:WORD_1 dst_unused:UNUSED_PAD src0_sel:BYTE_0 src1_sel:DWORD
	v_ashrrev_i32_e32 v61, s3, v88
	v_or_b32_sdwa v123, v123, v26 dst_sel:DWORD dst_unused:UNUSED_PAD src0_sel:WORD_0 src1_sel:DWORD
	v_ashrrev_i32_e32 v26, s29, v27
	v_lshlrev_b32_e32 v61, 2, v61
	v_and_b32_e32 v27, 0x3030303, v26
	v_bfe_u32 v26, v26, 24, 2
	v_and_b32_e32 v61, 0x4040404, v61
	v_sub_u16_e32 v87, v27, v61
	v_sub_u16_sdwa v88, v27, v61 dst_sel:BYTE_1 dst_unused:UNUSED_PAD src0_sel:BYTE_1 src1_sel:BYTE_1
	v_sub_u16_sdwa v26, v26, v61 dst_sel:BYTE_1 dst_unused:UNUSED_PAD src0_sel:DWORD src1_sel:BYTE_3
	v_sub_u16_sdwa v27, v27, v61 dst_sel:DWORD dst_unused:UNUSED_PAD src0_sel:WORD_1 src1_sel:WORD_1
	v_or_b32_sdwa v87, v87, v88 dst_sel:DWORD dst_unused:UNUSED_PAD src0_sel:BYTE_0 src1_sel:DWORD
	v_or_b32_sdwa v26, v27, v26 dst_sel:WORD_1 dst_unused:UNUSED_PAD src0_sel:BYTE_0 src1_sel:DWORD
	v_or_b32_sdwa v124, v87, v26 dst_sel:DWORD dst_unused:UNUSED_PAD src0_sel:WORD_0 src1_sel:DWORD
	v_add_u32_e32 v26, 0x2110, v121
	ds_read2_b32 v[26:27], v26 offset1:1
	ds_read2_b32 v[87:88], v89 offset0:4 offset1:5
	s_waitcnt lgkmcnt(1)
	v_ashrrev_i32_e32 v26, s29, v26
	s_waitcnt lgkmcnt(0)
	v_ashrrev_i32_e32 v87, s3, v87
	v_lshlrev_b32_e32 v87, 2, v87
	v_and_b32_e32 v61, 0x3030303, v26
	v_bfe_u32 v26, v26, 24, 2
	v_and_b32_e32 v87, 0x4040404, v87
	;; [unrolled: 31-line block ×3, first 2 shown]
	v_sub_u16_e32 v89, v61, v87
	v_sub_u16_sdwa v127, v61, v87 dst_sel:BYTE_1 dst_unused:UNUSED_PAD src0_sel:BYTE_1 src1_sel:BYTE_1
	v_sub_u16_sdwa v26, v26, v87 dst_sel:BYTE_1 dst_unused:UNUSED_PAD src0_sel:DWORD src1_sel:BYTE_3
	v_sub_u16_sdwa v61, v61, v87 dst_sel:DWORD dst_unused:UNUSED_PAD src0_sel:WORD_1 src1_sel:WORD_1
	v_or_b32_sdwa v89, v89, v127 dst_sel:DWORD dst_unused:UNUSED_PAD src0_sel:BYTE_0 src1_sel:DWORD
	v_or_b32_sdwa v26, v61, v26 dst_sel:WORD_1 dst_unused:UNUSED_PAD src0_sel:BYTE_0 src1_sel:DWORD
	v_ashrrev_i32_e32 v61, s3, v88
	v_or_b32_sdwa v127, v89, v26 dst_sel:DWORD dst_unused:UNUSED_PAD src0_sel:WORD_0 src1_sel:DWORD
	v_ashrrev_i32_e32 v26, s29, v27
	v_lshlrev_b32_e32 v61, 2, v61
	v_and_b32_e32 v27, 0x3030303, v26
	v_bfe_u32 v26, v26, 24, 2
	v_and_b32_e32 v61, 0x4040404, v61
	v_sub_u16_e32 v87, v27, v61
	v_sub_u16_sdwa v88, v27, v61 dst_sel:BYTE_1 dst_unused:UNUSED_PAD src0_sel:BYTE_1 src1_sel:BYTE_1
	v_sub_u16_sdwa v26, v26, v61 dst_sel:BYTE_1 dst_unused:UNUSED_PAD src0_sel:DWORD src1_sel:BYTE_3
	v_sub_u16_sdwa v27, v27, v61 dst_sel:DWORD dst_unused:UNUSED_PAD src0_sel:WORD_1 src1_sel:WORD_1
	v_or_b32_sdwa v87, v87, v88 dst_sel:DWORD dst_unused:UNUSED_PAD src0_sel:BYTE_0 src1_sel:DWORD
	v_or_b32_sdwa v26, v27, v26 dst_sel:WORD_1 dst_unused:UNUSED_PAD src0_sel:BYTE_0 src1_sel:DWORD
	v_or_b32_sdwa v89, v87, v26 dst_sel:DWORD dst_unused:UNUSED_PAD src0_sel:WORD_0 src1_sel:DWORD
	v_add_u32_e32 v26, s28, v78
	v_add3_u32 v27, s19, v108, v109
	ds_read_b32 v61, v27
	ds_read_u16 v26, v26 offset:27394
	v_dot4_i32_i8 v27, v93, v5, 0
	v_dot4_i32_i8 v27, v122, v6, v27
	;; [unrolled: 1-line block ×4, first 2 shown]
	s_waitcnt lgkmcnt(0)
	v_lshrrev_b16_e32 v88, 8, v26
	v_bfe_i32 v26, v26, 0, 8
	v_dot4_i32_i8 v87, v125, v1, 0
	v_mul_lo_u32 v26, v27, v26
	v_dot4_i32_i8 v87, v126, v2, v87
	v_dot4_i32_i8 v87, v127, v3, v87
	;; [unrolled: 1-line block ×3, first 2 shown]
	v_bfe_i32 v88, v88, 0, 8
                                        ; kill: def $vgpr27 killed $sgpr0 killed $exec
	v_add3_u32 v89, s30, v110, v111
	v_mad_u64_u32 v[26:27], s[34:35], v87, v88, v[26:27]
	v_mul_f32_e32 v27, v120, v61
	ds_read2_b32 v[87:88], v89 offset1:1
	v_cvt_f32_i32_e32 v26, v26
	v_fmac_f32_e32 v75, v27, v26
	v_add_u32_e32 v26, 0x3180, v121
	ds_read2_b32 v[26:27], v26 offset1:1
	s_waitcnt lgkmcnt(1)
	v_ashrrev_i32_e32 v87, s3, v87
	v_lshlrev_b32_e32 v87, 2, v87
	v_and_b32_e32 v87, 0x4040404, v87
	s_waitcnt lgkmcnt(0)
	v_ashrrev_i32_e32 v26, s29, v26
	v_and_b32_e32 v61, 0x3030303, v26
	v_bfe_u32 v26, v26, 24, 2
	v_sub_u16_e32 v93, v61, v87
	v_sub_u16_sdwa v122, v61, v87 dst_sel:BYTE_1 dst_unused:UNUSED_PAD src0_sel:BYTE_1 src1_sel:BYTE_1
	v_sub_u16_sdwa v26, v26, v87 dst_sel:BYTE_1 dst_unused:UNUSED_PAD src0_sel:DWORD src1_sel:BYTE_3
	v_sub_u16_sdwa v61, v61, v87 dst_sel:DWORD dst_unused:UNUSED_PAD src0_sel:WORD_1 src1_sel:WORD_1
	v_or_b32_sdwa v93, v93, v122 dst_sel:DWORD dst_unused:UNUSED_PAD src0_sel:BYTE_0 src1_sel:DWORD
	v_or_b32_sdwa v26, v61, v26 dst_sel:WORD_1 dst_unused:UNUSED_PAD src0_sel:BYTE_0 src1_sel:DWORD
	v_ashrrev_i32_e32 v61, s3, v88
	v_or_b32_sdwa v93, v93, v26 dst_sel:DWORD dst_unused:UNUSED_PAD src0_sel:WORD_0 src1_sel:DWORD
	v_ashrrev_i32_e32 v26, s29, v27
	v_lshlrev_b32_e32 v61, 2, v61
	v_and_b32_e32 v27, 0x3030303, v26
	v_bfe_u32 v26, v26, 24, 2
	v_and_b32_e32 v61, 0x4040404, v61
	v_sub_u16_e32 v87, v27, v61
	v_sub_u16_sdwa v88, v27, v61 dst_sel:BYTE_1 dst_unused:UNUSED_PAD src0_sel:BYTE_1 src1_sel:BYTE_1
	v_sub_u16_sdwa v26, v26, v61 dst_sel:BYTE_1 dst_unused:UNUSED_PAD src0_sel:DWORD src1_sel:BYTE_3
	v_sub_u16_sdwa v27, v27, v61 dst_sel:DWORD dst_unused:UNUSED_PAD src0_sel:WORD_1 src1_sel:WORD_1
	v_or_b32_sdwa v87, v87, v88 dst_sel:DWORD dst_unused:UNUSED_PAD src0_sel:BYTE_0 src1_sel:DWORD
	v_or_b32_sdwa v26, v27, v26 dst_sel:WORD_1 dst_unused:UNUSED_PAD src0_sel:BYTE_0 src1_sel:DWORD
	v_or_b32_sdwa v122, v87, v26 dst_sel:DWORD dst_unused:UNUSED_PAD src0_sel:WORD_0 src1_sel:DWORD
	v_add_u32_e32 v26, 0x3188, v121
	ds_read2_b32 v[26:27], v26 offset1:1
	ds_read2_b32 v[87:88], v89 offset0:2 offset1:3
	v_dot4_i32_i8 v5, v93, v5, 0
	v_dot4_i32_i8 v5, v122, v6, v5
	s_waitcnt lgkmcnt(1)
	v_ashrrev_i32_e32 v26, s29, v26
	s_waitcnt lgkmcnt(0)
	v_ashrrev_i32_e32 v87, s3, v87
	v_lshlrev_b32_e32 v87, 2, v87
	v_and_b32_e32 v61, 0x3030303, v26
	v_bfe_u32 v26, v26, 24, 2
	v_and_b32_e32 v87, 0x4040404, v87
	v_sub_u16_e32 v123, v61, v87
	v_sub_u16_sdwa v124, v61, v87 dst_sel:BYTE_1 dst_unused:UNUSED_PAD src0_sel:BYTE_1 src1_sel:BYTE_1
	v_sub_u16_sdwa v26, v26, v87 dst_sel:BYTE_1 dst_unused:UNUSED_PAD src0_sel:DWORD src1_sel:BYTE_3
	v_sub_u16_sdwa v61, v61, v87 dst_sel:DWORD dst_unused:UNUSED_PAD src0_sel:WORD_1 src1_sel:WORD_1
	v_or_b32_sdwa v123, v123, v124 dst_sel:DWORD dst_unused:UNUSED_PAD src0_sel:BYTE_0 src1_sel:DWORD
	v_or_b32_sdwa v26, v61, v26 dst_sel:WORD_1 dst_unused:UNUSED_PAD src0_sel:BYTE_0 src1_sel:DWORD
	v_ashrrev_i32_e32 v61, s3, v88
	v_or_b32_sdwa v123, v123, v26 dst_sel:DWORD dst_unused:UNUSED_PAD src0_sel:WORD_0 src1_sel:DWORD
	v_ashrrev_i32_e32 v26, s29, v27
	v_lshlrev_b32_e32 v61, 2, v61
	v_and_b32_e32 v27, 0x3030303, v26
	v_bfe_u32 v26, v26, 24, 2
	v_and_b32_e32 v61, 0x4040404, v61
	v_sub_u16_e32 v87, v27, v61
	v_sub_u16_sdwa v88, v27, v61 dst_sel:BYTE_1 dst_unused:UNUSED_PAD src0_sel:BYTE_1 src1_sel:BYTE_1
	v_sub_u16_sdwa v26, v26, v61 dst_sel:BYTE_1 dst_unused:UNUSED_PAD src0_sel:DWORD src1_sel:BYTE_3
	v_sub_u16_sdwa v27, v27, v61 dst_sel:DWORD dst_unused:UNUSED_PAD src0_sel:WORD_1 src1_sel:WORD_1
	v_or_b32_sdwa v87, v87, v88 dst_sel:DWORD dst_unused:UNUSED_PAD src0_sel:BYTE_0 src1_sel:DWORD
	v_or_b32_sdwa v26, v27, v26 dst_sel:WORD_1 dst_unused:UNUSED_PAD src0_sel:BYTE_0 src1_sel:DWORD
	v_or_b32_sdwa v124, v87, v26 dst_sel:DWORD dst_unused:UNUSED_PAD src0_sel:WORD_0 src1_sel:DWORD
	v_add_u32_e32 v26, 0x3190, v121
	ds_read2_b32 v[26:27], v26 offset1:1
	ds_read2_b32 v[87:88], v89 offset0:4 offset1:5
	v_dot4_i32_i8 v5, v123, v7, v5
	v_dot4_i32_i8 v5, v124, v8, v5
	s_waitcnt lgkmcnt(1)
	v_ashrrev_i32_e32 v26, s29, v26
	s_waitcnt lgkmcnt(0)
	v_ashrrev_i32_e32 v87, s3, v87
	v_lshlrev_b32_e32 v87, 2, v87
	v_and_b32_e32 v61, 0x3030303, v26
	v_bfe_u32 v26, v26, 24, 2
	v_and_b32_e32 v87, 0x4040404, v87
	;; [unrolled: 33-line block ×3, first 2 shown]
	v_sub_u16_e32 v89, v61, v87
	v_sub_u16_sdwa v121, v61, v87 dst_sel:BYTE_1 dst_unused:UNUSED_PAD src0_sel:BYTE_1 src1_sel:BYTE_1
	v_sub_u16_sdwa v26, v26, v87 dst_sel:BYTE_1 dst_unused:UNUSED_PAD src0_sel:DWORD src1_sel:BYTE_3
	v_sub_u16_sdwa v61, v61, v87 dst_sel:DWORD dst_unused:UNUSED_PAD src0_sel:WORD_1 src1_sel:WORD_1
	v_or_b32_sdwa v89, v89, v121 dst_sel:DWORD dst_unused:UNUSED_PAD src0_sel:BYTE_0 src1_sel:DWORD
	v_or_b32_sdwa v26, v61, v26 dst_sel:WORD_1 dst_unused:UNUSED_PAD src0_sel:BYTE_0 src1_sel:DWORD
	v_ashrrev_i32_e32 v61, s3, v88
	v_or_b32_sdwa v121, v89, v26 dst_sel:DWORD dst_unused:UNUSED_PAD src0_sel:WORD_0 src1_sel:DWORD
	v_ashrrev_i32_e32 v26, s29, v27
	v_lshlrev_b32_e32 v61, 2, v61
	v_and_b32_e32 v27, 0x3030303, v26
	v_bfe_u32 v26, v26, 24, 2
	v_and_b32_e32 v61, 0x4040404, v61
	v_sub_u16_e32 v87, v27, v61
	v_sub_u16_sdwa v88, v27, v61 dst_sel:BYTE_1 dst_unused:UNUSED_PAD src0_sel:BYTE_1 src1_sel:BYTE_1
	v_sub_u16_sdwa v26, v26, v61 dst_sel:BYTE_1 dst_unused:UNUSED_PAD src0_sel:DWORD src1_sel:BYTE_3
	v_sub_u16_sdwa v27, v27, v61 dst_sel:DWORD dst_unused:UNUSED_PAD src0_sel:WORD_1 src1_sel:WORD_1
	v_or_b32_sdwa v87, v87, v88 dst_sel:DWORD dst_unused:UNUSED_PAD src0_sel:BYTE_0 src1_sel:DWORD
	v_or_b32_sdwa v26, v27, v26 dst_sel:WORD_1 dst_unused:UNUSED_PAD src0_sel:BYTE_0 src1_sel:DWORD
	v_or_b32_sdwa v127, v87, v26 dst_sel:DWORD dst_unused:UNUSED_PAD src0_sel:WORD_0 src1_sel:DWORD
	v_add_u32_e32 v88, s28, v77
	v_add3_u32 v26, s19, v112, v113
	v_dot4_i32_i8 v1, v121, v3, v1
	ds_read_b32 v89, v26
	v_dot4_i32_i8 v2, v127, v4, v1
	ds_read_u16 v1, v88 offset:28418
	s_add_i32 s3, s3, 1
	s_cmp_lt_u32 s18, 14
	s_mov_b32 s19, s18
	s_waitcnt lgkmcnt(0)
	v_lshrrev_b16_e32 v3, 8, v1
	v_bfe_i32 v1, v1, 0, 8
	v_mul_lo_u32 v1, v5, v1
	v_bfe_i32 v3, v3, 0, 8
	v_mad_u64_u32 v[1:2], s[28:29], v2, v3, v[1:2]
	v_mul_f32_e32 v2, v120, v89
	v_cvt_f32_i32_e32 v1, v1
	v_fmac_f32_e32 v25, v2, v1
	s_cbranch_scc1 .LBB190_19
; %bb.20:                               ;   in Loop: Header=BB190_5 Depth=1
	s_or_b32 s2, s26, 0x100
	s_cmp_ge_i32 s2, s9
	s_barrier
	s_cbranch_scc1 .LBB190_4
; %bb.21:                               ;   in Loop: Header=BB190_5 Depth=1
	buffer_load_dword v1, off, s[36:39], 0 offset:8 ; 4-byte Folded Reload
	s_waitcnt vmcnt(0)
	v_add_u32_e32 v1, s27, v1
	v_cmp_gt_i32_e64 s[2:3], s12, v1
	s_and_b64 s[18:19], s[0:1], s[2:3]
	s_and_saveexec_b64 s[2:3], s[18:19]
	s_cbranch_execz .LBB190_23
; %bb.22:                               ;   in Loop: Header=BB190_5 Depth=1
	buffer_load_dword v2, off, s[36:39], 0  ; 4-byte Folded Reload
	buffer_load_dword v3, off, s[36:39], 0 offset:4 ; 4-byte Folded Reload
	v_add_u32_e32 v1, v90, v1
	s_waitcnt vmcnt(0)
	v_mad_i64_i32 v[1:2], s[18:19], v1, 36, v[2:3]
	global_load_dword v1, v[1:2], off offset:4
	s_waitcnt vmcnt(0)
	ds_write_b32 v72, v1
.LBB190_23:                             ;   in Loop: Header=BB190_5 Depth=1
	s_or_b64 exec, exec, s[2:3]
	s_and_saveexec_b64 s[18:19], vcc
	s_cbranch_execz .LBB190_26
; %bb.24:                               ;   in Loop: Header=BB190_5 Depth=1
	v_or_b32_e32 v1, 8, v117
	v_cmp_gt_i32_e64 s[2:3], s12, v1
	s_and_b64 s[2:3], s[0:1], s[2:3]
	s_and_b64 exec, exec, s[2:3]
	s_cbranch_execz .LBB190_26
; %bb.25:                               ;   in Loop: Header=BB190_5 Depth=1
	v_ashrrev_i32_e32 v1, 31, v117
	v_add_co_u32_e64 v2, s[2:3], v90, v117
	v_ashrrev_i32_e32 v3, 31, v90
	v_addc_co_u32_e64 v3, s[2:3], v3, v1, s[2:3]
	v_mad_u64_u32 v[1:2], s[2:3], v2, 36, s[6:7]
	v_mad_i32_i24 v2, v3, 36, v2
	global_load_dword v1, v[1:2], off offset:288
	s_waitcnt vmcnt(0)
	v_cvt_f32_f16_e32 v1, v1
	ds_write_b32 v74, v1
.LBB190_26:                             ;   in Loop: Header=BB190_5 Depth=1
	s_or_b64 exec, exec, s[18:19]
	s_mov_b32 s2, 16
	s_mov_b32 s19, 14
	;; [unrolled: 1-line block ×3, first 2 shown]
	v_mov_b32_e32 v118, v71
	v_mov_b32_e32 v119, v73
	s_waitcnt lgkmcnt(0)
	s_barrier
.LBB190_27:                             ;   Parent Loop BB190_5 Depth=1
                                        ; =>  This Inner Loop Header: Depth=2
	s_add_i32 s18, s19, 2
	s_lshr_b32 s31, s18, 4
	s_and_b32 s30, s18, 0x3ffffff8
	v_lshl_add_u32 v121, s30, 2, v91
	s_lshl_b32 s30, s31, 5
	s_addk_i32 s30, 0x4200
	v_add3_u32 v126, s30, v114, v101
	ds_read_b32 v120, v119
	ds_read_b128 v[5:8], v118
	ds_read_b128 v[1:4], v118 offset:16
	ds_read2_b32 v[26:27], v121 offset1:1
	ds_read2_b32 v[87:88], v126 offset1:1
	s_add_i32 s29, s19, -14
	s_and_b32 s28, s2, -16
	s_add_i32 s28, s19, s28
	s_waitcnt lgkmcnt(1)
	v_ashrrev_i32_e32 v26, s29, v26
	s_waitcnt lgkmcnt(0)
	v_ashrrev_i32_e32 v87, s3, v87
	v_lshlrev_b32_e32 v87, 2, v87
	v_and_b32_e32 v61, 0x3030303, v26
	v_bfe_u32 v26, v26, 24, 2
	v_and_b32_e32 v87, 0x4040404, v87
	v_sub_u16_e32 v89, v61, v87
	v_sub_u16_sdwa v93, v61, v87 dst_sel:BYTE_1 dst_unused:UNUSED_PAD src0_sel:BYTE_1 src1_sel:BYTE_1
	v_sub_u16_sdwa v26, v26, v87 dst_sel:BYTE_1 dst_unused:UNUSED_PAD src0_sel:DWORD src1_sel:BYTE_3
	v_sub_u16_sdwa v61, v61, v87 dst_sel:DWORD dst_unused:UNUSED_PAD src0_sel:WORD_1 src1_sel:WORD_1
	v_or_b32_sdwa v89, v89, v93 dst_sel:DWORD dst_unused:UNUSED_PAD src0_sel:BYTE_0 src1_sel:DWORD
	v_or_b32_sdwa v26, v61, v26 dst_sel:WORD_1 dst_unused:UNUSED_PAD src0_sel:BYTE_0 src1_sel:DWORD
	v_ashrrev_i32_e32 v61, s3, v88
	v_or_b32_sdwa v93, v89, v26 dst_sel:DWORD dst_unused:UNUSED_PAD src0_sel:WORD_0 src1_sel:DWORD
	v_ashrrev_i32_e32 v26, s29, v27
	v_lshlrev_b32_e32 v61, 2, v61
	v_and_b32_e32 v27, 0x3030303, v26
	v_bfe_u32 v26, v26, 24, 2
	v_and_b32_e32 v61, 0x4040404, v61
	v_sub_u16_e32 v87, v27, v61
	v_sub_u16_sdwa v88, v27, v61 dst_sel:BYTE_1 dst_unused:UNUSED_PAD src0_sel:BYTE_1 src1_sel:BYTE_1
	v_sub_u16_sdwa v26, v26, v61 dst_sel:BYTE_1 dst_unused:UNUSED_PAD src0_sel:DWORD src1_sel:BYTE_3
	v_sub_u16_sdwa v27, v27, v61 dst_sel:DWORD dst_unused:UNUSED_PAD src0_sel:WORD_1 src1_sel:WORD_1
	v_or_b32_sdwa v87, v87, v88 dst_sel:DWORD dst_unused:UNUSED_PAD src0_sel:BYTE_0 src1_sel:DWORD
	v_or_b32_sdwa v26, v27, v26 dst_sel:WORD_1 dst_unused:UNUSED_PAD src0_sel:BYTE_0 src1_sel:DWORD
	v_or_b32_sdwa v122, v87, v26 dst_sel:DWORD dst_unused:UNUSED_PAD src0_sel:WORD_0 src1_sel:DWORD
	ds_read2_b32 v[26:27], v121 offset0:2 offset1:3
	ds_read2_b32 v[87:88], v126 offset0:2 offset1:3
	s_lshl_b32 s19, s31, 2
	s_addk_i32 s19, 0x7380
	s_add_i32 s2, s2, 2
	s_waitcnt lgkmcnt(1)
	v_ashrrev_i32_e32 v26, s29, v26
	s_waitcnt lgkmcnt(0)
	v_ashrrev_i32_e32 v87, s3, v87
	v_lshlrev_b32_e32 v87, 2, v87
	v_and_b32_e32 v61, 0x3030303, v26
	v_bfe_u32 v26, v26, 24, 2
	v_and_b32_e32 v87, 0x4040404, v87
	v_sub_u16_e32 v89, v61, v87
	v_sub_u16_sdwa v123, v61, v87 dst_sel:BYTE_1 dst_unused:UNUSED_PAD src0_sel:BYTE_1 src1_sel:BYTE_1
	v_sub_u16_sdwa v26, v26, v87 dst_sel:BYTE_1 dst_unused:UNUSED_PAD src0_sel:DWORD src1_sel:BYTE_3
	v_sub_u16_sdwa v61, v61, v87 dst_sel:DWORD dst_unused:UNUSED_PAD src0_sel:WORD_1 src1_sel:WORD_1
	v_or_b32_sdwa v89, v89, v123 dst_sel:DWORD dst_unused:UNUSED_PAD src0_sel:BYTE_0 src1_sel:DWORD
	v_or_b32_sdwa v26, v61, v26 dst_sel:WORD_1 dst_unused:UNUSED_PAD src0_sel:BYTE_0 src1_sel:DWORD
	v_ashrrev_i32_e32 v61, s3, v88
	v_or_b32_sdwa v123, v89, v26 dst_sel:DWORD dst_unused:UNUSED_PAD src0_sel:WORD_0 src1_sel:DWORD
	v_ashrrev_i32_e32 v26, s29, v27
	v_lshlrev_b32_e32 v61, 2, v61
	v_and_b32_e32 v27, 0x3030303, v26
	v_bfe_u32 v26, v26, 24, 2
	v_and_b32_e32 v61, 0x4040404, v61
	v_sub_u16_e32 v87, v27, v61
	v_sub_u16_sdwa v88, v27, v61 dst_sel:BYTE_1 dst_unused:UNUSED_PAD src0_sel:BYTE_1 src1_sel:BYTE_1
	v_sub_u16_sdwa v26, v26, v61 dst_sel:BYTE_1 dst_unused:UNUSED_PAD src0_sel:DWORD src1_sel:BYTE_3
	v_sub_u16_sdwa v27, v27, v61 dst_sel:DWORD dst_unused:UNUSED_PAD src0_sel:WORD_1 src1_sel:WORD_1
	v_or_b32_sdwa v87, v87, v88 dst_sel:DWORD dst_unused:UNUSED_PAD src0_sel:BYTE_0 src1_sel:DWORD
	v_or_b32_sdwa v26, v27, v26 dst_sel:WORD_1 dst_unused:UNUSED_PAD src0_sel:BYTE_0 src1_sel:DWORD
	v_or_b32_sdwa v89, v87, v26 dst_sel:DWORD dst_unused:UNUSED_PAD src0_sel:WORD_0 src1_sel:DWORD
	ds_read2_b32 v[26:27], v121 offset0:4 offset1:5
	ds_read2_b32 v[87:88], v126 offset0:4 offset1:5
	v_add_u32_e32 v119, 4, v119
	v_add_u32_e32 v118, 32, v118
	s_waitcnt lgkmcnt(1)
	v_ashrrev_i32_e32 v26, s29, v26
	s_waitcnt lgkmcnt(0)
	v_ashrrev_i32_e32 v87, s3, v87
	v_lshlrev_b32_e32 v87, 2, v87
	v_and_b32_e32 v61, 0x3030303, v26
	v_bfe_u32 v26, v26, 24, 2
	v_and_b32_e32 v87, 0x4040404, v87
	v_sub_u16_e32 v124, v61, v87
	v_sub_u16_sdwa v125, v61, v87 dst_sel:BYTE_1 dst_unused:UNUSED_PAD src0_sel:BYTE_1 src1_sel:BYTE_1
	v_sub_u16_sdwa v26, v26, v87 dst_sel:BYTE_1 dst_unused:UNUSED_PAD src0_sel:DWORD src1_sel:BYTE_3
	v_sub_u16_sdwa v61, v61, v87 dst_sel:DWORD dst_unused:UNUSED_PAD src0_sel:WORD_1 src1_sel:WORD_1
	v_or_b32_sdwa v124, v124, v125 dst_sel:DWORD dst_unused:UNUSED_PAD src0_sel:BYTE_0 src1_sel:DWORD
	v_or_b32_sdwa v26, v61, v26 dst_sel:WORD_1 dst_unused:UNUSED_PAD src0_sel:BYTE_0 src1_sel:DWORD
	v_ashrrev_i32_e32 v61, s3, v88
	v_or_b32_sdwa v124, v124, v26 dst_sel:DWORD dst_unused:UNUSED_PAD src0_sel:WORD_0 src1_sel:DWORD
	v_ashrrev_i32_e32 v26, s29, v27
	v_lshlrev_b32_e32 v61, 2, v61
	v_and_b32_e32 v27, 0x3030303, v26
	v_bfe_u32 v26, v26, 24, 2
	v_and_b32_e32 v61, 0x4040404, v61
	v_sub_u16_e32 v87, v27, v61
	v_sub_u16_sdwa v88, v27, v61 dst_sel:BYTE_1 dst_unused:UNUSED_PAD src0_sel:BYTE_1 src1_sel:BYTE_1
	v_sub_u16_sdwa v26, v26, v61 dst_sel:BYTE_1 dst_unused:UNUSED_PAD src0_sel:DWORD src1_sel:BYTE_3
	v_sub_u16_sdwa v27, v27, v61 dst_sel:DWORD dst_unused:UNUSED_PAD src0_sel:WORD_1 src1_sel:WORD_1
	v_or_b32_sdwa v87, v87, v88 dst_sel:DWORD dst_unused:UNUSED_PAD src0_sel:BYTE_0 src1_sel:DWORD
	v_or_b32_sdwa v26, v27, v26 dst_sel:WORD_1 dst_unused:UNUSED_PAD src0_sel:BYTE_0 src1_sel:DWORD
	v_or_b32_sdwa v125, v87, v26 dst_sel:DWORD dst_unused:UNUSED_PAD src0_sel:WORD_0 src1_sel:DWORD
	ds_read2_b32 v[26:27], v121 offset0:6 offset1:7
	ds_read2_b32 v[87:88], v126 offset0:6 offset1:7
	s_waitcnt lgkmcnt(1)
	v_ashrrev_i32_e32 v26, s29, v26
	s_waitcnt lgkmcnt(0)
	v_ashrrev_i32_e32 v87, s3, v87
	v_lshlrev_b32_e32 v87, 2, v87
	v_and_b32_e32 v61, 0x3030303, v26
	v_bfe_u32 v26, v26, 24, 2
	v_and_b32_e32 v87, 0x4040404, v87
	v_sub_u16_e32 v126, v61, v87
	v_sub_u16_sdwa v127, v61, v87 dst_sel:BYTE_1 dst_unused:UNUSED_PAD src0_sel:BYTE_1 src1_sel:BYTE_1
	v_sub_u16_sdwa v26, v26, v87 dst_sel:BYTE_1 dst_unused:UNUSED_PAD src0_sel:DWORD src1_sel:BYTE_3
	v_sub_u16_sdwa v61, v61, v87 dst_sel:DWORD dst_unused:UNUSED_PAD src0_sel:WORD_1 src1_sel:WORD_1
	v_or_b32_sdwa v126, v126, v127 dst_sel:DWORD dst_unused:UNUSED_PAD src0_sel:BYTE_0 src1_sel:DWORD
	v_or_b32_sdwa v26, v61, v26 dst_sel:WORD_1 dst_unused:UNUSED_PAD src0_sel:BYTE_0 src1_sel:DWORD
	v_ashrrev_i32_e32 v61, s3, v88
	v_or_b32_sdwa v126, v126, v26 dst_sel:DWORD dst_unused:UNUSED_PAD src0_sel:WORD_0 src1_sel:DWORD
	v_ashrrev_i32_e32 v26, s29, v27
	v_lshlrev_b32_e32 v61, 2, v61
	v_and_b32_e32 v27, 0x3030303, v26
	v_bfe_u32 v26, v26, 24, 2
	v_and_b32_e32 v61, 0x4040404, v61
	v_sub_u16_e32 v87, v27, v61
	v_sub_u16_sdwa v88, v27, v61 dst_sel:BYTE_1 dst_unused:UNUSED_PAD src0_sel:BYTE_1 src1_sel:BYTE_1
	v_sub_u16_sdwa v26, v26, v61 dst_sel:BYTE_1 dst_unused:UNUSED_PAD src0_sel:DWORD src1_sel:BYTE_3
	v_sub_u16_sdwa v27, v27, v61 dst_sel:DWORD dst_unused:UNUSED_PAD src0_sel:WORD_1 src1_sel:WORD_1
	v_or_b32_sdwa v87, v87, v88 dst_sel:DWORD dst_unused:UNUSED_PAD src0_sel:BYTE_0 src1_sel:DWORD
	v_or_b32_sdwa v26, v27, v26 dst_sel:WORD_1 dst_unused:UNUSED_PAD src0_sel:BYTE_0 src1_sel:DWORD
	v_or_b32_sdwa v127, v87, v26 dst_sel:DWORD dst_unused:UNUSED_PAD src0_sel:WORD_0 src1_sel:DWORD
	v_add_u32_e32 v26, s28, v80
	v_add3_u32 v27, s19, v115, v116
	ds_read_b32 v61, v27
	ds_read_u16 v26, v26 offset:25330
	v_dot4_i32_i8 v27, v93, v5, 0
	v_dot4_i32_i8 v27, v122, v6, v27
	;; [unrolled: 1-line block ×4, first 2 shown]
	s_waitcnt lgkmcnt(0)
	v_lshrrev_b16_e32 v88, 8, v26
	v_bfe_i32 v26, v26, 0, 8
	v_dot4_i32_i8 v87, v124, v1, 0
	v_mul_lo_u32 v26, v27, v26
	v_dot4_i32_i8 v87, v125, v2, v87
	v_dot4_i32_i8 v87, v126, v3, v87
	;; [unrolled: 1-line block ×3, first 2 shown]
	v_bfe_i32 v88, v88, 0, 8
                                        ; kill: def $vgpr27 killed $sgpr0 killed $exec
	v_add3_u32 v126, s30, v102, v103
	v_mad_u64_u32 v[26:27], s[34:35], v87, v88, v[26:27]
	v_mul_f32_e32 v27, v120, v61
	ds_read2_b32 v[87:88], v126 offset1:1
	v_cvt_f32_i32_e32 v26, v26
	v_fmac_f32_e32 v29, v27, v26
	v_add_u32_e32 v26, 0x1080, v121
	ds_read2_b32 v[26:27], v26 offset1:1
	s_waitcnt lgkmcnt(1)
	v_ashrrev_i32_e32 v87, s3, v87
	v_lshlrev_b32_e32 v87, 2, v87
	v_and_b32_e32 v87, 0x4040404, v87
	s_waitcnt lgkmcnt(0)
	v_ashrrev_i32_e32 v26, s29, v26
	v_and_b32_e32 v61, 0x3030303, v26
	v_bfe_u32 v26, v26, 24, 2
	v_sub_u16_e32 v89, v61, v87
	v_sub_u16_sdwa v93, v61, v87 dst_sel:BYTE_1 dst_unused:UNUSED_PAD src0_sel:BYTE_1 src1_sel:BYTE_1
	v_sub_u16_sdwa v26, v26, v87 dst_sel:BYTE_1 dst_unused:UNUSED_PAD src0_sel:DWORD src1_sel:BYTE_3
	v_sub_u16_sdwa v61, v61, v87 dst_sel:DWORD dst_unused:UNUSED_PAD src0_sel:WORD_1 src1_sel:WORD_1
	v_or_b32_sdwa v89, v89, v93 dst_sel:DWORD dst_unused:UNUSED_PAD src0_sel:BYTE_0 src1_sel:DWORD
	v_or_b32_sdwa v26, v61, v26 dst_sel:WORD_1 dst_unused:UNUSED_PAD src0_sel:BYTE_0 src1_sel:DWORD
	v_ashrrev_i32_e32 v61, s3, v88
	v_or_b32_sdwa v89, v89, v26 dst_sel:DWORD dst_unused:UNUSED_PAD src0_sel:WORD_0 src1_sel:DWORD
	v_ashrrev_i32_e32 v26, s29, v27
	v_lshlrev_b32_e32 v61, 2, v61
	v_and_b32_e32 v27, 0x3030303, v26
	v_bfe_u32 v26, v26, 24, 2
	v_and_b32_e32 v61, 0x4040404, v61
	v_sub_u16_e32 v87, v27, v61
	v_sub_u16_sdwa v88, v27, v61 dst_sel:BYTE_1 dst_unused:UNUSED_PAD src0_sel:BYTE_1 src1_sel:BYTE_1
	v_sub_u16_sdwa v26, v26, v61 dst_sel:BYTE_1 dst_unused:UNUSED_PAD src0_sel:DWORD src1_sel:BYTE_3
	v_sub_u16_sdwa v27, v27, v61 dst_sel:DWORD dst_unused:UNUSED_PAD src0_sel:WORD_1 src1_sel:WORD_1
	v_or_b32_sdwa v87, v87, v88 dst_sel:DWORD dst_unused:UNUSED_PAD src0_sel:BYTE_0 src1_sel:DWORD
	v_or_b32_sdwa v26, v27, v26 dst_sel:WORD_1 dst_unused:UNUSED_PAD src0_sel:BYTE_0 src1_sel:DWORD
	v_or_b32_sdwa v93, v87, v26 dst_sel:DWORD dst_unused:UNUSED_PAD src0_sel:WORD_0 src1_sel:DWORD
	v_add_u32_e32 v26, 0x1088, v121
	ds_read2_b32 v[26:27], v26 offset1:1
	ds_read2_b32 v[87:88], v126 offset0:2 offset1:3
	s_waitcnt lgkmcnt(1)
	v_ashrrev_i32_e32 v26, s29, v26
	s_waitcnt lgkmcnt(0)
	v_ashrrev_i32_e32 v87, s3, v87
	v_lshlrev_b32_e32 v87, 2, v87
	v_and_b32_e32 v61, 0x3030303, v26
	v_bfe_u32 v26, v26, 24, 2
	v_and_b32_e32 v87, 0x4040404, v87
	v_sub_u16_e32 v122, v61, v87
	v_sub_u16_sdwa v123, v61, v87 dst_sel:BYTE_1 dst_unused:UNUSED_PAD src0_sel:BYTE_1 src1_sel:BYTE_1
	v_sub_u16_sdwa v26, v26, v87 dst_sel:BYTE_1 dst_unused:UNUSED_PAD src0_sel:DWORD src1_sel:BYTE_3
	v_sub_u16_sdwa v61, v61, v87 dst_sel:DWORD dst_unused:UNUSED_PAD src0_sel:WORD_1 src1_sel:WORD_1
	v_or_b32_sdwa v122, v122, v123 dst_sel:DWORD dst_unused:UNUSED_PAD src0_sel:BYTE_0 src1_sel:DWORD
	v_or_b32_sdwa v26, v61, v26 dst_sel:WORD_1 dst_unused:UNUSED_PAD src0_sel:BYTE_0 src1_sel:DWORD
	v_ashrrev_i32_e32 v61, s3, v88
	v_or_b32_sdwa v122, v122, v26 dst_sel:DWORD dst_unused:UNUSED_PAD src0_sel:WORD_0 src1_sel:DWORD
	v_ashrrev_i32_e32 v26, s29, v27
	v_lshlrev_b32_e32 v61, 2, v61
	v_and_b32_e32 v27, 0x3030303, v26
	v_bfe_u32 v26, v26, 24, 2
	v_and_b32_e32 v61, 0x4040404, v61
	v_sub_u16_e32 v87, v27, v61
	v_sub_u16_sdwa v88, v27, v61 dst_sel:BYTE_1 dst_unused:UNUSED_PAD src0_sel:BYTE_1 src1_sel:BYTE_1
	v_sub_u16_sdwa v26, v26, v61 dst_sel:BYTE_1 dst_unused:UNUSED_PAD src0_sel:DWORD src1_sel:BYTE_3
	v_sub_u16_sdwa v27, v27, v61 dst_sel:DWORD dst_unused:UNUSED_PAD src0_sel:WORD_1 src1_sel:WORD_1
	v_or_b32_sdwa v87, v87, v88 dst_sel:DWORD dst_unused:UNUSED_PAD src0_sel:BYTE_0 src1_sel:DWORD
	v_or_b32_sdwa v26, v27, v26 dst_sel:WORD_1 dst_unused:UNUSED_PAD src0_sel:BYTE_0 src1_sel:DWORD
	v_or_b32_sdwa v123, v87, v26 dst_sel:DWORD dst_unused:UNUSED_PAD src0_sel:WORD_0 src1_sel:DWORD
	v_add_u32_e32 v26, 0x1090, v121
	ds_read2_b32 v[26:27], v26 offset1:1
	ds_read2_b32 v[87:88], v126 offset0:4 offset1:5
	s_waitcnt lgkmcnt(1)
	v_ashrrev_i32_e32 v26, s29, v26
	s_waitcnt lgkmcnt(0)
	v_ashrrev_i32_e32 v87, s3, v87
	v_lshlrev_b32_e32 v87, 2, v87
	v_and_b32_e32 v61, 0x3030303, v26
	v_bfe_u32 v26, v26, 24, 2
	v_and_b32_e32 v87, 0x4040404, v87
	;; [unrolled: 31-line block ×3, first 2 shown]
	v_sub_u16_e32 v126, v61, v87
	v_sub_u16_sdwa v127, v61, v87 dst_sel:BYTE_1 dst_unused:UNUSED_PAD src0_sel:BYTE_1 src1_sel:BYTE_1
	v_sub_u16_sdwa v26, v26, v87 dst_sel:BYTE_1 dst_unused:UNUSED_PAD src0_sel:DWORD src1_sel:BYTE_3
	v_sub_u16_sdwa v61, v61, v87 dst_sel:DWORD dst_unused:UNUSED_PAD src0_sel:WORD_1 src1_sel:WORD_1
	v_or_b32_sdwa v126, v126, v127 dst_sel:DWORD dst_unused:UNUSED_PAD src0_sel:BYTE_0 src1_sel:DWORD
	v_or_b32_sdwa v26, v61, v26 dst_sel:WORD_1 dst_unused:UNUSED_PAD src0_sel:BYTE_0 src1_sel:DWORD
	v_ashrrev_i32_e32 v61, s3, v88
	v_or_b32_sdwa v126, v126, v26 dst_sel:DWORD dst_unused:UNUSED_PAD src0_sel:WORD_0 src1_sel:DWORD
	v_ashrrev_i32_e32 v26, s29, v27
	v_lshlrev_b32_e32 v61, 2, v61
	v_and_b32_e32 v27, 0x3030303, v26
	v_bfe_u32 v26, v26, 24, 2
	v_and_b32_e32 v61, 0x4040404, v61
	v_sub_u16_e32 v87, v27, v61
	v_sub_u16_sdwa v88, v27, v61 dst_sel:BYTE_1 dst_unused:UNUSED_PAD src0_sel:BYTE_1 src1_sel:BYTE_1
	v_sub_u16_sdwa v26, v26, v61 dst_sel:BYTE_1 dst_unused:UNUSED_PAD src0_sel:DWORD src1_sel:BYTE_3
	v_sub_u16_sdwa v27, v27, v61 dst_sel:DWORD dst_unused:UNUSED_PAD src0_sel:WORD_1 src1_sel:WORD_1
	v_or_b32_sdwa v87, v87, v88 dst_sel:DWORD dst_unused:UNUSED_PAD src0_sel:BYTE_0 src1_sel:DWORD
	v_or_b32_sdwa v26, v27, v26 dst_sel:WORD_1 dst_unused:UNUSED_PAD src0_sel:BYTE_0 src1_sel:DWORD
	v_or_b32_sdwa v127, v87, v26 dst_sel:DWORD dst_unused:UNUSED_PAD src0_sel:WORD_0 src1_sel:DWORD
	v_add_u32_e32 v26, s28, v79
	v_add3_u32 v27, s19, v104, v105
	ds_read_b32 v61, v27
	ds_read_u16 v26, v26 offset:26354
	v_dot4_i32_i8 v27, v89, v5, 0
	v_dot4_i32_i8 v27, v93, v6, v27
	v_dot4_i32_i8 v27, v122, v7, v27
	v_dot4_i32_i8 v27, v123, v8, v27
	s_waitcnt lgkmcnt(0)
	v_lshrrev_b16_e32 v88, 8, v26
	v_bfe_i32 v26, v26, 0, 8
	v_dot4_i32_i8 v87, v124, v1, 0
	v_mul_lo_u32 v26, v27, v26
	v_dot4_i32_i8 v87, v125, v2, v87
	v_dot4_i32_i8 v87, v126, v3, v87
	v_dot4_i32_i8 v87, v127, v4, v87
	v_bfe_i32 v88, v88, 0, 8
                                        ; kill: def $vgpr27 killed $sgpr0 killed $exec
	v_add3_u32 v89, s30, v106, v107
	v_mad_u64_u32 v[26:27], s[34:35], v87, v88, v[26:27]
	v_mul_f32_e32 v27, v120, v61
	ds_read2_b32 v[87:88], v89 offset1:1
	v_cvt_f32_i32_e32 v26, v26
	v_fmac_f32_e32 v76, v27, v26
	v_add_u32_e32 v26, 0x2100, v121
	ds_read2_b32 v[26:27], v26 offset1:1
	s_waitcnt lgkmcnt(1)
	v_ashrrev_i32_e32 v87, s3, v87
	v_lshlrev_b32_e32 v87, 2, v87
	v_and_b32_e32 v87, 0x4040404, v87
	s_waitcnt lgkmcnt(0)
	v_ashrrev_i32_e32 v26, s29, v26
	v_and_b32_e32 v61, 0x3030303, v26
	v_bfe_u32 v26, v26, 24, 2
	v_sub_u16_e32 v93, v61, v87
	v_sub_u16_sdwa v122, v61, v87 dst_sel:BYTE_1 dst_unused:UNUSED_PAD src0_sel:BYTE_1 src1_sel:BYTE_1
	v_sub_u16_sdwa v26, v26, v87 dst_sel:BYTE_1 dst_unused:UNUSED_PAD src0_sel:DWORD src1_sel:BYTE_3
	v_sub_u16_sdwa v61, v61, v87 dst_sel:DWORD dst_unused:UNUSED_PAD src0_sel:WORD_1 src1_sel:WORD_1
	v_or_b32_sdwa v93, v93, v122 dst_sel:DWORD dst_unused:UNUSED_PAD src0_sel:BYTE_0 src1_sel:DWORD
	v_or_b32_sdwa v26, v61, v26 dst_sel:WORD_1 dst_unused:UNUSED_PAD src0_sel:BYTE_0 src1_sel:DWORD
	v_ashrrev_i32_e32 v61, s3, v88
	v_or_b32_sdwa v93, v93, v26 dst_sel:DWORD dst_unused:UNUSED_PAD src0_sel:WORD_0 src1_sel:DWORD
	v_ashrrev_i32_e32 v26, s29, v27
	v_lshlrev_b32_e32 v61, 2, v61
	v_and_b32_e32 v27, 0x3030303, v26
	v_bfe_u32 v26, v26, 24, 2
	v_and_b32_e32 v61, 0x4040404, v61
	v_sub_u16_e32 v87, v27, v61
	v_sub_u16_sdwa v88, v27, v61 dst_sel:BYTE_1 dst_unused:UNUSED_PAD src0_sel:BYTE_1 src1_sel:BYTE_1
	v_sub_u16_sdwa v26, v26, v61 dst_sel:BYTE_1 dst_unused:UNUSED_PAD src0_sel:DWORD src1_sel:BYTE_3
	v_sub_u16_sdwa v27, v27, v61 dst_sel:DWORD dst_unused:UNUSED_PAD src0_sel:WORD_1 src1_sel:WORD_1
	v_or_b32_sdwa v87, v87, v88 dst_sel:DWORD dst_unused:UNUSED_PAD src0_sel:BYTE_0 src1_sel:DWORD
	v_or_b32_sdwa v26, v27, v26 dst_sel:WORD_1 dst_unused:UNUSED_PAD src0_sel:BYTE_0 src1_sel:DWORD
	v_or_b32_sdwa v122, v87, v26 dst_sel:DWORD dst_unused:UNUSED_PAD src0_sel:WORD_0 src1_sel:DWORD
	v_add_u32_e32 v26, 0x2108, v121
	ds_read2_b32 v[26:27], v26 offset1:1
	ds_read2_b32 v[87:88], v89 offset0:2 offset1:3
	s_waitcnt lgkmcnt(1)
	v_ashrrev_i32_e32 v26, s29, v26
	s_waitcnt lgkmcnt(0)
	v_ashrrev_i32_e32 v87, s3, v87
	v_lshlrev_b32_e32 v87, 2, v87
	v_and_b32_e32 v61, 0x3030303, v26
	v_bfe_u32 v26, v26, 24, 2
	v_and_b32_e32 v87, 0x4040404, v87
	v_sub_u16_e32 v123, v61, v87
	v_sub_u16_sdwa v124, v61, v87 dst_sel:BYTE_1 dst_unused:UNUSED_PAD src0_sel:BYTE_1 src1_sel:BYTE_1
	v_sub_u16_sdwa v26, v26, v87 dst_sel:BYTE_1 dst_unused:UNUSED_PAD src0_sel:DWORD src1_sel:BYTE_3
	v_sub_u16_sdwa v61, v61, v87 dst_sel:DWORD dst_unused:UNUSED_PAD src0_sel:WORD_1 src1_sel:WORD_1
	v_or_b32_sdwa v123, v123, v124 dst_sel:DWORD dst_unused:UNUSED_PAD src0_sel:BYTE_0 src1_sel:DWORD
	v_or_b32_sdwa v26, v61, v26 dst_sel:WORD_1 dst_unused:UNUSED_PAD src0_sel:BYTE_0 src1_sel:DWORD
	v_ashrrev_i32_e32 v61, s3, v88
	v_or_b32_sdwa v123, v123, v26 dst_sel:DWORD dst_unused:UNUSED_PAD src0_sel:WORD_0 src1_sel:DWORD
	v_ashrrev_i32_e32 v26, s29, v27
	v_lshlrev_b32_e32 v61, 2, v61
	v_and_b32_e32 v27, 0x3030303, v26
	v_bfe_u32 v26, v26, 24, 2
	v_and_b32_e32 v61, 0x4040404, v61
	v_sub_u16_e32 v87, v27, v61
	v_sub_u16_sdwa v88, v27, v61 dst_sel:BYTE_1 dst_unused:UNUSED_PAD src0_sel:BYTE_1 src1_sel:BYTE_1
	v_sub_u16_sdwa v26, v26, v61 dst_sel:BYTE_1 dst_unused:UNUSED_PAD src0_sel:DWORD src1_sel:BYTE_3
	v_sub_u16_sdwa v27, v27, v61 dst_sel:DWORD dst_unused:UNUSED_PAD src0_sel:WORD_1 src1_sel:WORD_1
	v_or_b32_sdwa v87, v87, v88 dst_sel:DWORD dst_unused:UNUSED_PAD src0_sel:BYTE_0 src1_sel:DWORD
	v_or_b32_sdwa v26, v27, v26 dst_sel:WORD_1 dst_unused:UNUSED_PAD src0_sel:BYTE_0 src1_sel:DWORD
	v_or_b32_sdwa v124, v87, v26 dst_sel:DWORD dst_unused:UNUSED_PAD src0_sel:WORD_0 src1_sel:DWORD
	v_add_u32_e32 v26, 0x2110, v121
	ds_read2_b32 v[26:27], v26 offset1:1
	ds_read2_b32 v[87:88], v89 offset0:4 offset1:5
	s_waitcnt lgkmcnt(1)
	v_ashrrev_i32_e32 v26, s29, v26
	s_waitcnt lgkmcnt(0)
	v_ashrrev_i32_e32 v87, s3, v87
	v_lshlrev_b32_e32 v87, 2, v87
	v_and_b32_e32 v61, 0x3030303, v26
	v_bfe_u32 v26, v26, 24, 2
	v_and_b32_e32 v87, 0x4040404, v87
	;; [unrolled: 31-line block ×3, first 2 shown]
	v_sub_u16_e32 v89, v61, v87
	v_sub_u16_sdwa v127, v61, v87 dst_sel:BYTE_1 dst_unused:UNUSED_PAD src0_sel:BYTE_1 src1_sel:BYTE_1
	v_sub_u16_sdwa v26, v26, v87 dst_sel:BYTE_1 dst_unused:UNUSED_PAD src0_sel:DWORD src1_sel:BYTE_3
	v_sub_u16_sdwa v61, v61, v87 dst_sel:DWORD dst_unused:UNUSED_PAD src0_sel:WORD_1 src1_sel:WORD_1
	v_or_b32_sdwa v89, v89, v127 dst_sel:DWORD dst_unused:UNUSED_PAD src0_sel:BYTE_0 src1_sel:DWORD
	v_or_b32_sdwa v26, v61, v26 dst_sel:WORD_1 dst_unused:UNUSED_PAD src0_sel:BYTE_0 src1_sel:DWORD
	v_ashrrev_i32_e32 v61, s3, v88
	v_or_b32_sdwa v127, v89, v26 dst_sel:DWORD dst_unused:UNUSED_PAD src0_sel:WORD_0 src1_sel:DWORD
	v_ashrrev_i32_e32 v26, s29, v27
	v_lshlrev_b32_e32 v61, 2, v61
	v_and_b32_e32 v27, 0x3030303, v26
	v_bfe_u32 v26, v26, 24, 2
	v_and_b32_e32 v61, 0x4040404, v61
	v_sub_u16_e32 v87, v27, v61
	v_sub_u16_sdwa v88, v27, v61 dst_sel:BYTE_1 dst_unused:UNUSED_PAD src0_sel:BYTE_1 src1_sel:BYTE_1
	v_sub_u16_sdwa v26, v26, v61 dst_sel:BYTE_1 dst_unused:UNUSED_PAD src0_sel:DWORD src1_sel:BYTE_3
	v_sub_u16_sdwa v27, v27, v61 dst_sel:DWORD dst_unused:UNUSED_PAD src0_sel:WORD_1 src1_sel:WORD_1
	v_or_b32_sdwa v87, v87, v88 dst_sel:DWORD dst_unused:UNUSED_PAD src0_sel:BYTE_0 src1_sel:DWORD
	v_or_b32_sdwa v26, v27, v26 dst_sel:WORD_1 dst_unused:UNUSED_PAD src0_sel:BYTE_0 src1_sel:DWORD
	v_or_b32_sdwa v89, v87, v26 dst_sel:DWORD dst_unused:UNUSED_PAD src0_sel:WORD_0 src1_sel:DWORD
	v_add_u32_e32 v26, s28, v78
	v_add3_u32 v27, s19, v108, v109
	ds_read_b32 v61, v27
	ds_read_u16 v26, v26 offset:27378
	v_dot4_i32_i8 v27, v93, v5, 0
	v_dot4_i32_i8 v27, v122, v6, v27
	;; [unrolled: 1-line block ×4, first 2 shown]
	s_waitcnt lgkmcnt(0)
	v_lshrrev_b16_e32 v88, 8, v26
	v_bfe_i32 v26, v26, 0, 8
	v_dot4_i32_i8 v87, v125, v1, 0
	v_mul_lo_u32 v26, v27, v26
	v_dot4_i32_i8 v87, v126, v2, v87
	v_dot4_i32_i8 v87, v127, v3, v87
	;; [unrolled: 1-line block ×3, first 2 shown]
	v_bfe_i32 v88, v88, 0, 8
                                        ; kill: def $vgpr27 killed $sgpr0 killed $exec
	v_add3_u32 v89, s30, v110, v111
	v_mad_u64_u32 v[26:27], s[34:35], v87, v88, v[26:27]
	v_mul_f32_e32 v27, v120, v61
	ds_read2_b32 v[87:88], v89 offset1:1
	v_cvt_f32_i32_e32 v26, v26
	v_fmac_f32_e32 v75, v27, v26
	v_add_u32_e32 v26, 0x3180, v121
	ds_read2_b32 v[26:27], v26 offset1:1
	s_waitcnt lgkmcnt(1)
	v_ashrrev_i32_e32 v87, s3, v87
	v_lshlrev_b32_e32 v87, 2, v87
	v_and_b32_e32 v87, 0x4040404, v87
	s_waitcnt lgkmcnt(0)
	v_ashrrev_i32_e32 v26, s29, v26
	v_and_b32_e32 v61, 0x3030303, v26
	v_bfe_u32 v26, v26, 24, 2
	v_sub_u16_e32 v93, v61, v87
	v_sub_u16_sdwa v122, v61, v87 dst_sel:BYTE_1 dst_unused:UNUSED_PAD src0_sel:BYTE_1 src1_sel:BYTE_1
	v_sub_u16_sdwa v26, v26, v87 dst_sel:BYTE_1 dst_unused:UNUSED_PAD src0_sel:DWORD src1_sel:BYTE_3
	v_sub_u16_sdwa v61, v61, v87 dst_sel:DWORD dst_unused:UNUSED_PAD src0_sel:WORD_1 src1_sel:WORD_1
	v_or_b32_sdwa v93, v93, v122 dst_sel:DWORD dst_unused:UNUSED_PAD src0_sel:BYTE_0 src1_sel:DWORD
	v_or_b32_sdwa v26, v61, v26 dst_sel:WORD_1 dst_unused:UNUSED_PAD src0_sel:BYTE_0 src1_sel:DWORD
	v_ashrrev_i32_e32 v61, s3, v88
	v_or_b32_sdwa v93, v93, v26 dst_sel:DWORD dst_unused:UNUSED_PAD src0_sel:WORD_0 src1_sel:DWORD
	v_ashrrev_i32_e32 v26, s29, v27
	v_lshlrev_b32_e32 v61, 2, v61
	v_and_b32_e32 v27, 0x3030303, v26
	v_bfe_u32 v26, v26, 24, 2
	v_and_b32_e32 v61, 0x4040404, v61
	v_sub_u16_e32 v87, v27, v61
	v_sub_u16_sdwa v88, v27, v61 dst_sel:BYTE_1 dst_unused:UNUSED_PAD src0_sel:BYTE_1 src1_sel:BYTE_1
	v_sub_u16_sdwa v26, v26, v61 dst_sel:BYTE_1 dst_unused:UNUSED_PAD src0_sel:DWORD src1_sel:BYTE_3
	v_sub_u16_sdwa v27, v27, v61 dst_sel:DWORD dst_unused:UNUSED_PAD src0_sel:WORD_1 src1_sel:WORD_1
	v_or_b32_sdwa v87, v87, v88 dst_sel:DWORD dst_unused:UNUSED_PAD src0_sel:BYTE_0 src1_sel:DWORD
	v_or_b32_sdwa v26, v27, v26 dst_sel:WORD_1 dst_unused:UNUSED_PAD src0_sel:BYTE_0 src1_sel:DWORD
	v_or_b32_sdwa v122, v87, v26 dst_sel:DWORD dst_unused:UNUSED_PAD src0_sel:WORD_0 src1_sel:DWORD
	v_add_u32_e32 v26, 0x3188, v121
	ds_read2_b32 v[26:27], v26 offset1:1
	ds_read2_b32 v[87:88], v89 offset0:2 offset1:3
	v_dot4_i32_i8 v5, v93, v5, 0
	v_dot4_i32_i8 v5, v122, v6, v5
	s_waitcnt lgkmcnt(1)
	v_ashrrev_i32_e32 v26, s29, v26
	s_waitcnt lgkmcnt(0)
	v_ashrrev_i32_e32 v87, s3, v87
	v_lshlrev_b32_e32 v87, 2, v87
	v_and_b32_e32 v61, 0x3030303, v26
	v_bfe_u32 v26, v26, 24, 2
	v_and_b32_e32 v87, 0x4040404, v87
	v_sub_u16_e32 v123, v61, v87
	v_sub_u16_sdwa v124, v61, v87 dst_sel:BYTE_1 dst_unused:UNUSED_PAD src0_sel:BYTE_1 src1_sel:BYTE_1
	v_sub_u16_sdwa v26, v26, v87 dst_sel:BYTE_1 dst_unused:UNUSED_PAD src0_sel:DWORD src1_sel:BYTE_3
	v_sub_u16_sdwa v61, v61, v87 dst_sel:DWORD dst_unused:UNUSED_PAD src0_sel:WORD_1 src1_sel:WORD_1
	v_or_b32_sdwa v123, v123, v124 dst_sel:DWORD dst_unused:UNUSED_PAD src0_sel:BYTE_0 src1_sel:DWORD
	v_or_b32_sdwa v26, v61, v26 dst_sel:WORD_1 dst_unused:UNUSED_PAD src0_sel:BYTE_0 src1_sel:DWORD
	v_ashrrev_i32_e32 v61, s3, v88
	v_or_b32_sdwa v123, v123, v26 dst_sel:DWORD dst_unused:UNUSED_PAD src0_sel:WORD_0 src1_sel:DWORD
	v_ashrrev_i32_e32 v26, s29, v27
	v_lshlrev_b32_e32 v61, 2, v61
	v_and_b32_e32 v27, 0x3030303, v26
	v_bfe_u32 v26, v26, 24, 2
	v_and_b32_e32 v61, 0x4040404, v61
	v_sub_u16_e32 v87, v27, v61
	v_sub_u16_sdwa v88, v27, v61 dst_sel:BYTE_1 dst_unused:UNUSED_PAD src0_sel:BYTE_1 src1_sel:BYTE_1
	v_sub_u16_sdwa v26, v26, v61 dst_sel:BYTE_1 dst_unused:UNUSED_PAD src0_sel:DWORD src1_sel:BYTE_3
	v_sub_u16_sdwa v27, v27, v61 dst_sel:DWORD dst_unused:UNUSED_PAD src0_sel:WORD_1 src1_sel:WORD_1
	v_or_b32_sdwa v87, v87, v88 dst_sel:DWORD dst_unused:UNUSED_PAD src0_sel:BYTE_0 src1_sel:DWORD
	v_or_b32_sdwa v26, v27, v26 dst_sel:WORD_1 dst_unused:UNUSED_PAD src0_sel:BYTE_0 src1_sel:DWORD
	v_or_b32_sdwa v124, v87, v26 dst_sel:DWORD dst_unused:UNUSED_PAD src0_sel:WORD_0 src1_sel:DWORD
	v_add_u32_e32 v26, 0x3190, v121
	ds_read2_b32 v[26:27], v26 offset1:1
	ds_read2_b32 v[87:88], v89 offset0:4 offset1:5
	v_dot4_i32_i8 v5, v123, v7, v5
	v_dot4_i32_i8 v5, v124, v8, v5
	s_waitcnt lgkmcnt(1)
	v_ashrrev_i32_e32 v26, s29, v26
	s_waitcnt lgkmcnt(0)
	v_ashrrev_i32_e32 v87, s3, v87
	v_lshlrev_b32_e32 v87, 2, v87
	v_and_b32_e32 v61, 0x3030303, v26
	v_bfe_u32 v26, v26, 24, 2
	v_and_b32_e32 v87, 0x4040404, v87
	;; [unrolled: 33-line block ×3, first 2 shown]
	v_sub_u16_e32 v89, v61, v87
	v_sub_u16_sdwa v121, v61, v87 dst_sel:BYTE_1 dst_unused:UNUSED_PAD src0_sel:BYTE_1 src1_sel:BYTE_1
	v_sub_u16_sdwa v26, v26, v87 dst_sel:BYTE_1 dst_unused:UNUSED_PAD src0_sel:DWORD src1_sel:BYTE_3
	v_sub_u16_sdwa v61, v61, v87 dst_sel:DWORD dst_unused:UNUSED_PAD src0_sel:WORD_1 src1_sel:WORD_1
	v_or_b32_sdwa v89, v89, v121 dst_sel:DWORD dst_unused:UNUSED_PAD src0_sel:BYTE_0 src1_sel:DWORD
	v_or_b32_sdwa v26, v61, v26 dst_sel:WORD_1 dst_unused:UNUSED_PAD src0_sel:BYTE_0 src1_sel:DWORD
	v_ashrrev_i32_e32 v61, s3, v88
	v_or_b32_sdwa v121, v89, v26 dst_sel:DWORD dst_unused:UNUSED_PAD src0_sel:WORD_0 src1_sel:DWORD
	v_ashrrev_i32_e32 v26, s29, v27
	v_lshlrev_b32_e32 v61, 2, v61
	v_and_b32_e32 v27, 0x3030303, v26
	v_bfe_u32 v26, v26, 24, 2
	v_and_b32_e32 v61, 0x4040404, v61
	v_sub_u16_e32 v87, v27, v61
	v_sub_u16_sdwa v88, v27, v61 dst_sel:BYTE_1 dst_unused:UNUSED_PAD src0_sel:BYTE_1 src1_sel:BYTE_1
	v_sub_u16_sdwa v26, v26, v61 dst_sel:BYTE_1 dst_unused:UNUSED_PAD src0_sel:DWORD src1_sel:BYTE_3
	v_sub_u16_sdwa v27, v27, v61 dst_sel:DWORD dst_unused:UNUSED_PAD src0_sel:WORD_1 src1_sel:WORD_1
	v_or_b32_sdwa v87, v87, v88 dst_sel:DWORD dst_unused:UNUSED_PAD src0_sel:BYTE_0 src1_sel:DWORD
	v_or_b32_sdwa v26, v27, v26 dst_sel:WORD_1 dst_unused:UNUSED_PAD src0_sel:BYTE_0 src1_sel:DWORD
	v_or_b32_sdwa v127, v87, v26 dst_sel:DWORD dst_unused:UNUSED_PAD src0_sel:WORD_0 src1_sel:DWORD
	v_add_u32_e32 v88, s28, v77
	v_add3_u32 v26, s19, v112, v113
	v_dot4_i32_i8 v1, v121, v3, v1
	ds_read_b32 v89, v26
	v_dot4_i32_i8 v2, v127, v4, v1
	ds_read_u16 v1, v88 offset:28402
	s_add_i32 s3, s3, 1
	s_cmp_lt_u32 s18, 22
	s_mov_b32 s19, s18
	s_waitcnt lgkmcnt(0)
	v_lshrrev_b16_e32 v3, 8, v1
	v_bfe_i32 v1, v1, 0, 8
	v_mul_lo_u32 v1, v5, v1
	v_bfe_i32 v3, v3, 0, 8
	v_mad_u64_u32 v[1:2], s[28:29], v2, v3, v[1:2]
	v_mul_f32_e32 v2, v120, v89
	v_cvt_f32_i32_e32 v1, v1
	v_fmac_f32_e32 v25, v2, v1
	s_cbranch_scc1 .LBB190_27
; %bb.28:                               ;   in Loop: Header=BB190_5 Depth=1
	s_or_b32 s2, s26, 0x180
	s_cmp_ge_i32 s2, s9
	s_barrier
	s_cbranch_scc1 .LBB190_4
; %bb.29:                               ;   in Loop: Header=BB190_5 Depth=1
	buffer_load_dword v1, off, s[36:39], 0 offset:12 ; 4-byte Folded Reload
	s_waitcnt vmcnt(0)
	v_add_u32_e32 v1, s27, v1
	v_cmp_gt_i32_e64 s[2:3], s12, v1
	s_and_b64 s[18:19], s[0:1], s[2:3]
	s_and_saveexec_b64 s[2:3], s[18:19]
	s_cbranch_execz .LBB190_31
; %bb.30:                               ;   in Loop: Header=BB190_5 Depth=1
	buffer_load_dword v2, off, s[36:39], 0  ; 4-byte Folded Reload
	buffer_load_dword v3, off, s[36:39], 0 offset:4 ; 4-byte Folded Reload
	v_add_u32_e32 v1, v90, v1
	s_waitcnt vmcnt(0)
	v_mad_i64_i32 v[1:2], s[18:19], v1, 36, v[2:3]
	global_load_dword v1, v[1:2], off offset:4
	s_waitcnt vmcnt(0)
	ds_write_b32 v72, v1
.LBB190_31:                             ;   in Loop: Header=BB190_5 Depth=1
	s_or_b64 exec, exec, s[2:3]
	s_and_saveexec_b64 s[18:19], vcc
	s_cbranch_execz .LBB190_34
; %bb.32:                               ;   in Loop: Header=BB190_5 Depth=1
	v_or_b32_e32 v1, 12, v117
	v_cmp_gt_i32_e64 s[2:3], s12, v1
	s_and_b64 s[2:3], s[0:1], s[2:3]
	s_and_b64 exec, exec, s[2:3]
	s_cbranch_execz .LBB190_34
; %bb.33:                               ;   in Loop: Header=BB190_5 Depth=1
	v_ashrrev_i32_e32 v1, 31, v117
	v_add_co_u32_e64 v2, s[2:3], v90, v117
	v_ashrrev_i32_e32 v3, 31, v90
	v_addc_co_u32_e64 v3, s[2:3], v3, v1, s[2:3]
	v_mad_u64_u32 v[1:2], s[2:3], v2, 36, s[6:7]
	v_mad_i32_i24 v2, v3, 36, v2
	global_load_dword v1, v[1:2], off offset:432
	s_waitcnt vmcnt(0)
	v_cvt_f32_f16_e32 v1, v1
	ds_write_b32 v74, v1
.LBB190_34:                             ;   in Loop: Header=BB190_5 Depth=1
	s_or_b64 exec, exec, s[18:19]
	s_mov_b32 s2, 24
	s_mov_b32 s19, 22
	;; [unrolled: 1-line block ×3, first 2 shown]
	v_mov_b32_e32 v117, v71
	v_mov_b32_e32 v118, v73
	s_waitcnt lgkmcnt(0)
	s_barrier
.LBB190_35:                             ;   Parent Loop BB190_5 Depth=1
                                        ; =>  This Inner Loop Header: Depth=2
	s_add_i32 s18, s19, 2
	s_lshr_b32 s29, s18, 4
	s_and_b32 s28, s18, 0x3ffffff8
	v_lshl_add_u32 v120, s28, 2, v91
	s_lshl_b32 s28, s29, 5
	s_addk_i32 s28, 0x4200
	v_add3_u32 v125, s28, v114, v101
	ds_read_b32 v119, v118
	ds_read_b128 v[5:8], v117
	ds_read_b128 v[1:4], v117 offset:16
	ds_read2_b32 v[26:27], v120 offset1:1
	ds_read2_b32 v[87:88], v125 offset1:1
	s_sub_i32 s27, s19, 22
	s_and_b32 s26, s2, -16
	s_add_i32 s26, s19, s26
	s_waitcnt lgkmcnt(1)
	v_ashrrev_i32_e32 v26, s27, v26
	s_waitcnt lgkmcnt(0)
	v_ashrrev_i32_e32 v87, s3, v87
	v_lshlrev_b32_e32 v87, 2, v87
	v_and_b32_e32 v61, 0x3030303, v26
	v_bfe_u32 v26, v26, 24, 2
	v_and_b32_e32 v87, 0x4040404, v87
	v_sub_u16_e32 v89, v61, v87
	v_sub_u16_sdwa v93, v61, v87 dst_sel:BYTE_1 dst_unused:UNUSED_PAD src0_sel:BYTE_1 src1_sel:BYTE_1
	v_sub_u16_sdwa v26, v26, v87 dst_sel:BYTE_1 dst_unused:UNUSED_PAD src0_sel:DWORD src1_sel:BYTE_3
	v_sub_u16_sdwa v61, v61, v87 dst_sel:DWORD dst_unused:UNUSED_PAD src0_sel:WORD_1 src1_sel:WORD_1
	v_or_b32_sdwa v89, v89, v93 dst_sel:DWORD dst_unused:UNUSED_PAD src0_sel:BYTE_0 src1_sel:DWORD
	v_or_b32_sdwa v26, v61, v26 dst_sel:WORD_1 dst_unused:UNUSED_PAD src0_sel:BYTE_0 src1_sel:DWORD
	v_ashrrev_i32_e32 v61, s3, v88
	v_or_b32_sdwa v93, v89, v26 dst_sel:DWORD dst_unused:UNUSED_PAD src0_sel:WORD_0 src1_sel:DWORD
	v_ashrrev_i32_e32 v26, s27, v27
	v_lshlrev_b32_e32 v61, 2, v61
	v_and_b32_e32 v27, 0x3030303, v26
	v_bfe_u32 v26, v26, 24, 2
	v_and_b32_e32 v61, 0x4040404, v61
	v_sub_u16_e32 v87, v27, v61
	v_sub_u16_sdwa v88, v27, v61 dst_sel:BYTE_1 dst_unused:UNUSED_PAD src0_sel:BYTE_1 src1_sel:BYTE_1
	v_sub_u16_sdwa v26, v26, v61 dst_sel:BYTE_1 dst_unused:UNUSED_PAD src0_sel:DWORD src1_sel:BYTE_3
	v_sub_u16_sdwa v27, v27, v61 dst_sel:DWORD dst_unused:UNUSED_PAD src0_sel:WORD_1 src1_sel:WORD_1
	v_or_b32_sdwa v87, v87, v88 dst_sel:DWORD dst_unused:UNUSED_PAD src0_sel:BYTE_0 src1_sel:DWORD
	v_or_b32_sdwa v26, v27, v26 dst_sel:WORD_1 dst_unused:UNUSED_PAD src0_sel:BYTE_0 src1_sel:DWORD
	v_or_b32_sdwa v121, v87, v26 dst_sel:DWORD dst_unused:UNUSED_PAD src0_sel:WORD_0 src1_sel:DWORD
	ds_read2_b32 v[26:27], v120 offset0:2 offset1:3
	ds_read2_b32 v[87:88], v125 offset0:2 offset1:3
	s_lshl_b32 s19, s29, 2
	s_addk_i32 s19, 0x7380
	s_add_i32 s2, s2, 2
	s_waitcnt lgkmcnt(1)
	v_ashrrev_i32_e32 v26, s27, v26
	s_waitcnt lgkmcnt(0)
	v_ashrrev_i32_e32 v87, s3, v87
	v_lshlrev_b32_e32 v87, 2, v87
	v_and_b32_e32 v61, 0x3030303, v26
	v_bfe_u32 v26, v26, 24, 2
	v_and_b32_e32 v87, 0x4040404, v87
	v_sub_u16_e32 v89, v61, v87
	v_sub_u16_sdwa v122, v61, v87 dst_sel:BYTE_1 dst_unused:UNUSED_PAD src0_sel:BYTE_1 src1_sel:BYTE_1
	v_sub_u16_sdwa v26, v26, v87 dst_sel:BYTE_1 dst_unused:UNUSED_PAD src0_sel:DWORD src1_sel:BYTE_3
	v_sub_u16_sdwa v61, v61, v87 dst_sel:DWORD dst_unused:UNUSED_PAD src0_sel:WORD_1 src1_sel:WORD_1
	v_or_b32_sdwa v89, v89, v122 dst_sel:DWORD dst_unused:UNUSED_PAD src0_sel:BYTE_0 src1_sel:DWORD
	v_or_b32_sdwa v26, v61, v26 dst_sel:WORD_1 dst_unused:UNUSED_PAD src0_sel:BYTE_0 src1_sel:DWORD
	v_ashrrev_i32_e32 v61, s3, v88
	v_or_b32_sdwa v122, v89, v26 dst_sel:DWORD dst_unused:UNUSED_PAD src0_sel:WORD_0 src1_sel:DWORD
	v_ashrrev_i32_e32 v26, s27, v27
	v_lshlrev_b32_e32 v61, 2, v61
	v_and_b32_e32 v27, 0x3030303, v26
	v_bfe_u32 v26, v26, 24, 2
	v_and_b32_e32 v61, 0x4040404, v61
	v_sub_u16_e32 v87, v27, v61
	v_sub_u16_sdwa v88, v27, v61 dst_sel:BYTE_1 dst_unused:UNUSED_PAD src0_sel:BYTE_1 src1_sel:BYTE_1
	v_sub_u16_sdwa v26, v26, v61 dst_sel:BYTE_1 dst_unused:UNUSED_PAD src0_sel:DWORD src1_sel:BYTE_3
	v_sub_u16_sdwa v27, v27, v61 dst_sel:DWORD dst_unused:UNUSED_PAD src0_sel:WORD_1 src1_sel:WORD_1
	v_or_b32_sdwa v87, v87, v88 dst_sel:DWORD dst_unused:UNUSED_PAD src0_sel:BYTE_0 src1_sel:DWORD
	v_or_b32_sdwa v26, v27, v26 dst_sel:WORD_1 dst_unused:UNUSED_PAD src0_sel:BYTE_0 src1_sel:DWORD
	v_or_b32_sdwa v89, v87, v26 dst_sel:DWORD dst_unused:UNUSED_PAD src0_sel:WORD_0 src1_sel:DWORD
	ds_read2_b32 v[26:27], v120 offset0:4 offset1:5
	ds_read2_b32 v[87:88], v125 offset0:4 offset1:5
	v_add_u32_e32 v118, 4, v118
	v_add_u32_e32 v117, 32, v117
	s_waitcnt lgkmcnt(1)
	v_ashrrev_i32_e32 v26, s27, v26
	s_waitcnt lgkmcnt(0)
	v_ashrrev_i32_e32 v87, s3, v87
	v_lshlrev_b32_e32 v87, 2, v87
	v_and_b32_e32 v61, 0x3030303, v26
	v_bfe_u32 v26, v26, 24, 2
	v_and_b32_e32 v87, 0x4040404, v87
	v_sub_u16_e32 v123, v61, v87
	v_sub_u16_sdwa v124, v61, v87 dst_sel:BYTE_1 dst_unused:UNUSED_PAD src0_sel:BYTE_1 src1_sel:BYTE_1
	v_sub_u16_sdwa v26, v26, v87 dst_sel:BYTE_1 dst_unused:UNUSED_PAD src0_sel:DWORD src1_sel:BYTE_3
	v_sub_u16_sdwa v61, v61, v87 dst_sel:DWORD dst_unused:UNUSED_PAD src0_sel:WORD_1 src1_sel:WORD_1
	v_or_b32_sdwa v123, v123, v124 dst_sel:DWORD dst_unused:UNUSED_PAD src0_sel:BYTE_0 src1_sel:DWORD
	v_or_b32_sdwa v26, v61, v26 dst_sel:WORD_1 dst_unused:UNUSED_PAD src0_sel:BYTE_0 src1_sel:DWORD
	v_ashrrev_i32_e32 v61, s3, v88
	v_or_b32_sdwa v123, v123, v26 dst_sel:DWORD dst_unused:UNUSED_PAD src0_sel:WORD_0 src1_sel:DWORD
	v_ashrrev_i32_e32 v26, s27, v27
	v_lshlrev_b32_e32 v61, 2, v61
	v_and_b32_e32 v27, 0x3030303, v26
	v_bfe_u32 v26, v26, 24, 2
	v_and_b32_e32 v61, 0x4040404, v61
	v_sub_u16_e32 v87, v27, v61
	v_sub_u16_sdwa v88, v27, v61 dst_sel:BYTE_1 dst_unused:UNUSED_PAD src0_sel:BYTE_1 src1_sel:BYTE_1
	v_sub_u16_sdwa v26, v26, v61 dst_sel:BYTE_1 dst_unused:UNUSED_PAD src0_sel:DWORD src1_sel:BYTE_3
	v_sub_u16_sdwa v27, v27, v61 dst_sel:DWORD dst_unused:UNUSED_PAD src0_sel:WORD_1 src1_sel:WORD_1
	v_or_b32_sdwa v87, v87, v88 dst_sel:DWORD dst_unused:UNUSED_PAD src0_sel:BYTE_0 src1_sel:DWORD
	v_or_b32_sdwa v26, v27, v26 dst_sel:WORD_1 dst_unused:UNUSED_PAD src0_sel:BYTE_0 src1_sel:DWORD
	v_or_b32_sdwa v124, v87, v26 dst_sel:DWORD dst_unused:UNUSED_PAD src0_sel:WORD_0 src1_sel:DWORD
	ds_read2_b32 v[26:27], v120 offset0:6 offset1:7
	ds_read2_b32 v[87:88], v125 offset0:6 offset1:7
	s_waitcnt lgkmcnt(1)
	v_ashrrev_i32_e32 v26, s27, v26
	s_waitcnt lgkmcnt(0)
	v_ashrrev_i32_e32 v87, s3, v87
	v_lshlrev_b32_e32 v87, 2, v87
	v_and_b32_e32 v61, 0x3030303, v26
	v_bfe_u32 v26, v26, 24, 2
	v_and_b32_e32 v87, 0x4040404, v87
	v_sub_u16_e32 v125, v61, v87
	v_sub_u16_sdwa v126, v61, v87 dst_sel:BYTE_1 dst_unused:UNUSED_PAD src0_sel:BYTE_1 src1_sel:BYTE_1
	v_sub_u16_sdwa v26, v26, v87 dst_sel:BYTE_1 dst_unused:UNUSED_PAD src0_sel:DWORD src1_sel:BYTE_3
	v_sub_u16_sdwa v61, v61, v87 dst_sel:DWORD dst_unused:UNUSED_PAD src0_sel:WORD_1 src1_sel:WORD_1
	v_or_b32_sdwa v125, v125, v126 dst_sel:DWORD dst_unused:UNUSED_PAD src0_sel:BYTE_0 src1_sel:DWORD
	v_or_b32_sdwa v26, v61, v26 dst_sel:WORD_1 dst_unused:UNUSED_PAD src0_sel:BYTE_0 src1_sel:DWORD
	v_ashrrev_i32_e32 v61, s3, v88
	v_or_b32_sdwa v125, v125, v26 dst_sel:DWORD dst_unused:UNUSED_PAD src0_sel:WORD_0 src1_sel:DWORD
	v_ashrrev_i32_e32 v26, s27, v27
	v_lshlrev_b32_e32 v61, 2, v61
	v_and_b32_e32 v27, 0x3030303, v26
	v_bfe_u32 v26, v26, 24, 2
	v_and_b32_e32 v61, 0x4040404, v61
	v_sub_u16_e32 v87, v27, v61
	v_sub_u16_sdwa v88, v27, v61 dst_sel:BYTE_1 dst_unused:UNUSED_PAD src0_sel:BYTE_1 src1_sel:BYTE_1
	v_sub_u16_sdwa v26, v26, v61 dst_sel:BYTE_1 dst_unused:UNUSED_PAD src0_sel:DWORD src1_sel:BYTE_3
	v_sub_u16_sdwa v27, v27, v61 dst_sel:DWORD dst_unused:UNUSED_PAD src0_sel:WORD_1 src1_sel:WORD_1
	v_or_b32_sdwa v87, v87, v88 dst_sel:DWORD dst_unused:UNUSED_PAD src0_sel:BYTE_0 src1_sel:DWORD
	v_or_b32_sdwa v26, v27, v26 dst_sel:WORD_1 dst_unused:UNUSED_PAD src0_sel:BYTE_0 src1_sel:DWORD
	v_or_b32_sdwa v126, v87, v26 dst_sel:DWORD dst_unused:UNUSED_PAD src0_sel:WORD_0 src1_sel:DWORD
	v_add_u32_e32 v26, s26, v80
	v_add3_u32 v27, s19, v115, v116
	ds_read_b32 v61, v27
	ds_read_u16 v26, v26 offset:25330
	v_dot4_i32_i8 v27, v93, v5, 0
	v_dot4_i32_i8 v27, v121, v6, v27
	;; [unrolled: 1-line block ×4, first 2 shown]
	s_waitcnt lgkmcnt(0)
	v_lshrrev_b16_e32 v88, 8, v26
	v_bfe_i32 v26, v26, 0, 8
	v_dot4_i32_i8 v87, v123, v1, 0
	v_mul_lo_u32 v26, v27, v26
	v_dot4_i32_i8 v87, v124, v2, v87
	v_dot4_i32_i8 v87, v125, v3, v87
	;; [unrolled: 1-line block ×3, first 2 shown]
	v_bfe_i32 v88, v88, 0, 8
                                        ; kill: def $vgpr27 killed $sgpr0 killed $exec
	v_add3_u32 v125, s28, v102, v103
	v_mad_u64_u32 v[26:27], s[30:31], v87, v88, v[26:27]
	v_mul_f32_e32 v27, v119, v61
	ds_read2_b32 v[87:88], v125 offset1:1
	v_cvt_f32_i32_e32 v26, v26
	v_fmac_f32_e32 v29, v27, v26
	v_add_u32_e32 v26, 0x1080, v120
	ds_read2_b32 v[26:27], v26 offset1:1
	s_waitcnt lgkmcnt(1)
	v_ashrrev_i32_e32 v87, s3, v87
	v_lshlrev_b32_e32 v87, 2, v87
	v_and_b32_e32 v87, 0x4040404, v87
	s_waitcnt lgkmcnt(0)
	v_ashrrev_i32_e32 v26, s27, v26
	v_and_b32_e32 v61, 0x3030303, v26
	v_bfe_u32 v26, v26, 24, 2
	v_sub_u16_e32 v89, v61, v87
	v_sub_u16_sdwa v93, v61, v87 dst_sel:BYTE_1 dst_unused:UNUSED_PAD src0_sel:BYTE_1 src1_sel:BYTE_1
	v_sub_u16_sdwa v26, v26, v87 dst_sel:BYTE_1 dst_unused:UNUSED_PAD src0_sel:DWORD src1_sel:BYTE_3
	v_sub_u16_sdwa v61, v61, v87 dst_sel:DWORD dst_unused:UNUSED_PAD src0_sel:WORD_1 src1_sel:WORD_1
	v_or_b32_sdwa v89, v89, v93 dst_sel:DWORD dst_unused:UNUSED_PAD src0_sel:BYTE_0 src1_sel:DWORD
	v_or_b32_sdwa v26, v61, v26 dst_sel:WORD_1 dst_unused:UNUSED_PAD src0_sel:BYTE_0 src1_sel:DWORD
	v_ashrrev_i32_e32 v61, s3, v88
	v_or_b32_sdwa v89, v89, v26 dst_sel:DWORD dst_unused:UNUSED_PAD src0_sel:WORD_0 src1_sel:DWORD
	v_ashrrev_i32_e32 v26, s27, v27
	v_lshlrev_b32_e32 v61, 2, v61
	v_and_b32_e32 v27, 0x3030303, v26
	v_bfe_u32 v26, v26, 24, 2
	v_and_b32_e32 v61, 0x4040404, v61
	v_sub_u16_e32 v87, v27, v61
	v_sub_u16_sdwa v88, v27, v61 dst_sel:BYTE_1 dst_unused:UNUSED_PAD src0_sel:BYTE_1 src1_sel:BYTE_1
	v_sub_u16_sdwa v26, v26, v61 dst_sel:BYTE_1 dst_unused:UNUSED_PAD src0_sel:DWORD src1_sel:BYTE_3
	v_sub_u16_sdwa v27, v27, v61 dst_sel:DWORD dst_unused:UNUSED_PAD src0_sel:WORD_1 src1_sel:WORD_1
	v_or_b32_sdwa v87, v87, v88 dst_sel:DWORD dst_unused:UNUSED_PAD src0_sel:BYTE_0 src1_sel:DWORD
	v_or_b32_sdwa v26, v27, v26 dst_sel:WORD_1 dst_unused:UNUSED_PAD src0_sel:BYTE_0 src1_sel:DWORD
	v_or_b32_sdwa v93, v87, v26 dst_sel:DWORD dst_unused:UNUSED_PAD src0_sel:WORD_0 src1_sel:DWORD
	v_add_u32_e32 v26, 0x1088, v120
	ds_read2_b32 v[26:27], v26 offset1:1
	ds_read2_b32 v[87:88], v125 offset0:2 offset1:3
	s_waitcnt lgkmcnt(1)
	v_ashrrev_i32_e32 v26, s27, v26
	s_waitcnt lgkmcnt(0)
	v_ashrrev_i32_e32 v87, s3, v87
	v_lshlrev_b32_e32 v87, 2, v87
	v_and_b32_e32 v61, 0x3030303, v26
	v_bfe_u32 v26, v26, 24, 2
	v_and_b32_e32 v87, 0x4040404, v87
	v_sub_u16_e32 v121, v61, v87
	v_sub_u16_sdwa v122, v61, v87 dst_sel:BYTE_1 dst_unused:UNUSED_PAD src0_sel:BYTE_1 src1_sel:BYTE_1
	v_sub_u16_sdwa v26, v26, v87 dst_sel:BYTE_1 dst_unused:UNUSED_PAD src0_sel:DWORD src1_sel:BYTE_3
	v_sub_u16_sdwa v61, v61, v87 dst_sel:DWORD dst_unused:UNUSED_PAD src0_sel:WORD_1 src1_sel:WORD_1
	v_or_b32_sdwa v121, v121, v122 dst_sel:DWORD dst_unused:UNUSED_PAD src0_sel:BYTE_0 src1_sel:DWORD
	v_or_b32_sdwa v26, v61, v26 dst_sel:WORD_1 dst_unused:UNUSED_PAD src0_sel:BYTE_0 src1_sel:DWORD
	v_ashrrev_i32_e32 v61, s3, v88
	v_or_b32_sdwa v121, v121, v26 dst_sel:DWORD dst_unused:UNUSED_PAD src0_sel:WORD_0 src1_sel:DWORD
	v_ashrrev_i32_e32 v26, s27, v27
	v_lshlrev_b32_e32 v61, 2, v61
	v_and_b32_e32 v27, 0x3030303, v26
	v_bfe_u32 v26, v26, 24, 2
	v_and_b32_e32 v61, 0x4040404, v61
	v_sub_u16_e32 v87, v27, v61
	v_sub_u16_sdwa v88, v27, v61 dst_sel:BYTE_1 dst_unused:UNUSED_PAD src0_sel:BYTE_1 src1_sel:BYTE_1
	v_sub_u16_sdwa v26, v26, v61 dst_sel:BYTE_1 dst_unused:UNUSED_PAD src0_sel:DWORD src1_sel:BYTE_3
	v_sub_u16_sdwa v27, v27, v61 dst_sel:DWORD dst_unused:UNUSED_PAD src0_sel:WORD_1 src1_sel:WORD_1
	v_or_b32_sdwa v87, v87, v88 dst_sel:DWORD dst_unused:UNUSED_PAD src0_sel:BYTE_0 src1_sel:DWORD
	v_or_b32_sdwa v26, v27, v26 dst_sel:WORD_1 dst_unused:UNUSED_PAD src0_sel:BYTE_0 src1_sel:DWORD
	v_or_b32_sdwa v122, v87, v26 dst_sel:DWORD dst_unused:UNUSED_PAD src0_sel:WORD_0 src1_sel:DWORD
	v_add_u32_e32 v26, 0x1090, v120
	ds_read2_b32 v[26:27], v26 offset1:1
	ds_read2_b32 v[87:88], v125 offset0:4 offset1:5
	s_waitcnt lgkmcnt(1)
	v_ashrrev_i32_e32 v26, s27, v26
	s_waitcnt lgkmcnt(0)
	v_ashrrev_i32_e32 v87, s3, v87
	v_lshlrev_b32_e32 v87, 2, v87
	v_and_b32_e32 v61, 0x3030303, v26
	v_bfe_u32 v26, v26, 24, 2
	v_and_b32_e32 v87, 0x4040404, v87
	;; [unrolled: 31-line block ×3, first 2 shown]
	v_sub_u16_e32 v125, v61, v87
	v_sub_u16_sdwa v126, v61, v87 dst_sel:BYTE_1 dst_unused:UNUSED_PAD src0_sel:BYTE_1 src1_sel:BYTE_1
	v_sub_u16_sdwa v26, v26, v87 dst_sel:BYTE_1 dst_unused:UNUSED_PAD src0_sel:DWORD src1_sel:BYTE_3
	v_sub_u16_sdwa v61, v61, v87 dst_sel:DWORD dst_unused:UNUSED_PAD src0_sel:WORD_1 src1_sel:WORD_1
	v_or_b32_sdwa v125, v125, v126 dst_sel:DWORD dst_unused:UNUSED_PAD src0_sel:BYTE_0 src1_sel:DWORD
	v_or_b32_sdwa v26, v61, v26 dst_sel:WORD_1 dst_unused:UNUSED_PAD src0_sel:BYTE_0 src1_sel:DWORD
	v_ashrrev_i32_e32 v61, s3, v88
	v_or_b32_sdwa v125, v125, v26 dst_sel:DWORD dst_unused:UNUSED_PAD src0_sel:WORD_0 src1_sel:DWORD
	v_ashrrev_i32_e32 v26, s27, v27
	v_lshlrev_b32_e32 v61, 2, v61
	v_and_b32_e32 v27, 0x3030303, v26
	v_bfe_u32 v26, v26, 24, 2
	v_and_b32_e32 v61, 0x4040404, v61
	v_sub_u16_e32 v87, v27, v61
	v_sub_u16_sdwa v88, v27, v61 dst_sel:BYTE_1 dst_unused:UNUSED_PAD src0_sel:BYTE_1 src1_sel:BYTE_1
	v_sub_u16_sdwa v26, v26, v61 dst_sel:BYTE_1 dst_unused:UNUSED_PAD src0_sel:DWORD src1_sel:BYTE_3
	v_sub_u16_sdwa v27, v27, v61 dst_sel:DWORD dst_unused:UNUSED_PAD src0_sel:WORD_1 src1_sel:WORD_1
	v_or_b32_sdwa v87, v87, v88 dst_sel:DWORD dst_unused:UNUSED_PAD src0_sel:BYTE_0 src1_sel:DWORD
	v_or_b32_sdwa v26, v27, v26 dst_sel:WORD_1 dst_unused:UNUSED_PAD src0_sel:BYTE_0 src1_sel:DWORD
	v_or_b32_sdwa v126, v87, v26 dst_sel:DWORD dst_unused:UNUSED_PAD src0_sel:WORD_0 src1_sel:DWORD
	v_add_u32_e32 v26, s26, v79
	v_add3_u32 v27, s19, v104, v105
	ds_read_b32 v61, v27
	ds_read_u16 v26, v26 offset:26354
	v_dot4_i32_i8 v27, v89, v5, 0
	v_dot4_i32_i8 v27, v93, v6, v27
	;; [unrolled: 1-line block ×4, first 2 shown]
	s_waitcnt lgkmcnt(0)
	v_lshrrev_b16_e32 v88, 8, v26
	v_bfe_i32 v26, v26, 0, 8
	v_dot4_i32_i8 v87, v123, v1, 0
	v_mul_lo_u32 v26, v27, v26
	v_dot4_i32_i8 v87, v124, v2, v87
	v_dot4_i32_i8 v87, v125, v3, v87
	;; [unrolled: 1-line block ×3, first 2 shown]
	v_bfe_i32 v88, v88, 0, 8
                                        ; kill: def $vgpr27 killed $sgpr0 killed $exec
	v_add3_u32 v89, s28, v106, v107
	v_mad_u64_u32 v[26:27], s[30:31], v87, v88, v[26:27]
	v_mul_f32_e32 v27, v119, v61
	ds_read2_b32 v[87:88], v89 offset1:1
	v_cvt_f32_i32_e32 v26, v26
	v_fmac_f32_e32 v76, v27, v26
	v_add_u32_e32 v26, 0x2100, v120
	ds_read2_b32 v[26:27], v26 offset1:1
	s_waitcnt lgkmcnt(1)
	v_ashrrev_i32_e32 v87, s3, v87
	v_lshlrev_b32_e32 v87, 2, v87
	v_and_b32_e32 v87, 0x4040404, v87
	s_waitcnt lgkmcnt(0)
	v_ashrrev_i32_e32 v26, s27, v26
	v_and_b32_e32 v61, 0x3030303, v26
	v_bfe_u32 v26, v26, 24, 2
	v_sub_u16_e32 v93, v61, v87
	v_sub_u16_sdwa v121, v61, v87 dst_sel:BYTE_1 dst_unused:UNUSED_PAD src0_sel:BYTE_1 src1_sel:BYTE_1
	v_sub_u16_sdwa v26, v26, v87 dst_sel:BYTE_1 dst_unused:UNUSED_PAD src0_sel:DWORD src1_sel:BYTE_3
	v_sub_u16_sdwa v61, v61, v87 dst_sel:DWORD dst_unused:UNUSED_PAD src0_sel:WORD_1 src1_sel:WORD_1
	v_or_b32_sdwa v93, v93, v121 dst_sel:DWORD dst_unused:UNUSED_PAD src0_sel:BYTE_0 src1_sel:DWORD
	v_or_b32_sdwa v26, v61, v26 dst_sel:WORD_1 dst_unused:UNUSED_PAD src0_sel:BYTE_0 src1_sel:DWORD
	v_ashrrev_i32_e32 v61, s3, v88
	v_or_b32_sdwa v93, v93, v26 dst_sel:DWORD dst_unused:UNUSED_PAD src0_sel:WORD_0 src1_sel:DWORD
	v_ashrrev_i32_e32 v26, s27, v27
	v_lshlrev_b32_e32 v61, 2, v61
	v_and_b32_e32 v27, 0x3030303, v26
	v_bfe_u32 v26, v26, 24, 2
	v_and_b32_e32 v61, 0x4040404, v61
	v_sub_u16_e32 v87, v27, v61
	v_sub_u16_sdwa v88, v27, v61 dst_sel:BYTE_1 dst_unused:UNUSED_PAD src0_sel:BYTE_1 src1_sel:BYTE_1
	v_sub_u16_sdwa v26, v26, v61 dst_sel:BYTE_1 dst_unused:UNUSED_PAD src0_sel:DWORD src1_sel:BYTE_3
	v_sub_u16_sdwa v27, v27, v61 dst_sel:DWORD dst_unused:UNUSED_PAD src0_sel:WORD_1 src1_sel:WORD_1
	v_or_b32_sdwa v87, v87, v88 dst_sel:DWORD dst_unused:UNUSED_PAD src0_sel:BYTE_0 src1_sel:DWORD
	v_or_b32_sdwa v26, v27, v26 dst_sel:WORD_1 dst_unused:UNUSED_PAD src0_sel:BYTE_0 src1_sel:DWORD
	v_or_b32_sdwa v121, v87, v26 dst_sel:DWORD dst_unused:UNUSED_PAD src0_sel:WORD_0 src1_sel:DWORD
	v_add_u32_e32 v26, 0x2108, v120
	ds_read2_b32 v[26:27], v26 offset1:1
	ds_read2_b32 v[87:88], v89 offset0:2 offset1:3
	s_waitcnt lgkmcnt(1)
	v_ashrrev_i32_e32 v26, s27, v26
	s_waitcnt lgkmcnt(0)
	v_ashrrev_i32_e32 v87, s3, v87
	v_lshlrev_b32_e32 v87, 2, v87
	v_and_b32_e32 v61, 0x3030303, v26
	v_bfe_u32 v26, v26, 24, 2
	v_and_b32_e32 v87, 0x4040404, v87
	v_sub_u16_e32 v122, v61, v87
	v_sub_u16_sdwa v123, v61, v87 dst_sel:BYTE_1 dst_unused:UNUSED_PAD src0_sel:BYTE_1 src1_sel:BYTE_1
	v_sub_u16_sdwa v26, v26, v87 dst_sel:BYTE_1 dst_unused:UNUSED_PAD src0_sel:DWORD src1_sel:BYTE_3
	v_sub_u16_sdwa v61, v61, v87 dst_sel:DWORD dst_unused:UNUSED_PAD src0_sel:WORD_1 src1_sel:WORD_1
	v_or_b32_sdwa v122, v122, v123 dst_sel:DWORD dst_unused:UNUSED_PAD src0_sel:BYTE_0 src1_sel:DWORD
	v_or_b32_sdwa v26, v61, v26 dst_sel:WORD_1 dst_unused:UNUSED_PAD src0_sel:BYTE_0 src1_sel:DWORD
	v_ashrrev_i32_e32 v61, s3, v88
	v_or_b32_sdwa v122, v122, v26 dst_sel:DWORD dst_unused:UNUSED_PAD src0_sel:WORD_0 src1_sel:DWORD
	v_ashrrev_i32_e32 v26, s27, v27
	v_lshlrev_b32_e32 v61, 2, v61
	v_and_b32_e32 v27, 0x3030303, v26
	v_bfe_u32 v26, v26, 24, 2
	v_and_b32_e32 v61, 0x4040404, v61
	v_sub_u16_e32 v87, v27, v61
	v_sub_u16_sdwa v88, v27, v61 dst_sel:BYTE_1 dst_unused:UNUSED_PAD src0_sel:BYTE_1 src1_sel:BYTE_1
	v_sub_u16_sdwa v26, v26, v61 dst_sel:BYTE_1 dst_unused:UNUSED_PAD src0_sel:DWORD src1_sel:BYTE_3
	v_sub_u16_sdwa v27, v27, v61 dst_sel:DWORD dst_unused:UNUSED_PAD src0_sel:WORD_1 src1_sel:WORD_1
	v_or_b32_sdwa v87, v87, v88 dst_sel:DWORD dst_unused:UNUSED_PAD src0_sel:BYTE_0 src1_sel:DWORD
	v_or_b32_sdwa v26, v27, v26 dst_sel:WORD_1 dst_unused:UNUSED_PAD src0_sel:BYTE_0 src1_sel:DWORD
	v_or_b32_sdwa v123, v87, v26 dst_sel:DWORD dst_unused:UNUSED_PAD src0_sel:WORD_0 src1_sel:DWORD
	v_add_u32_e32 v26, 0x2110, v120
	ds_read2_b32 v[26:27], v26 offset1:1
	ds_read2_b32 v[87:88], v89 offset0:4 offset1:5
	s_waitcnt lgkmcnt(1)
	v_ashrrev_i32_e32 v26, s27, v26
	s_waitcnt lgkmcnt(0)
	v_ashrrev_i32_e32 v87, s3, v87
	v_lshlrev_b32_e32 v87, 2, v87
	v_and_b32_e32 v61, 0x3030303, v26
	v_bfe_u32 v26, v26, 24, 2
	v_and_b32_e32 v87, 0x4040404, v87
	;; [unrolled: 31-line block ×3, first 2 shown]
	v_sub_u16_e32 v89, v61, v87
	v_sub_u16_sdwa v126, v61, v87 dst_sel:BYTE_1 dst_unused:UNUSED_PAD src0_sel:BYTE_1 src1_sel:BYTE_1
	v_sub_u16_sdwa v26, v26, v87 dst_sel:BYTE_1 dst_unused:UNUSED_PAD src0_sel:DWORD src1_sel:BYTE_3
	v_sub_u16_sdwa v61, v61, v87 dst_sel:DWORD dst_unused:UNUSED_PAD src0_sel:WORD_1 src1_sel:WORD_1
	v_or_b32_sdwa v89, v89, v126 dst_sel:DWORD dst_unused:UNUSED_PAD src0_sel:BYTE_0 src1_sel:DWORD
	v_or_b32_sdwa v26, v61, v26 dst_sel:WORD_1 dst_unused:UNUSED_PAD src0_sel:BYTE_0 src1_sel:DWORD
	v_ashrrev_i32_e32 v61, s3, v88
	v_or_b32_sdwa v126, v89, v26 dst_sel:DWORD dst_unused:UNUSED_PAD src0_sel:WORD_0 src1_sel:DWORD
	v_ashrrev_i32_e32 v26, s27, v27
	v_lshlrev_b32_e32 v61, 2, v61
	v_and_b32_e32 v27, 0x3030303, v26
	v_bfe_u32 v26, v26, 24, 2
	v_and_b32_e32 v61, 0x4040404, v61
	v_sub_u16_e32 v87, v27, v61
	v_sub_u16_sdwa v88, v27, v61 dst_sel:BYTE_1 dst_unused:UNUSED_PAD src0_sel:BYTE_1 src1_sel:BYTE_1
	v_sub_u16_sdwa v26, v26, v61 dst_sel:BYTE_1 dst_unused:UNUSED_PAD src0_sel:DWORD src1_sel:BYTE_3
	v_sub_u16_sdwa v27, v27, v61 dst_sel:DWORD dst_unused:UNUSED_PAD src0_sel:WORD_1 src1_sel:WORD_1
	v_or_b32_sdwa v87, v87, v88 dst_sel:DWORD dst_unused:UNUSED_PAD src0_sel:BYTE_0 src1_sel:DWORD
	v_or_b32_sdwa v26, v27, v26 dst_sel:WORD_1 dst_unused:UNUSED_PAD src0_sel:BYTE_0 src1_sel:DWORD
	v_or_b32_sdwa v89, v87, v26 dst_sel:DWORD dst_unused:UNUSED_PAD src0_sel:WORD_0 src1_sel:DWORD
	v_add_u32_e32 v26, s26, v78
	v_add3_u32 v27, s19, v108, v109
	ds_read_b32 v61, v27
	ds_read_u16 v26, v26 offset:27378
	v_dot4_i32_i8 v27, v93, v5, 0
	v_dot4_i32_i8 v27, v121, v6, v27
	;; [unrolled: 1-line block ×4, first 2 shown]
	s_waitcnt lgkmcnt(0)
	v_lshrrev_b16_e32 v88, 8, v26
	v_bfe_i32 v26, v26, 0, 8
	v_dot4_i32_i8 v87, v124, v1, 0
	v_mul_lo_u32 v26, v27, v26
	v_dot4_i32_i8 v87, v125, v2, v87
	v_dot4_i32_i8 v87, v126, v3, v87
	;; [unrolled: 1-line block ×3, first 2 shown]
	v_bfe_i32 v88, v88, 0, 8
                                        ; kill: def $vgpr27 killed $sgpr0 killed $exec
	v_add3_u32 v89, s28, v110, v111
	v_mad_u64_u32 v[26:27], s[30:31], v87, v88, v[26:27]
	v_mul_f32_e32 v27, v119, v61
	ds_read2_b32 v[87:88], v89 offset1:1
	v_cvt_f32_i32_e32 v26, v26
	v_fmac_f32_e32 v75, v27, v26
	v_add_u32_e32 v26, 0x3180, v120
	ds_read2_b32 v[26:27], v26 offset1:1
	s_waitcnt lgkmcnt(1)
	v_ashrrev_i32_e32 v87, s3, v87
	v_lshlrev_b32_e32 v87, 2, v87
	v_and_b32_e32 v87, 0x4040404, v87
	s_waitcnt lgkmcnt(0)
	v_ashrrev_i32_e32 v26, s27, v26
	v_and_b32_e32 v61, 0x3030303, v26
	v_bfe_u32 v26, v26, 24, 2
	v_sub_u16_e32 v93, v61, v87
	v_sub_u16_sdwa v121, v61, v87 dst_sel:BYTE_1 dst_unused:UNUSED_PAD src0_sel:BYTE_1 src1_sel:BYTE_1
	v_sub_u16_sdwa v26, v26, v87 dst_sel:BYTE_1 dst_unused:UNUSED_PAD src0_sel:DWORD src1_sel:BYTE_3
	v_sub_u16_sdwa v61, v61, v87 dst_sel:DWORD dst_unused:UNUSED_PAD src0_sel:WORD_1 src1_sel:WORD_1
	v_or_b32_sdwa v93, v93, v121 dst_sel:DWORD dst_unused:UNUSED_PAD src0_sel:BYTE_0 src1_sel:DWORD
	v_or_b32_sdwa v26, v61, v26 dst_sel:WORD_1 dst_unused:UNUSED_PAD src0_sel:BYTE_0 src1_sel:DWORD
	v_ashrrev_i32_e32 v61, s3, v88
	v_or_b32_sdwa v93, v93, v26 dst_sel:DWORD dst_unused:UNUSED_PAD src0_sel:WORD_0 src1_sel:DWORD
	v_ashrrev_i32_e32 v26, s27, v27
	v_lshlrev_b32_e32 v61, 2, v61
	v_and_b32_e32 v27, 0x3030303, v26
	v_bfe_u32 v26, v26, 24, 2
	v_and_b32_e32 v61, 0x4040404, v61
	v_sub_u16_e32 v87, v27, v61
	v_sub_u16_sdwa v88, v27, v61 dst_sel:BYTE_1 dst_unused:UNUSED_PAD src0_sel:BYTE_1 src1_sel:BYTE_1
	v_sub_u16_sdwa v26, v26, v61 dst_sel:BYTE_1 dst_unused:UNUSED_PAD src0_sel:DWORD src1_sel:BYTE_3
	v_sub_u16_sdwa v27, v27, v61 dst_sel:DWORD dst_unused:UNUSED_PAD src0_sel:WORD_1 src1_sel:WORD_1
	v_or_b32_sdwa v87, v87, v88 dst_sel:DWORD dst_unused:UNUSED_PAD src0_sel:BYTE_0 src1_sel:DWORD
	v_or_b32_sdwa v26, v27, v26 dst_sel:WORD_1 dst_unused:UNUSED_PAD src0_sel:BYTE_0 src1_sel:DWORD
	v_or_b32_sdwa v121, v87, v26 dst_sel:DWORD dst_unused:UNUSED_PAD src0_sel:WORD_0 src1_sel:DWORD
	v_add_u32_e32 v26, 0x3188, v120
	ds_read2_b32 v[26:27], v26 offset1:1
	ds_read2_b32 v[87:88], v89 offset0:2 offset1:3
	v_dot4_i32_i8 v5, v93, v5, 0
	v_dot4_i32_i8 v5, v121, v6, v5
	s_waitcnt lgkmcnt(1)
	v_ashrrev_i32_e32 v26, s27, v26
	s_waitcnt lgkmcnt(0)
	v_ashrrev_i32_e32 v87, s3, v87
	v_lshlrev_b32_e32 v87, 2, v87
	v_and_b32_e32 v61, 0x3030303, v26
	v_bfe_u32 v26, v26, 24, 2
	v_and_b32_e32 v87, 0x4040404, v87
	v_sub_u16_e32 v122, v61, v87
	v_sub_u16_sdwa v123, v61, v87 dst_sel:BYTE_1 dst_unused:UNUSED_PAD src0_sel:BYTE_1 src1_sel:BYTE_1
	v_sub_u16_sdwa v26, v26, v87 dst_sel:BYTE_1 dst_unused:UNUSED_PAD src0_sel:DWORD src1_sel:BYTE_3
	v_sub_u16_sdwa v61, v61, v87 dst_sel:DWORD dst_unused:UNUSED_PAD src0_sel:WORD_1 src1_sel:WORD_1
	v_or_b32_sdwa v122, v122, v123 dst_sel:DWORD dst_unused:UNUSED_PAD src0_sel:BYTE_0 src1_sel:DWORD
	v_or_b32_sdwa v26, v61, v26 dst_sel:WORD_1 dst_unused:UNUSED_PAD src0_sel:BYTE_0 src1_sel:DWORD
	v_ashrrev_i32_e32 v61, s3, v88
	v_or_b32_sdwa v122, v122, v26 dst_sel:DWORD dst_unused:UNUSED_PAD src0_sel:WORD_0 src1_sel:DWORD
	v_ashrrev_i32_e32 v26, s27, v27
	v_lshlrev_b32_e32 v61, 2, v61
	v_and_b32_e32 v27, 0x3030303, v26
	v_bfe_u32 v26, v26, 24, 2
	v_and_b32_e32 v61, 0x4040404, v61
	v_sub_u16_e32 v87, v27, v61
	v_sub_u16_sdwa v88, v27, v61 dst_sel:BYTE_1 dst_unused:UNUSED_PAD src0_sel:BYTE_1 src1_sel:BYTE_1
	v_sub_u16_sdwa v26, v26, v61 dst_sel:BYTE_1 dst_unused:UNUSED_PAD src0_sel:DWORD src1_sel:BYTE_3
	v_sub_u16_sdwa v27, v27, v61 dst_sel:DWORD dst_unused:UNUSED_PAD src0_sel:WORD_1 src1_sel:WORD_1
	v_or_b32_sdwa v87, v87, v88 dst_sel:DWORD dst_unused:UNUSED_PAD src0_sel:BYTE_0 src1_sel:DWORD
	v_or_b32_sdwa v26, v27, v26 dst_sel:WORD_1 dst_unused:UNUSED_PAD src0_sel:BYTE_0 src1_sel:DWORD
	v_or_b32_sdwa v123, v87, v26 dst_sel:DWORD dst_unused:UNUSED_PAD src0_sel:WORD_0 src1_sel:DWORD
	v_add_u32_e32 v26, 0x3190, v120
	ds_read2_b32 v[26:27], v26 offset1:1
	ds_read2_b32 v[87:88], v89 offset0:4 offset1:5
	v_dot4_i32_i8 v5, v122, v7, v5
	v_dot4_i32_i8 v5, v123, v8, v5
	s_waitcnt lgkmcnt(1)
	v_ashrrev_i32_e32 v26, s27, v26
	s_waitcnt lgkmcnt(0)
	v_ashrrev_i32_e32 v87, s3, v87
	v_lshlrev_b32_e32 v87, 2, v87
	v_and_b32_e32 v61, 0x3030303, v26
	v_bfe_u32 v26, v26, 24, 2
	v_and_b32_e32 v87, 0x4040404, v87
	;; [unrolled: 33-line block ×3, first 2 shown]
	v_sub_u16_e32 v89, v61, v87
	v_sub_u16_sdwa v120, v61, v87 dst_sel:BYTE_1 dst_unused:UNUSED_PAD src0_sel:BYTE_1 src1_sel:BYTE_1
	v_sub_u16_sdwa v26, v26, v87 dst_sel:BYTE_1 dst_unused:UNUSED_PAD src0_sel:DWORD src1_sel:BYTE_3
	v_sub_u16_sdwa v61, v61, v87 dst_sel:DWORD dst_unused:UNUSED_PAD src0_sel:WORD_1 src1_sel:WORD_1
	v_or_b32_sdwa v89, v89, v120 dst_sel:DWORD dst_unused:UNUSED_PAD src0_sel:BYTE_0 src1_sel:DWORD
	v_or_b32_sdwa v26, v61, v26 dst_sel:WORD_1 dst_unused:UNUSED_PAD src0_sel:BYTE_0 src1_sel:DWORD
	v_ashrrev_i32_e32 v61, s3, v88
	v_or_b32_sdwa v120, v89, v26 dst_sel:DWORD dst_unused:UNUSED_PAD src0_sel:WORD_0 src1_sel:DWORD
	v_ashrrev_i32_e32 v26, s27, v27
	v_lshlrev_b32_e32 v61, 2, v61
	v_and_b32_e32 v27, 0x3030303, v26
	v_bfe_u32 v26, v26, 24, 2
	v_and_b32_e32 v61, 0x4040404, v61
	v_sub_u16_e32 v87, v27, v61
	v_sub_u16_sdwa v88, v27, v61 dst_sel:BYTE_1 dst_unused:UNUSED_PAD src0_sel:BYTE_1 src1_sel:BYTE_1
	v_sub_u16_sdwa v26, v26, v61 dst_sel:BYTE_1 dst_unused:UNUSED_PAD src0_sel:DWORD src1_sel:BYTE_3
	v_sub_u16_sdwa v27, v27, v61 dst_sel:DWORD dst_unused:UNUSED_PAD src0_sel:WORD_1 src1_sel:WORD_1
	v_or_b32_sdwa v87, v87, v88 dst_sel:DWORD dst_unused:UNUSED_PAD src0_sel:BYTE_0 src1_sel:DWORD
	v_or_b32_sdwa v26, v27, v26 dst_sel:WORD_1 dst_unused:UNUSED_PAD src0_sel:BYTE_0 src1_sel:DWORD
	v_or_b32_sdwa v126, v87, v26 dst_sel:DWORD dst_unused:UNUSED_PAD src0_sel:WORD_0 src1_sel:DWORD
	v_add_u32_e32 v88, s26, v77
	v_add3_u32 v26, s19, v112, v113
	v_dot4_i32_i8 v1, v120, v3, v1
	ds_read_b32 v89, v26
	v_dot4_i32_i8 v2, v126, v4, v1
	ds_read_u16 v1, v88 offset:28402
	s_add_i32 s3, s3, 1
	s_cmp_lt_u32 s18, 30
	s_mov_b32 s19, s18
	s_waitcnt lgkmcnt(0)
	v_lshrrev_b16_e32 v3, 8, v1
	v_bfe_i32 v1, v1, 0, 8
	v_mul_lo_u32 v1, v5, v1
	v_bfe_i32 v3, v3, 0, 8
	v_mad_u64_u32 v[1:2], s[26:27], v2, v3, v[1:2]
	v_mul_f32_e32 v2, v119, v89
	v_cvt_f32_i32_e32 v1, v1
	v_fmac_f32_e32 v25, v2, v1
	s_cbranch_scc1 .LBB190_35
; %bb.36:                               ;   in Loop: Header=BB190_5 Depth=1
	s_barrier
	s_branch .LBB190_4
.LBB190_37:
	buffer_load_dword v81, off, s[36:39], 0 offset:16 ; 4-byte Folded Reload
.LBB190_38:
	s_mul_i32 s0, s14, s11
	s_waitcnt vmcnt(0)
	v_cmp_gt_i32_e32 vcc, s0, v81
	s_and_saveexec_b64 s[0:1], vcc
	s_cbranch_execz .LBB190_47
; %bb.39:
	v_mul_lo_u32 v1, v81, s13
	v_add_u32_e32 v0, s15, v0
	v_cmp_gt_u32_e32 vcc, s13, v0
	s_and_saveexec_b64 s[0:1], vcc
	s_cbranch_execz .LBB190_41
; %bb.40:
	v_add_u32_e32 v2, v1, v0
	v_mov_b32_e32 v3, 0
	v_lshlrev_b64 v[2:3], 2, v[2:3]
	v_mov_b32_e32 v4, s17
	v_add_co_u32_e32 v2, vcc, s16, v2
	v_addc_co_u32_e32 v3, vcc, v4, v3, vcc
	global_store_dword v[2:3], v29, off
.LBB190_41:
	s_or_b64 exec, exec, s[0:1]
	v_add_u32_e32 v2, 32, v0
	v_cmp_gt_u32_e32 vcc, s13, v2
	s_and_saveexec_b64 s[0:1], vcc
	s_cbranch_execz .LBB190_43
; %bb.42:
	v_add_u32_e32 v2, v1, v2
	v_mov_b32_e32 v3, 0
	v_lshlrev_b64 v[2:3], 2, v[2:3]
	v_mov_b32_e32 v4, s17
	v_add_co_u32_e32 v2, vcc, s16, v2
	v_addc_co_u32_e32 v3, vcc, v4, v3, vcc
	global_store_dword v[2:3], v76, off
.LBB190_43:
	s_or_b64 exec, exec, s[0:1]
	;; [unrolled: 14-line block ×3, first 2 shown]
	v_add_u32_e32 v0, 0x60, v0
	v_cmp_gt_u32_e32 vcc, s13, v0
	s_and_b64 exec, exec, vcc
	s_cbranch_execz .LBB190_47
; %bb.46:
	v_add_u32_e32 v0, v1, v0
	v_mov_b32_e32 v1, 0
	v_lshlrev_b64 v[0:1], 2, v[0:1]
	v_mov_b32_e32 v2, s17
	v_add_co_u32_e32 v0, vcc, s16, v0
	v_addc_co_u32_e32 v1, vcc, v2, v1, vcc
	global_store_dword v[0:1], v25, off
.LBB190_47:
	s_endpgm
	.section	.rodata,"a",@progbits
	.p2align	6, 0x0
	.amdhsa_kernel _ZL8moe_q3_KIfLb1EEvPKvS1_PT_PKiS5_S5_iiiiiii
		.amdhsa_group_segment_fixed_size 31776
		.amdhsa_private_segment_fixed_size 24
		.amdhsa_kernarg_size 76
		.amdhsa_user_sgpr_count 6
		.amdhsa_user_sgpr_private_segment_buffer 1
		.amdhsa_user_sgpr_dispatch_ptr 0
		.amdhsa_user_sgpr_queue_ptr 0
		.amdhsa_user_sgpr_kernarg_segment_ptr 1
		.amdhsa_user_sgpr_dispatch_id 0
		.amdhsa_user_sgpr_flat_scratch_init 0
		.amdhsa_user_sgpr_private_segment_size 0
		.amdhsa_uses_dynamic_stack 0
		.amdhsa_system_sgpr_private_segment_wavefront_offset 1
		.amdhsa_system_sgpr_workgroup_id_x 1
		.amdhsa_system_sgpr_workgroup_id_y 1
		.amdhsa_system_sgpr_workgroup_id_z 0
		.amdhsa_system_sgpr_workgroup_info 0
		.amdhsa_system_vgpr_workitem_id 1
		.amdhsa_next_free_vgpr 128
		.amdhsa_next_free_sgpr 98
		.amdhsa_reserve_vcc 1
		.amdhsa_reserve_flat_scratch 0
		.amdhsa_float_round_mode_32 0
		.amdhsa_float_round_mode_16_64 0
		.amdhsa_float_denorm_mode_32 3
		.amdhsa_float_denorm_mode_16_64 3
		.amdhsa_dx10_clamp 1
		.amdhsa_ieee_mode 1
		.amdhsa_fp16_overflow 0
		.amdhsa_exception_fp_ieee_invalid_op 0
		.amdhsa_exception_fp_denorm_src 0
		.amdhsa_exception_fp_ieee_div_zero 0
		.amdhsa_exception_fp_ieee_overflow 0
		.amdhsa_exception_fp_ieee_underflow 0
		.amdhsa_exception_fp_ieee_inexact 0
		.amdhsa_exception_int_div_zero 0
	.end_amdhsa_kernel
	.section	.text._ZL8moe_q3_KIfLb1EEvPKvS1_PT_PKiS5_S5_iiiiiii,"axG",@progbits,_ZL8moe_q3_KIfLb1EEvPKvS1_PT_PKiS5_S5_iiiiiii,comdat
.Lfunc_end190:
	.size	_ZL8moe_q3_KIfLb1EEvPKvS1_PT_PKiS5_S5_iiiiiii, .Lfunc_end190-_ZL8moe_q3_KIfLb1EEvPKvS1_PT_PKiS5_S5_iiiiiii
                                        ; -- End function
	.set _ZL8moe_q3_KIfLb1EEvPKvS1_PT_PKiS5_S5_iiiiiii.num_vgpr, 128
	.set _ZL8moe_q3_KIfLb1EEvPKvS1_PT_PKiS5_S5_iiiiiii.num_agpr, 0
	.set _ZL8moe_q3_KIfLb1EEvPKvS1_PT_PKiS5_S5_iiiiiii.numbered_sgpr, 40
	.set _ZL8moe_q3_KIfLb1EEvPKvS1_PT_PKiS5_S5_iiiiiii.num_named_barrier, 0
	.set _ZL8moe_q3_KIfLb1EEvPKvS1_PT_PKiS5_S5_iiiiiii.private_seg_size, 24
	.set _ZL8moe_q3_KIfLb1EEvPKvS1_PT_PKiS5_S5_iiiiiii.uses_vcc, 1
	.set _ZL8moe_q3_KIfLb1EEvPKvS1_PT_PKiS5_S5_iiiiiii.uses_flat_scratch, 0
	.set _ZL8moe_q3_KIfLb1EEvPKvS1_PT_PKiS5_S5_iiiiiii.has_dyn_sized_stack, 0
	.set _ZL8moe_q3_KIfLb1EEvPKvS1_PT_PKiS5_S5_iiiiiii.has_recursion, 0
	.set _ZL8moe_q3_KIfLb1EEvPKvS1_PT_PKiS5_S5_iiiiiii.has_indirect_call, 0
	.section	.AMDGPU.csdata,"",@progbits
; Kernel info:
; codeLenInByte = 20968
; TotalNumSgprs: 44
; NumVgprs: 128
; ScratchSize: 24
; MemoryBound: 0
; FloatMode: 240
; IeeeMode: 1
; LDSByteSize: 31776 bytes/workgroup (compile time only)
; SGPRBlocks: 12
; VGPRBlocks: 31
; NumSGPRsForWavesPerEU: 102
; NumVGPRsForWavesPerEU: 128
; Occupancy: 2
; WaveLimiterHint : 1
; COMPUTE_PGM_RSRC2:SCRATCH_EN: 1
; COMPUTE_PGM_RSRC2:USER_SGPR: 6
; COMPUTE_PGM_RSRC2:TRAP_HANDLER: 0
; COMPUTE_PGM_RSRC2:TGID_X_EN: 1
; COMPUTE_PGM_RSRC2:TGID_Y_EN: 1
; COMPUTE_PGM_RSRC2:TGID_Z_EN: 0
; COMPUTE_PGM_RSRC2:TIDIG_COMP_CNT: 1
	.section	.text._ZL8moe_q4_KIfLb0EEvPKvS1_PT_PKiS5_S5_iiiiiii,"axG",@progbits,_ZL8moe_q4_KIfLb0EEvPKvS1_PT_PKiS5_S5_iiiiiii,comdat
	.globl	_ZL8moe_q4_KIfLb0EEvPKvS1_PT_PKiS5_S5_iiiiiii ; -- Begin function _ZL8moe_q4_KIfLb0EEvPKvS1_PT_PKiS5_S5_iiiiiii
	.p2align	8
	.type	_ZL8moe_q4_KIfLb0EEvPKvS1_PT_PKiS5_S5_iiiiiii,@function
_ZL8moe_q4_KIfLb0EEvPKvS1_PT_PKiS5_S5_iiiiiii: ; @_ZL8moe_q4_KIfLb0EEvPKvS1_PT_PKiS5_S5_iiiiiii
; %bb.0:
	s_load_dwordx4 s[0:3], s[4:5], 0x18
	s_mov_b32 s8, s7
	s_mov_b32 s9, 0
	s_lshl_b64 s[10:11], s[8:9], 2
	s_waitcnt lgkmcnt(0)
	s_add_u32 s2, s2, s10
	s_addc_u32 s3, s3, s11
	s_load_dword s2, s[2:3], 0x0
	s_waitcnt lgkmcnt(0)
	s_cmpk_gt_u32 s2, 0xff
	s_cbranch_scc1 .LBB191_26
; %bb.1:
	s_load_dwordx2 s[10:11], s[4:5], 0x28
	s_lshl_b32 s3, s8, 3
	s_waitcnt lgkmcnt(0)
	s_load_dword s7, s[10:11], 0x0
	s_waitcnt lgkmcnt(0)
	s_cmp_gt_u32 s3, s7
	s_cbranch_scc1 .LBB191_26
; %bb.2:
	v_add_u32_e32 v4, s3, v1
	v_mov_b32_e32 v5, 0
	v_lshlrev_b64 v[2:3], 2, v[4:5]
	v_mov_b32_e32 v4, s1
	v_add_co_u32_e32 v2, vcc, s0, v2
	v_addc_co_u32_e32 v3, vcc, v4, v3, vcc
	global_load_dword v33, v[2:3], off
	s_load_dwordx2 s[18:19], s[4:5], 0x30
	s_load_dwordx2 s[16:17], s[4:5], 0x10
	s_load_dwordx4 s[8:11], s[4:5], 0x3c
	s_lshl_b32 s22, s6, 7
	v_mov_b32_e32 v8, v5
	s_waitcnt lgkmcnt(0)
	s_cmpk_lt_i32 s19, 0x100
	v_mov_b32_e32 v7, v5
	v_mov_b32_e32 v6, v5
	s_cbranch_scc1 .LBB191_17
; %bb.3:
	s_ashr_i32 s0, s19, 31
	s_lshr_b32 s0, s0, 24
	s_add_i32 s0, s19, s0
	s_ashr_i32 s23, s0, 8
	s_ashr_i32 s0, s9, 31
	s_lshr_b32 s0, s0, 27
	s_add_i32 s0, s9, s0
	s_ashr_i32 s9, s0, 5
	v_lshlrev_b32_e32 v12, 2, v0
	s_movk_i32 s0, 0x84
	v_mad_u32_u24 v34, v1, s0, v12
	s_lshl_b32 s0, s23, 3
	v_mov_b32_e32 v3, s0
	v_mad_i32_i24 v20, s23, v1, v3
	v_add_u32_e32 v23, s0, v20
	v_add_u32_e32 v24, s0, v23
	;; [unrolled: 1-line block ×5, first 2 shown]
	v_lshl_add_u32 v3, v1, 5, v0
	v_add_u32_e32 v28, s0, v27
	v_and_b32_e32 v4, 0x7f, v3
	v_lshrrev_b32_e32 v3, 3, v3
	s_mul_i32 s18, s2, s18
	v_add_u32_e32 v29, s0, v28
	v_mul_i32_i24_e32 v5, s23, v4
	v_and_b32_e32 v3, 12, v3
	v_lshlrev_b32_e32 v4, 2, v4
	s_movk_i32 s2, 0x4e40
	v_and_b32_e32 v16, 3, v0
	v_add_u32_e32 v15, s0, v29
	v_add3_u32 v35, v4, v3, s2
	v_add_u32_e32 v4, 0xfe, v16
	v_add_u32_e32 v14, s0, v15
	v_and_b32_e32 v4, 0xff, v4
	v_cmp_gt_u32_e32 vcc, 2, v16
	v_add_u32_e32 v13, s0, v14
	v_lshlrev_b32_e32 v3, 3, v1
	v_lshrrev_b32_e32 v7, 2, v0
	v_cndmask_b32_e32 v17, v4, v16, vcc
	v_cmp_ne_u32_e32 vcc, 0, v16
	v_add_u32_e32 v11, s0, v13
	v_add_u32_e32 v8, v7, v3
	v_addc_co_u32_e32 v4, vcc, 0, v17, vcc
	v_add_u16_e32 v3, v7, v3
	s_load_dwordx4 s[12:15], s[4:5], 0x0
	v_add_u32_e32 v10, s0, v11
	v_and_b32_e32 v21, 4, v12
	v_cmp_lt_u32_e32 vcc, 1, v16
	v_lshlrev_b32_e32 v37, 1, v17
	v_and_b32_e32 v17, 0x7f, v8
	v_lshlrev_b32_e32 v16, 2, v16
	v_lshrrev_b16_e32 v3, 1, v3
	s_abs_i32 s5, s11
	v_add_u32_e32 v9, s0, v10
	v_cndmask_b32_e32 v36, 0, v21, vcc
	v_lshl_or_b32 v21, v17, 4, v16
	v_and_b32_e32 v3, 60, v3
	s_movk_i32 s0, 0x4200
	v_cvt_f32_u32_e32 v22, s5
	v_add3_u32 v38, v21, v3, s0
	v_xor_b32_e32 v3, 64, v17
	v_mul_i32_i24_e32 v7, s23, v3
	v_lshl_or_b32 v16, v3, 4, v16
	v_lshrrev_b32_e32 v3, 1, v3
	v_and_b32_e32 v3, 60, v3
	v_lshrrev_b32_e32 v41, 3, v0
	v_lshrrev_b32_e32 v18, 5, v0
	v_mul_i32_i24_e32 v8, s23, v17
	v_add3_u32 v39, v16, v3, s0
	v_add_u32_e32 v16, v41, v12
	v_mov_b32_e32 v17, 0x4200
	v_rcp_iflag_f32_e32 v22, v22
	v_lshl_add_u32 v42, v16, 2, v17
	v_lshlrev_b32_e32 v16, 2, v18
	v_add3_u32 v43, v12, v16, s2
	v_add_u32_e32 v16, 32, v0
	v_lshrrev_b32_e32 v44, 3, v16
	v_lshl_add_u32 v16, v16, 2, v44
	v_mul_f32_e32 v22, 0x4f7ffffe, v22
	v_lshl_add_u32 v45, v16, 2, v17
	v_and_b32_e32 v16, 60, v44
	v_cvt_u32_f32_e32 v22, v22
	v_add3_u32 v46, v12, v16, s2
	v_add_u32_e32 v16, 64, v0
	v_lshrrev_b32_e32 v30, 3, v16
	v_lshl_add_u32 v16, v16, 2, v30
	s_sub_i32 s3, 0, s5
	v_lshl_add_u32 v47, v16, 2, v17
	v_mul_lo_u32 v16, s3, v22
	s_waitcnt vmcnt(0)
	v_sub_u32_e32 v32, 0, v33
	v_max_i32_e32 v32, v33, v32
	v_and_b32_e32 v30, 60, v30
	v_mul_hi_u32 v16, v22, v16
	v_add3_u32 v48, v12, v30, s2
	v_add_u32_e32 v30, 0x60, v0
	v_lshrrev_b32_e32 v31, 3, v30
	v_add_u32_e32 v16, v22, v16
	v_mul_hi_u32 v16, v32, v16
	v_lshl_add_u32 v22, v30, 2, v31
	v_lshl_add_u32 v49, v22, 2, v17
	v_and_b32_e32 v17, 60, v31
	v_mul_lo_u32 v22, v16, s5
	v_add3_u32 v50, v12, v17, s2
	v_and_b32_e32 v2, 0x7c, v12
	v_add_u32_e32 v40, 0x5050, v12
	v_sub_u32_e32 v17, v32, v22
	v_add_u32_e32 v22, 1, v16
	v_cmp_le_u32_e64 s[2:3], s5, v17
	v_cndmask_b32_e64 v16, v16, v22, s[2:3]
	v_subrev_u32_e32 v22, s5, v17
	v_cndmask_b32_e64 v17, v17, v22, s[2:3]
	v_and_b32_e32 v21, 28, v12
	v_xor_b32_e32 v12, s11, v33
	v_add_u32_e32 v22, 1, v16
	v_cmp_le_u32_e64 s[2:3], s5, v17
	s_mul_i32 s4, s23, s22
	v_ashrrev_i32_e32 v12, 31, v12
	v_cndmask_b32_e64 v16, v16, v22, s[2:3]
	v_xor_b32_e32 v16, v16, v12
	s_mul_i32 s20, s4, 0x90
	v_sub_u32_e32 v12, v16, v12
	s_mul_hi_i32 s21, s4, 0x90
	v_mov_b32_e32 v16, s20
	s_movk_i32 s25, 0x90
	v_mov_b32_e32 v17, s21
	v_mad_u64_u32 v[16:17], s[2:3], v18, s25, v[16:17]
	v_mul_i32_i24_e32 v19, s23, v1
	s_waitcnt lgkmcnt(0)
	v_mov_b32_e32 v22, s15
	v_mad_u64_u32 v[18:19], s[4:5], v19, s25, v[16:17]
	v_add_co_u32_e64 v21, s[4:5], s14, v21
	v_addc_co_u32_e64 v22, s[4:5], 0, v22, s[4:5]
	v_add_co_u32_e64 v30, s[4:5], v18, v2
	v_addc_co_u32_e64 v31, s[4:5], 0, v19, s[4:5]
	v_mad_u64_u32 v[18:19], s[4:5], v20, s25, v[16:17]
	v_mov_b32_e32 v32, s13
	v_add_co_u32_e64 v20, s[4:5], s12, v30
	v_addc_co_u32_e64 v30, s[4:5], v32, v31, s[4:5]
	v_add_co_u32_e64 v31, s[4:5], v18, v2
	v_addc_co_u32_e64 v32, s[4:5], 0, v19, s[4:5]
	v_mad_u64_u32 v[18:19], s[4:5], v23, s25, v[16:17]
	v_mov_b32_e32 v51, s13
	;; [unrolled: 6-line block ×4, first 2 shown]
	v_add_co_u32_e64 v25, s[4:5], s12, v23
	v_addc_co_u32_e64 v62, s[4:5], v51, v24, s[4:5]
	v_add_co_u32_e64 v23, s[4:5], v18, v2
	v_addc_co_u32_e64 v24, s[4:5], 0, v19, s[4:5]
	v_mad_u64_u32 v[18:19], s[4:5], v26, s25, v[16:17]
	v_add_co_u32_e64 v26, s[4:5], s12, v23
	v_addc_co_u32_e64 v64, s[4:5], v51, v24, s[4:5]
	v_add_co_u32_e64 v23, s[4:5], v18, v2
	v_addc_co_u32_e64 v24, s[4:5], 0, v19, s[4:5]
	v_mad_u64_u32 v[18:19], s[4:5], v27, s25, v[16:17]
	;; [unrolled: 5-line block ×6, first 2 shown]
	v_mov_b32_e32 v23, s13
	v_add_co_u32_e64 v18, s[4:5], s12, v18
	v_addc_co_u32_e64 v19, s[4:5], v23, v19, s[4:5]
	v_add_co_u32_e64 v23, s[4:5], v14, v2
	v_addc_co_u32_e64 v15, s[4:5], 0, v15, s[4:5]
	v_mad_u64_u32 v[13:14], s[4:5], v13, s25, v[16:17]
	v_mov_b32_e32 v24, s13
	v_add_co_u32_e64 v75, s[4:5], s12, v23
	v_addc_co_u32_e64 v15, s[4:5], v24, v15, s[4:5]
	v_add_co_u32_e64 v23, s[4:5], v13, v2
	v_addc_co_u32_e64 v24, s[4:5], 0, v14, s[4:5]
	v_mad_u64_u32 v[13:14], s[4:5], v11, s25, v[16:17]
	v_add_co_u32_e64 v77, s[4:5], s12, v23
	v_addc_co_u32_e64 v78, s[4:5], v51, v24, s[4:5]
	v_add_co_u32_e64 v13, s[4:5], v13, v2
	v_addc_co_u32_e64 v14, s[4:5], 0, v14, s[4:5]
	v_mad_u64_u32 v[10:11], s[4:5], v10, s25, v[16:17]
	v_mov_b32_e32 v23, s13
	v_add_co_u32_e64 v79, s[4:5], s12, v13
	v_addc_co_u32_e64 v80, s[4:5], v23, v14, s[4:5]
	v_add_co_u32_e64 v13, s[4:5], v10, v2
	v_addc_co_u32_e64 v11, s[4:5], 0, v11, s[4:5]
	v_mad_u64_u32 v[9:10], s[4:5], v9, s25, v[16:17]
	v_mov_b32_e32 v14, s13
	v_add_co_u32_e64 v81, s[4:5], s12, v13
	v_addc_co_u32_e64 v11, s[4:5], v14, v11, s[4:5]
	v_add_co_u32_e64 v13, s[4:5], v9, v2
	v_addc_co_u32_e64 v14, s[4:5], 0, v10, s[4:5]
	s_mul_i32 s4, s23, 0x78
	v_mov_b32_e32 v9, s4
	v_mad_i32_i24 v9, s23, v1, v9
	v_mad_u64_u32 v[9:10], s[4:5], v9, s25, v[16:17]
	v_add_co_u32_e64 v16, s[4:5], s12, v13
	v_addc_co_u32_e64 v17, s[4:5], v23, v14, s[4:5]
	v_add_co_u32_e64 v2, s[4:5], v9, v2
	v_addc_co_u32_e64 v9, s[4:5], 0, v10, s[4:5]
	v_cmp_gt_u32_e64 s[0:1], 4, v0
	v_cmp_gt_i32_e64 s[2:3], s8, v12
	v_mov_b32_e32 v10, s13
	v_add_co_u32_e64 v2, s[4:5], s12, v2
	s_ashr_i32 s24, s18, 31
	s_and_b64 s[6:7], s[0:1], s[2:3]
	v_addc_co_u32_e64 v86, s[4:5], v10, v9, s[4:5]
	s_add_u32 s4, s12, s20
	s_addc_u32 s5, s13, s21
	v_mov_b32_e32 v10, s5
	v_mov_b32_e32 v9, s4
	v_mad_u64_u32 v[13:14], s[4:5], v8, s25, 0
	v_mad_u64_u32 v[23:24], s[4:5], v5, s25, v[9:10]
	v_mov_b32_e32 v5, s21
	v_add_co_u32_e64 v9, s[4:5], s20, v13
	v_cndmask_b32_e64 v8, 0, 1, vcc
	v_addc_co_u32_e64 v5, s[4:5], v5, v14, s[4:5]
	v_lshlrev_b32_e32 v10, 2, v8
	v_mad_u64_u32 v[7:8], s[4:5], v7, s25, 0
	v_mov_b32_e32 v14, s21
	v_or_b32_e32 v13, v9, v10
	v_add_co_u32_e32 v7, vcc, s20, v7
	v_addc_co_u32_e32 v8, vcc, v14, v8, vcc
	v_mov_b32_e32 v14, s13
	v_add_co_u32_e32 v13, vcc, s12, v13
	v_addc_co_u32_e32 v14, vcc, v14, v5, vcc
	v_lshlrev_b32_e32 v4, 2, v4
	v_add_co_u32_e32 v9, vcc, v9, v4
	v_addc_co_u32_e32 v5, vcc, 0, v5, vcc
	v_add_co_u32_e32 v9, vcc, s12, v9
	v_addc_co_u32_e32 v5, vcc, v51, v5, vcc
	v_or_b32_e32 v10, v7, v10
	v_add_co_u32_e32 v10, vcc, s12, v10
	v_addc_co_u32_e32 v92, vcc, v51, v8, vcc
	v_add_co_u32_e32 v4, vcc, v7, v4
	v_addc_co_u32_e32 v7, vcc, 0, v8, vcc
	v_mov_b32_e32 v8, s13
	v_add_co_u32_e32 v4, vcc, s12, v4
	v_addc_co_u32_e32 v7, vcc, v8, v7, vcc
	v_add_co_u32_e32 v55, vcc, 16, v20
	v_addc_co_u32_e32 v56, vcc, 0, v30, vcc
	;; [unrolled: 2-line block ×19, first 2 shown]
	v_mul_lo_u32 v54, v12, s9
	v_add_co_u32_e32 v91, vcc, 4, v10
	v_mov_b32_e32 v8, 0x4a40
	v_addc_co_u32_e32 v92, vcc, 0, v92, vcc
	v_and_b32_e32 v3, 31, v0
	v_lshl_add_u32 v51, v1, 7, v8
	v_add_co_u32_e32 v93, vcc, 4, v4
	v_mov_b32_e32 v6, 0
	v_lshl_add_u32 v52, v3, 2, v51
	v_lshlrev_b32_e32 v53, 4, v1
	v_addc_co_u32_e32 v94, vcc, 0, v7, vcc
	s_movk_i32 s12, 0x80
	s_mov_b32 s13, 0x30303030
	v_mul_u32_u24_e32 v95, 0x84, v0
	v_mov_b32_e32 v96, v0
	v_mov_b32_e32 v7, 0
	;; [unrolled: 1-line block ×4, first 2 shown]
	s_branch .LBB191_6
.LBB191_4:                              ;   in Loop: Header=BB191_6 Depth=1
	s_or_b64 exec, exec, s[4:5]
	s_waitcnt lgkmcnt(0)
	s_barrier
	ds_read_b128 v[1:4], v51
	ds_read_b128 v[104:107], v51 offset:16
	ds_read_b128 v[108:111], v51 offset:32
	;; [unrolled: 1-line block ×3, first 2 shown]
	ds_read_b32 v97, v43
	ds_read2_b32 v[11:12], v95 offset0:16 offset1:17
	ds_read2_b32 v[13:14], v95 offset0:18 offset1:19
	;; [unrolled: 1-line block ×3, first 2 shown]
	ds_read_b32 v98, v46 offset:128
	ds_read2_b32 v[17:18], v95 offset0:22 offset1:23
	ds_read_b32 v99, v48 offset:256
	s_waitcnt lgkmcnt(5)
	v_and_b32_e32 v9, 0xf0f0f0f, v11
	v_lshrrev_b32_e32 v11, 4, v11
	v_and_b32_e32 v10, 0xf0f0f0f, v12
	v_and_b32_e32 v11, 0xf0f0f0f, v11
	v_lshrrev_b32_e32 v12, 4, v12
	v_dot4_i32_i8 v11, v11, v108, 0
	v_and_b32_e32 v12, 0xf0f0f0f, v12
	v_dot4_i32_i8 v11, v12, v109, v11
	s_waitcnt lgkmcnt(4)
	v_lshrrev_b32_e32 v12, 4, v13
	v_and_b32_e32 v12, 0xf0f0f0f, v12
	v_dot4_i32_i8 v9, v9, v1, 0
	v_dot4_i32_i8 v11, v12, v110, v11
	v_lshrrev_b32_e32 v12, 4, v14
	v_dot4_i32_i8 v9, v10, v2, v9
	v_and_b32_e32 v10, 0xf0f0f0f, v13
	v_and_b32_e32 v12, 0xf0f0f0f, v12
	v_dot4_i32_i8 v9, v10, v3, v9
	v_and_b32_e32 v10, 0xf0f0f0f, v14
	v_dot4_i32_i8 v11, v12, v111, v11
	s_waitcnt lgkmcnt(3)
	v_lshrrev_b32_e32 v12, 4, v15
	v_dot4_i32_i8 v9, v10, v4, v9
	v_and_b32_e32 v10, 0xf0f0f0f, v15
	v_and_b32_e32 v12, 0xf0f0f0f, v12
	v_add_u32_e32 v13, 0x10c0, v95
	v_dot4_i32_i8 v9, v10, v104, v9
	v_and_b32_e32 v10, 0xf0f0f0f, v16
	v_dot4_i32_i8 v11, v12, v112, v11
	v_lshrrev_b32_e32 v12, 4, v16
	ds_read2_b32 v[15:16], v13 offset1:1
	v_and_b32_e32 v12, 0xf0f0f0f, v12
	v_dot4_i32_i8 v11, v12, v113, v11
	s_waitcnt lgkmcnt(2)
	v_lshrrev_b32_e32 v12, 4, v17
	v_dot4_i32_i8 v9, v10, v105, v9
	s_waitcnt lgkmcnt(0)
	v_and_b32_e32 v13, 0xf0f0f0f, v15
	v_dot4_i32_i8 v13, v13, v1, 0
	v_and_b32_e32 v14, 0xf0f0f0f, v16
	v_and_b32_e32 v10, 0xf0f0f0f, v17
	;; [unrolled: 1-line block ×3, first 2 shown]
	v_dot4_i32_i8 v13, v14, v2, v13
	v_add_u32_e32 v14, 0x10c8, v95
	v_dot4_i32_i8 v9, v10, v106, v9
	v_and_b32_e32 v10, 0xf0f0f0f, v18
	v_dot4_i32_i8 v11, v12, v114, v11
	v_lshrrev_b32_e32 v12, 4, v18
	ds_read2_b32 v[17:18], v14 offset1:1
	ds_read_b32 v100, v50 offset:384
	v_lshrrev_b32_e32 v15, 4, v15
	v_and_b32_e32 v15, 0xf0f0f0f, v15
	v_lshrrev_b32_e32 v16, 4, v16
	s_waitcnt lgkmcnt(1)
	v_and_b32_e32 v14, 0xf0f0f0f, v17
	v_dot4_i32_i8 v13, v14, v3, v13
	v_and_b32_e32 v14, 0xf0f0f0f, v18
	v_dot4_i32_i8 v13, v14, v4, v13
	v_add_u32_e32 v14, 0x10d0, v95
	ds_read2_b32 v[19:20], v14 offset1:1
	v_dot4_i32_i8 v15, v15, v108, 0
	v_and_b32_e32 v16, 0xf0f0f0f, v16
	v_dot4_i32_i8 v15, v16, v109, v15
	v_lshrrev_b32_e32 v16, 4, v17
	v_and_b32_e32 v16, 0xf0f0f0f, v16
	v_dot4_i32_i8 v15, v16, v110, v15
	v_lshrrev_b32_e32 v16, 4, v18
	s_waitcnt lgkmcnt(0)
	v_and_b32_e32 v14, 0xf0f0f0f, v19
	v_and_b32_e32 v16, 0xf0f0f0f, v16
	v_dot4_i32_i8 v13, v14, v104, v13
	v_and_b32_e32 v14, 0xf0f0f0f, v20
	v_dot4_i32_i8 v15, v16, v111, v15
	v_lshrrev_b32_e32 v16, 4, v19
	v_dot4_i32_i8 v13, v14, v105, v13
	v_add_u32_e32 v14, 0x10d8, v95
	v_and_b32_e32 v16, 0xf0f0f0f, v16
	v_add_u32_e32 v17, 0x2140, v95
	ds_read2_b32 v[25:26], v14 offset1:1
	v_dot4_i32_i8 v15, v16, v112, v15
	v_lshrrev_b32_e32 v16, 4, v20
	ds_read2_b32 v[19:20], v17 offset1:1
	v_and_b32_e32 v16, 0xf0f0f0f, v16
	v_dot4_i32_i8 v15, v16, v113, v15
	s_waitcnt lgkmcnt(1)
	v_lshrrev_b32_e32 v16, 4, v25
	v_and_b32_e32 v14, 0xf0f0f0f, v25
	s_waitcnt lgkmcnt(0)
	v_and_b32_e32 v17, 0xf0f0f0f, v19
	v_dot4_i32_i8 v17, v17, v1, 0
	v_and_b32_e32 v18, 0xf0f0f0f, v20
	v_and_b32_e32 v16, 0xf0f0f0f, v16
	v_dot4_i32_i8 v17, v18, v2, v17
	v_add_u32_e32 v18, 0x2148, v95
	v_dot4_i32_i8 v13, v14, v106, v13
	v_and_b32_e32 v14, 0xf0f0f0f, v26
	v_dot4_i32_i8 v15, v16, v114, v15
	v_lshrrev_b32_e32 v16, 4, v26
	ds_read2_b32 v[25:26], v18 offset1:1
	v_lshrrev_b32_e32 v19, 4, v19
	v_and_b32_e32 v19, 0xf0f0f0f, v19
	v_lshrrev_b32_e32 v20, 4, v20
	v_dot4_i32_i8 v19, v19, v108, 0
	s_waitcnt lgkmcnt(0)
	v_and_b32_e32 v18, 0xf0f0f0f, v25
	v_dot4_i32_i8 v17, v18, v3, v17
	v_and_b32_e32 v18, 0xf0f0f0f, v26
	v_dot4_i32_i8 v17, v18, v4, v17
	v_add_u32_e32 v18, 0x2150, v95
	ds_read2_b32 v[116:117], v18 offset1:1
	v_and_b32_e32 v20, 0xf0f0f0f, v20
	v_dot4_i32_i8 v19, v20, v109, v19
	v_lshrrev_b32_e32 v20, 4, v25
	v_and_b32_e32 v20, 0xf0f0f0f, v20
	v_dot4_i32_i8 v19, v20, v110, v19
	v_lshrrev_b32_e32 v20, 4, v26
	s_waitcnt lgkmcnt(0)
	v_and_b32_e32 v18, 0xf0f0f0f, v116
	v_and_b32_e32 v20, 0xf0f0f0f, v20
	v_dot4_i32_i8 v17, v18, v104, v17
	v_and_b32_e32 v18, 0xf0f0f0f, v117
	v_dot4_i32_i8 v19, v20, v111, v19
	v_lshrrev_b32_e32 v20, 4, v116
	v_dot4_i32_i8 v17, v18, v105, v17
	v_add_u32_e32 v18, 0x2158, v95
	v_and_b32_e32 v20, 0xf0f0f0f, v20
	v_add_u32_e32 v25, 0x31c0, v95
	ds_read2_b32 v[118:119], v18 offset1:1
	v_dot4_i32_i8 v19, v20, v112, v19
	v_lshrrev_b32_e32 v20, 4, v117
	ds_read2_b32 v[116:117], v25 offset1:1
	v_and_b32_e32 v20, 0xf0f0f0f, v20
	v_dot4_i32_i8 v19, v20, v113, v19
	v_dot4_i32_i8 v9, v10, v107, v9
	;; [unrolled: 1-line block ×3, first 2 shown]
	s_waitcnt lgkmcnt(0)
	v_and_b32_e32 v25, 0xf0f0f0f, v116
	v_dot4_i32_i8 v1, v25, v1, 0
	v_and_b32_e32 v25, 0xf0f0f0f, v117
	v_dot4_i32_i8 v25, v25, v2, v1
	v_add_u32_e32 v1, 0x31c8, v95
	ds_read2_b32 v[1:2], v1 offset1:1
	v_lshrrev_b32_e32 v20, 4, v118
	v_and_b32_e32 v18, 0xf0f0f0f, v118
	v_and_b32_e32 v20, 0xf0f0f0f, v20
	v_dot4_i32_i8 v17, v18, v106, v17
	s_waitcnt lgkmcnt(0)
	v_and_b32_e32 v26, 0xf0f0f0f, v1
	v_dot4_i32_i8 v3, v26, v3, v25
	v_and_b32_e32 v25, 0xf0f0f0f, v2
	v_dot4_i32_i8 v25, v25, v4, v3
	v_add_u32_e32 v3, 0x31d0, v95
	ds_read2_b32 v[3:4], v3 offset1:1
	v_and_b32_e32 v18, 0xf0f0f0f, v119
	v_dot4_i32_i8 v19, v20, v114, v19
	v_lshrrev_b32_e32 v20, 4, v119
	v_dot4_i32_i8 v17, v18, v107, v17
	s_waitcnt lgkmcnt(0)
	v_and_b32_e32 v26, 0xf0f0f0f, v3
	v_dot4_i32_i8 v25, v26, v104, v25
	v_and_b32_e32 v26, 0xf0f0f0f, v4
	v_dot4_i32_i8 v25, v26, v105, v25
	v_add_u32_e32 v26, 0x31d8, v95
	ds_read2_b32 v[118:119], v26 offset1:1
	v_lshrrev_b32_e32 v1, 4, v1
	v_and_b32_e32 v1, 0xf0f0f0f, v1
	v_lshrrev_b32_e32 v2, 4, v2
	v_and_b32_e32 v2, 0xf0f0f0f, v2
	s_waitcnt lgkmcnt(0)
	v_and_b32_e32 v26, 0xf0f0f0f, v118
	v_dot4_i32_i8 v25, v26, v106, v25
	v_and_b32_e32 v26, 0xf0f0f0f, v119
	v_lshrrev_b32_e32 v106, 4, v116
	v_dot4_i32_i8 v105, v26, v107, v25
	v_and_b32_e32 v106, 0xf0f0f0f, v106
	v_lshrrev_b32_e32 v107, 4, v117
	v_dot4_i32_i8 v106, v106, v108, 0
	v_and_b32_e32 v107, 0xf0f0f0f, v107
	v_dot4_i32_i8 v106, v107, v109, v106
	v_dot4_i32_i8 v1, v1, v110, v106
	ds_read2_b32 v[27:28], v42 offset0:1 offset1:3
	v_dot4_i32_i8 v1, v2, v111, v1
	v_lshrrev_b32_e32 v2, 4, v3
	v_and_b32_e32 v2, 0xf0f0f0f, v2
	v_dot4_i32_i8 v1, v2, v112, v1
	v_lshrrev_b32_e32 v2, 4, v4
	v_and_b32_e32 v2, 0xf0f0f0f, v2
	v_dot4_i32_i8 v1, v2, v113, v1
	v_lshrrev_b32_e32 v2, 4, v118
	v_and_b32_e32 v12, 0xf0f0f0f, v12
	v_and_b32_e32 v2, 0xf0f0f0f, v2
	s_waitcnt lgkmcnt(0)
	v_and_b32_e32 v106, 0xff, v27
	v_dot4_i32_i8 v12, v12, v115, v11
	v_dot4_i32_i8 v1, v2, v114, v1
	v_lshrrev_b32_e32 v2, 4, v119
	v_bfe_u32 v107, v27, 8, 8
	v_mul_lo_u32 v9, v9, v106
	v_and_b32_e32 v2, 0xf0f0f0f, v2
	v_mul_lo_u32 v12, v12, v107
	v_dot4_i32_i8 v113, v2, v115, v1
	ds_read_b128 v[1:4], v53 offset:20560
	v_cvt_f32_i32_e32 v9, v9
	v_cvt_f32_f16_sdwa v101, v97 dst_sel:DWORD dst_unused:UNUSED_PAD src0_sel:WORD_1
	v_cvt_f32_i32_e32 v12, v12
	v_cvt_f32_ubyte0_e32 v10, v28
	ds_read2_b32 v[29:30], v45 offset0:1 offset1:3
	v_cvt_f32_ubyte1_e32 v11, v28
	s_waitcnt lgkmcnt(1)
	v_fma_mix_f32 v10, v1, v10, 0 op_sel:[1,0,0] op_sel_hi:[1,0,0]
	v_fma_mix_f32 v9, v1, v9, 0 op_sel_hi:[1,0,0]
	v_fma_mix_f32 v10, v2, v11, v10 op_sel:[1,0,0] op_sel_hi:[1,0,0]
	v_fma_mix_f32 v9, v2, v12, v9 op_sel_hi:[1,0,0]
	v_mul_f32_e32 v10, v10, v101
	v_fma_mix_f32 v9, v9, v97, -v10 op_sel_hi:[0,1,0]
	v_and_b32_e32 v16, 0xf0f0f0f, v16
	v_add_f32_e32 v111, v6, v9
	s_waitcnt lgkmcnt(0)
	v_and_b32_e32 v9, 0xff, v29
	v_dot4_i32_i8 v16, v16, v115, v15
	v_bfe_u32 v10, v29, 8, 8
	v_mul_lo_u32 v9, v13, v9
	v_mul_lo_u32 v10, v16, v10
	v_cvt_f32_f16_sdwa v102, v98 dst_sel:DWORD dst_unused:UNUSED_PAD src0_sel:WORD_1
	v_cvt_f32_ubyte0_e32 v14, v30
	v_cvt_f32_i32_e32 v9, v9
	v_cvt_f32_i32_e32 v10, v10
	ds_read2_b32 v[31:32], v47 offset0:1 offset1:3
	v_cvt_f32_ubyte1_e32 v15, v30
	v_fma_mix_f32 v6, v1, v14, 0 op_sel:[1,0,0] op_sel_hi:[1,0,0]
	v_fma_mix_f32 v9, v1, v9, 0 op_sel_hi:[1,0,0]
	v_fma_mix_f32 v6, v2, v15, v6 op_sel:[1,0,0] op_sel_hi:[1,0,0]
	v_fma_mix_f32 v9, v2, v10, v9 op_sel_hi:[1,0,0]
	v_mul_f32_e32 v6, v6, v102
	v_fma_mix_f32 v6, v9, v98, -v6 op_sel_hi:[0,1,0]
	v_and_b32_e32 v20, 0xf0f0f0f, v20
	v_add_f32_e32 v109, v7, v6
	s_waitcnt lgkmcnt(0)
	v_and_b32_e32 v7, 0xff, v31
	v_dot4_i32_i8 v20, v20, v115, v19
	v_bfe_u32 v9, v31, 8, 8
	v_mul_lo_u32 v7, v17, v7
	v_mul_lo_u32 v9, v20, v9
	v_cvt_f32_f16_sdwa v103, v99 dst_sel:DWORD dst_unused:UNUSED_PAD src0_sel:WORD_1
	v_cvt_f32_ubyte0_e32 v18, v32
	v_cvt_f32_i32_e32 v7, v7
	v_cvt_f32_i32_e32 v9, v9
	ds_read2_b32 v[25:26], v49 offset0:1 offset1:3
	v_cvt_f32_ubyte1_e32 v19, v32
	v_fma_mix_f32 v6, v1, v18, 0 op_sel:[1,0,0] op_sel_hi:[1,0,0]
	v_fma_mix_f32 v7, v1, v7, 0 op_sel_hi:[1,0,0]
	v_fma_mix_f32 v6, v2, v19, v6 op_sel:[1,0,0] op_sel_hi:[1,0,0]
	v_fma_mix_f32 v7, v2, v9, v7 op_sel_hi:[1,0,0]
	v_mul_f32_e32 v6, v6, v103
	v_fma_mix_f32 v6, v7, v99, -v6 op_sel_hi:[0,1,0]
	v_add_f32_e32 v107, v8, v6
	s_waitcnt lgkmcnt(0)
	v_and_b32_e32 v6, 0xff, v25
	v_mul_lo_u32 v6, v105, v6
	v_bfe_u32 v7, v25, 8, 8
	v_mul_lo_u32 v7, v113, v7
	v_cvt_f32_ubyte0_e32 v104, v26
	v_cvt_f32_i32_e32 v6, v6
	v_lshrrev_b32_e32 v112, 24, v27
	v_cvt_f32_i32_e32 v7, v7
	v_lshrrev_b32_e32 v110, 24, v29
	v_fma_mix_f32 v6, v1, v6, 0 op_sel_hi:[1,0,0]
	v_fma_mix_f32 v1, v1, v104, 0 op_sel:[1,0,0] op_sel_hi:[1,0,0]
	v_cvt_f32_f16_sdwa v104, v100 dst_sel:DWORD dst_unused:UNUSED_PAD src0_sel:WORD_1
	v_fma_mix_f32 v6, v2, v7, v6 op_sel_hi:[1,0,0]
	v_cvt_f32_ubyte1_e32 v7, v26
	v_fma_mix_f32 v1, v2, v7, v1 op_sel:[1,0,0] op_sel_hi:[1,0,0]
	v_mul_f32_e32 v1, v1, v104
	v_fma_mix_f32 v1, v6, v100, -v1 op_sel_hi:[0,1,0]
	v_add_f32_e32 v105, v5, v1
	ds_read_b128 v[17:20], v51 offset:64
	ds_read_b128 v[13:16], v51 offset:80
	;; [unrolled: 1-line block ×4, first 2 shown]
	ds_read2_b32 v[1:2], v95 offset0:24 offset1:25
	ds_read2_b32 v[115:116], v95 offset0:26 offset1:27
	ds_read2_b32 v[117:118], v95 offset0:28 offset1:29
	ds_read2_b32 v[119:120], v95 offset0:30 offset1:31
	v_lshrrev_b32_e32 v108, 24, v31
	s_waitcnt lgkmcnt(3)
	v_and_b32_e32 v113, 0xf0f0f0f, v1
	v_lshrrev_b32_e32 v1, 4, v1
	v_and_b32_e32 v114, 0xf0f0f0f, v2
	v_and_b32_e32 v1, 0xf0f0f0f, v1
	v_lshrrev_b32_e32 v2, 4, v2
	v_dot4_i32_i8 v1, v1, v9, 0
	v_and_b32_e32 v2, 0xf0f0f0f, v2
	v_dot4_i32_i8 v1, v2, v10, v1
	s_waitcnt lgkmcnt(2)
	v_lshrrev_b32_e32 v2, 4, v115
	v_and_b32_e32 v2, 0xf0f0f0f, v2
	v_dot4_i32_i8 v1, v2, v11, v1
	v_lshrrev_b32_e32 v2, 4, v116
	v_and_b32_e32 v2, 0xf0f0f0f, v2
	v_dot4_i32_i8 v1, v2, v12, v1
	s_waitcnt lgkmcnt(1)
	v_lshrrev_b32_e32 v2, 4, v117
	v_and_b32_e32 v2, 0xf0f0f0f, v2
	v_dot4_i32_i8 v1, v2, v5, v1
	v_lshrrev_b32_e32 v2, 4, v118
	;; [unrolled: 7-line block ×3, first 2 shown]
	v_dot4_i32_i8 v113, v113, v17, 0
	v_and_b32_e32 v2, 0xf0f0f0f, v2
	v_dot4_i32_i8 v113, v114, v18, v113
	v_and_b32_e32 v114, 0xf0f0f0f, v115
	v_dot4_i32_i8 v115, v2, v8, v1
	v_add_u32_e32 v1, 0x10e0, v95
	ds_read2_b32 v[1:2], v1 offset1:1
	v_dot4_i32_i8 v113, v114, v19, v113
	v_and_b32_e32 v114, 0xf0f0f0f, v116
	v_dot4_i32_i8 v113, v114, v20, v113
	v_and_b32_e32 v114, 0xf0f0f0f, v117
	s_waitcnt lgkmcnt(0)
	v_and_b32_e32 v116, 0xf0f0f0f, v1
	v_dot4_i32_i8 v116, v116, v17, 0
	v_and_b32_e32 v117, 0xf0f0f0f, v2
	v_dot4_i32_i8 v113, v114, v13, v113
	;; [unrolled: 2-line block ×3, first 2 shown]
	v_add_u32_e32 v117, 0x10e8, v95
	v_dot4_i32_i8 v113, v114, v14, v113
	v_and_b32_e32 v114, 0xf0f0f0f, v119
	ds_read2_b32 v[118:119], v117 offset1:1
	v_dot4_i32_i8 v113, v114, v15, v113
	v_and_b32_e32 v114, 0xf0f0f0f, v120
	v_lshrrev_b32_e32 v1, 4, v1
	v_and_b32_e32 v1, 0xf0f0f0f, v1
	s_waitcnt lgkmcnt(0)
	v_and_b32_e32 v117, 0xf0f0f0f, v118
	v_dot4_i32_i8 v116, v117, v19, v116
	v_and_b32_e32 v117, 0xf0f0f0f, v119
	v_dot4_i32_i8 v116, v117, v20, v116
	v_add_u32_e32 v117, 0x10f0, v95
	ds_read2_b32 v[120:121], v117 offset1:1
	v_lshrrev_b32_e32 v2, 4, v2
	v_dot4_i32_i8 v1, v1, v9, 0
	v_and_b32_e32 v2, 0xf0f0f0f, v2
	v_dot4_i32_i8 v1, v2, v10, v1
	s_waitcnt lgkmcnt(0)
	v_and_b32_e32 v117, 0xf0f0f0f, v120
	v_lshrrev_b32_e32 v2, 4, v118
	v_dot4_i32_i8 v116, v117, v13, v116
	v_and_b32_e32 v117, 0xf0f0f0f, v121
	v_and_b32_e32 v2, 0xf0f0f0f, v2
	v_dot4_i32_i8 v116, v117, v14, v116
	v_add_u32_e32 v117, 0x10f8, v95
	v_dot4_i32_i8 v1, v2, v11, v1
	v_lshrrev_b32_e32 v2, 4, v119
	ds_read2_b32 v[122:123], v117 offset1:1
	v_and_b32_e32 v2, 0xf0f0f0f, v2
	v_dot4_i32_i8 v1, v2, v12, v1
	v_lshrrev_b32_e32 v2, 4, v120
	v_and_b32_e32 v2, 0xf0f0f0f, v2
	v_dot4_i32_i8 v1, v2, v5, v1
	v_lshrrev_b32_e32 v2, 4, v121
	v_and_b32_e32 v2, 0xf0f0f0f, v2
	v_dot4_i32_i8 v1, v2, v6, v1
	s_waitcnt lgkmcnt(0)
	v_lshrrev_b32_e32 v2, 4, v122
	v_and_b32_e32 v2, 0xf0f0f0f, v2
	v_and_b32_e32 v117, 0xf0f0f0f, v122
	v_dot4_i32_i8 v1, v2, v7, v1
	v_lshrrev_b32_e32 v2, 4, v123
	v_dot4_i32_i8 v116, v117, v15, v116
	v_and_b32_e32 v117, 0xf0f0f0f, v123
	v_and_b32_e32 v2, 0xf0f0f0f, v2
	v_dot4_i32_i8 v116, v117, v16, v116
	v_cvt_f32_ubyte2_e32 v117, v30
	v_dot4_i32_i8 v2, v2, v8, v1
	v_cvt_f32_ubyte3_e32 v1, v30
	v_add_u32_e32 v30, 0x2160, v95
	ds_read2_b32 v[120:121], v30 offset1:1
	v_cvt_f32_ubyte2_e32 v119, v32
	v_dot4_i32_i8 v113, v114, v16, v113
	v_mul_lo_u32 v2, v2, v110
	v_cvt_f32_ubyte2_e32 v114, v28
	s_waitcnt lgkmcnt(0)
	v_and_b32_e32 v30, 0xf0f0f0f, v120
	v_dot4_i32_i8 v30, v30, v17, 0
	v_and_b32_e32 v118, 0xf0f0f0f, v121
	v_dot4_i32_i8 v30, v118, v18, v30
	v_add_u32_e32 v118, 0x2168, v95
	ds_read2_b32 v[122:123], v118 offset1:1
	v_cvt_f32_ubyte3_e32 v28, v28
	v_cvt_f32_i32_e32 v2, v2
	v_lshrrev_b32_e32 v106, 24, v25
	s_waitcnt lgkmcnt(0)
	v_and_b32_e32 v118, 0xf0f0f0f, v122
	v_dot4_i32_i8 v30, v118, v19, v30
	v_and_b32_e32 v118, 0xf0f0f0f, v123
	v_dot4_i32_i8 v30, v118, v20, v30
	v_add_u32_e32 v118, 0x2170, v95
	ds_read2_b32 v[124:125], v118 offset1:1
	s_waitcnt lgkmcnt(0)
	v_and_b32_e32 v118, 0xf0f0f0f, v124
	v_dot4_i32_i8 v30, v118, v13, v30
	v_and_b32_e32 v118, 0xf0f0f0f, v125
	v_dot4_i32_i8 v30, v118, v14, v30
	v_add_u32_e32 v118, 0x2178, v95
	ds_read2_b32 v[126:127], v118 offset1:1
	s_waitcnt lgkmcnt(0)
	v_and_b32_e32 v118, 0xf0f0f0f, v126
	v_dot4_i32_i8 v30, v118, v15, v30
	v_and_b32_e32 v118, 0xf0f0f0f, v127
	v_dot4_i32_i8 v118, v118, v16, v30
	v_lshrrev_b32_e32 v30, 4, v120
	v_and_b32_e32 v30, 0xf0f0f0f, v30
	v_lshrrev_b32_e32 v120, 4, v121
	v_dot4_i32_i8 v30, v30, v9, 0
	v_and_b32_e32 v120, 0xf0f0f0f, v120
	v_dot4_i32_i8 v30, v120, v10, v30
	v_lshrrev_b32_e32 v120, 4, v122
	v_and_b32_e32 v120, 0xf0f0f0f, v120
	v_dot4_i32_i8 v30, v120, v11, v30
	v_lshrrev_b32_e32 v120, 4, v123
	;; [unrolled: 3-line block ×6, first 2 shown]
	v_and_b32_e32 v120, 0xf0f0f0f, v120
	v_dot4_i32_i8 v120, v120, v8, v30
	v_cvt_f32_ubyte3_e32 v30, v32
	v_add_u32_e32 v32, 0x31e0, v95
	ds_read2_b32 v[121:122], v32 offset1:1
	s_waitcnt lgkmcnt(0)
	v_and_b32_e32 v32, 0xf0f0f0f, v121
	v_dot4_i32_i8 v17, v32, v17, 0
	v_and_b32_e32 v32, 0xf0f0f0f, v122
	v_dot4_i32_i8 v32, v32, v18, v17
	v_add_u32_e32 v17, 0x31e8, v95
	ds_read2_b32 v[17:18], v17 offset1:1
	s_waitcnt lgkmcnt(0)
	v_and_b32_e32 v123, 0xf0f0f0f, v17
	v_dot4_i32_i8 v19, v123, v19, v32
	v_and_b32_e32 v32, 0xf0f0f0f, v18
	v_dot4_i32_i8 v32, v32, v20, v19
	;; [unrolled: 7-line block ×3, first 2 shown]
	v_add_u32_e32 v13, 0x31f8, v95
	ds_read2_b32 v[13:14], v13 offset1:1
	s_waitcnt lgkmcnt(0)
	s_barrier
	v_and_b32_e32 v123, 0xf0f0f0f, v13
	v_dot4_i32_i8 v15, v123, v15, v32
	v_and_b32_e32 v32, 0xf0f0f0f, v14
	v_dot4_i32_i8 v15, v32, v16, v15
	v_lshrrev_b32_e32 v32, 4, v121
	v_and_b32_e32 v32, 0xf0f0f0f, v32
	v_dot4_i32_i8 v9, v32, v9, 0
	v_lshrrev_b32_e32 v32, 4, v122
	;; [unrolled: 3-line block ×8, first 2 shown]
	v_bfe_u32 v7, v27, 16, 8
	v_and_b32_e32 v6, 0xf0f0f0f, v6
	v_mul_lo_u32 v7, v113, v7
	v_dot4_i32_i8 v5, v6, v8, v5
	v_mul_lo_u32 v8, v115, v112
	v_fma_mix_f32 v6, v3, v114, 0 op_sel:[1,0,0] op_sel_hi:[1,0,0]
	v_cvt_f32_i32_e32 v7, v7
	v_fma_mix_f32 v6, v4, v28, v6 op_sel:[1,0,0] op_sel_hi:[1,0,0]
	v_cvt_f32_i32_e32 v8, v8
	v_mul_f32_e32 v6, v6, v101
	v_fma_mix_f32 v7, v3, v7, 0 op_sel_hi:[1,0,0]
	v_cvt_f32_ubyte2_e32 v16, v26
	v_fma_mix_f32 v7, v4, v8, v7 op_sel_hi:[1,0,0]
	v_bfe_u32 v8, v29, 16, 8
	v_mul_lo_u32 v8, v116, v8
	v_fma_mix_f32 v6, v7, v97, -v6 op_sel_hi:[0,1,0]
	v_fma_mix_f32 v7, v3, v117, 0 op_sel:[1,0,0] op_sel_hi:[1,0,0]
	v_fma_mix_f32 v1, v4, v1, v7 op_sel:[1,0,0] op_sel_hi:[1,0,0]
	v_cvt_f32_i32_e32 v8, v8
	v_mul_f32_e32 v1, v1, v102
	v_add_f32_e32 v6, v111, v6
	v_fma_mix_f32 v8, v3, v8, 0 op_sel_hi:[1,0,0]
	v_fma_mix_f32 v2, v4, v2, v8 op_sel_hi:[1,0,0]
	v_fma_mix_f32 v1, v2, v98, -v1 op_sel_hi:[0,1,0]
	v_bfe_u32 v2, v31, 16, 8
	v_mul_lo_u32 v2, v118, v2
	v_mul_lo_u32 v8, v120, v108
	v_add_f32_e32 v7, v109, v1
	v_fma_mix_f32 v1, v3, v119, 0 op_sel:[1,0,0] op_sel_hi:[1,0,0]
	v_cvt_f32_i32_e32 v2, v2
	v_cvt_f32_i32_e32 v8, v8
	v_fma_mix_f32 v1, v4, v30, v1 op_sel:[1,0,0] op_sel_hi:[1,0,0]
	v_mul_f32_e32 v1, v1, v103
	v_fma_mix_f32 v2, v3, v2, 0 op_sel_hi:[1,0,0]
	v_fma_mix_f32 v2, v4, v8, v2 op_sel_hi:[1,0,0]
	v_fma_mix_f32 v1, v2, v99, -v1 op_sel_hi:[0,1,0]
	v_add_f32_e32 v8, v107, v1
	v_bfe_u32 v1, v25, 16, 8
	v_mul_lo_u32 v1, v15, v1
	v_mul_lo_u32 v2, v5, v106
	v_cvt_f32_i32_e32 v1, v1
	v_cvt_f32_i32_e32 v2, v2
	v_fma_mix_f32 v1, v3, v1, 0 op_sel_hi:[1,0,0]
	v_fma_mix_f32 v3, v3, v16, 0 op_sel:[1,0,0] op_sel_hi:[1,0,0]
	v_fma_mix_f32 v1, v4, v2, v1 op_sel_hi:[1,0,0]
	v_cvt_f32_ubyte3_e32 v2, v26
	v_fma_mix_f32 v2, v4, v2, v3 op_sel:[1,0,0] op_sel_hi:[1,0,0]
	v_mul_f32_e32 v2, v2, v104
	v_fma_mix_f32 v1, v1, v100, -v2 op_sel_hi:[0,1,0]
	v_add_f32_e32 v5, v105, v1
.LBB191_5:                              ;   in Loop: Header=BB191_6 Depth=1
	v_add_co_u32_e32 v55, vcc, 0x90, v55
	v_addc_co_u32_e32 v56, vcc, 0, v56, vcc
	v_add_co_u32_e32 v57, vcc, 0x90, v57
	v_addc_co_u32_e32 v58, vcc, 0, v58, vcc
	;; [unrolled: 2-line block ×20, first 2 shown]
	s_add_i32 s23, s23, -1
	s_addk_i32 s12, 0x100
	v_add_co_u32_e32 v93, vcc, 0x90, v93
	v_add_u32_e32 v44, 8, v44
	v_add_u32_e32 v41, 8, v41
	v_add_u32_e32 v96, 8, v96
	s_cmp_eq_u32 s23, 0
	v_addc_co_u32_e32 v94, vcc, 0, v94, vcc
	s_cbranch_scc1 .LBB191_17
.LBB191_6:                              ; =>This Inner Loop Header: Depth=1
	v_mov_b32_e32 v3, s24
	v_add_co_u32_e32 v1, vcc, s18, v55
	v_addc_co_u32_e32 v2, vcc, v56, v3, vcc
	global_load_dword v4, v[1:2], off
	v_add_co_u32_e32 v1, vcc, s18, v57
	v_addc_co_u32_e32 v2, vcc, v58, v3, vcc
	global_load_dword v9, v[1:2], off
	;; [unrolled: 3-line block ×21, first 2 shown]
	v_add_u32_e32 v2, 0x420, v34
	s_waitcnt vmcnt(19)
	ds_write_b32 v2, v9
	v_add_u32_e32 v2, 0x840, v34
	s_waitcnt vmcnt(18)
	ds_write_b32 v2, v10
	;; [unrolled: 3-line block ×6, first 2 shown]
	v_add_u32_e32 v2, 0x1ce0, v34
	ds_write_b32 v34, v4
	s_waitcnt vmcnt(13)
	ds_write_b32 v2, v15
	v_add_u32_e32 v2, 0x2100, v34
	s_add_i32 s4, s12, 0xffffff80
	s_cmp_lt_i32 s4, s19
	s_waitcnt vmcnt(12)
	ds_write_b32 v2, v16
	v_add_u32_e32 v2, 0x2520, v34
	s_waitcnt vmcnt(11)
	ds_write_b32 v2, v17
	v_add_u32_e32 v2, 0x2940, v34
	;; [unrolled: 3-line block ×7, first 2 shown]
	s_waitcnt vmcnt(5)
	ds_write_b32 v2, v27
	s_waitcnt vmcnt(4)
	ds_write_b32 v35, v28
	s_waitcnt vmcnt(3)
	v_ashrrev_i32_e32 v2, v36, v29
	v_and_b32_e32 v2, 0xf0f0f0f, v2
	s_waitcnt vmcnt(2)
	v_ashrrev_i32_e32 v3, v37, v30
	v_and_or_b32 v2, v3, s13, v2
	ds_write_b32 v38, v2
	s_waitcnt vmcnt(1)
	v_ashrrev_i32_e32 v2, v36, v31
	v_and_b32_e32 v2, 0xf0f0f0f, v2
	s_waitcnt vmcnt(0)
	v_ashrrev_i32_e32 v1, v37, v1
	v_and_or_b32 v1, v1, s13, v2
	ds_write_b32 v39, v1
	s_cbranch_scc0 .LBB191_5
; %bb.7:                                ;   in Loop: Header=BB191_6 Depth=1
	v_cmp_gt_i32_e32 vcc, s9, v41
	s_and_b64 s[20:21], s[2:3], vcc
	s_and_saveexec_b64 s[4:5], s[20:21]
	s_cbranch_execz .LBB191_9
; %bb.8:                                ;   in Loop: Header=BB191_6 Depth=1
	v_add_u32_e32 v1, v54, v41
	v_mad_i64_i32 v[1:2], s[20:21], v1, 36, v[21:22]
	global_load_dword v1, v[1:2], off offset:4
	s_waitcnt vmcnt(0)
	ds_write_b32 v52, v1
.LBB191_9:                              ;   in Loop: Header=BB191_6 Depth=1
	s_or_b64 exec, exec, s[4:5]
	v_cmp_gt_i32_e32 vcc, s9, v96
	s_and_b64 s[20:21], s[6:7], vcc
	s_and_saveexec_b64 s[4:5], s[20:21]
	s_cbranch_execz .LBB191_11
; %bb.10:                               ;   in Loop: Header=BB191_6 Depth=1
	v_add_u32_e32 v1, v54, v96
	v_mad_i64_i32 v[1:2], s[20:21], v1, 36, s[14:15]
	global_load_dword v1, v[1:2], off
	v_add_u32_e32 v2, v40, v53
	s_waitcnt vmcnt(0)
	ds_write_b32 v2, v1
.LBB191_11:                             ;   in Loop: Header=BB191_6 Depth=1
	s_or_b64 exec, exec, s[4:5]
	s_waitcnt lgkmcnt(0)
	s_barrier
	ds_read_b128 v[1:4], v51
	ds_read_b128 v[104:107], v51 offset:16
	ds_read_b128 v[108:111], v51 offset:32
	;; [unrolled: 1-line block ×3, first 2 shown]
	ds_read_b32 v97, v43
	ds_read2_b32 v[11:12], v95 offset1:1
	ds_read2_b32 v[13:14], v95 offset0:2 offset1:3
	ds_read2_b32 v[15:16], v95 offset0:4 offset1:5
	ds_read_b32 v98, v46 offset:128
	ds_read2_b32 v[17:18], v95 offset0:6 offset1:7
	ds_read_b32 v99, v48 offset:256
	s_waitcnt lgkmcnt(5)
	v_and_b32_e32 v9, 0xf0f0f0f, v11
	v_lshrrev_b32_e32 v11, 4, v11
	v_and_b32_e32 v10, 0xf0f0f0f, v12
	v_and_b32_e32 v11, 0xf0f0f0f, v11
	v_lshrrev_b32_e32 v12, 4, v12
	v_dot4_i32_i8 v11, v11, v108, 0
	v_and_b32_e32 v12, 0xf0f0f0f, v12
	v_dot4_i32_i8 v11, v12, v109, v11
	s_waitcnt lgkmcnt(4)
	v_lshrrev_b32_e32 v12, 4, v13
	v_and_b32_e32 v12, 0xf0f0f0f, v12
	v_dot4_i32_i8 v9, v9, v1, 0
	v_dot4_i32_i8 v11, v12, v110, v11
	v_lshrrev_b32_e32 v12, 4, v14
	v_dot4_i32_i8 v9, v10, v2, v9
	v_and_b32_e32 v10, 0xf0f0f0f, v13
	v_and_b32_e32 v12, 0xf0f0f0f, v12
	v_dot4_i32_i8 v9, v10, v3, v9
	v_and_b32_e32 v10, 0xf0f0f0f, v14
	v_dot4_i32_i8 v11, v12, v111, v11
	s_waitcnt lgkmcnt(3)
	v_lshrrev_b32_e32 v12, 4, v15
	v_dot4_i32_i8 v9, v10, v4, v9
	v_and_b32_e32 v10, 0xf0f0f0f, v15
	v_and_b32_e32 v12, 0xf0f0f0f, v12
	v_add_u32_e32 v13, 0x1080, v95
	v_dot4_i32_i8 v9, v10, v104, v9
	v_and_b32_e32 v10, 0xf0f0f0f, v16
	v_dot4_i32_i8 v11, v12, v112, v11
	v_lshrrev_b32_e32 v12, 4, v16
	ds_read2_b32 v[15:16], v13 offset1:1
	v_and_b32_e32 v12, 0xf0f0f0f, v12
	v_dot4_i32_i8 v11, v12, v113, v11
	s_waitcnt lgkmcnt(2)
	v_lshrrev_b32_e32 v12, 4, v17
	v_dot4_i32_i8 v9, v10, v105, v9
	s_waitcnt lgkmcnt(0)
	v_and_b32_e32 v13, 0xf0f0f0f, v15
	v_dot4_i32_i8 v13, v13, v1, 0
	v_and_b32_e32 v14, 0xf0f0f0f, v16
	v_and_b32_e32 v10, 0xf0f0f0f, v17
	;; [unrolled: 1-line block ×3, first 2 shown]
	v_dot4_i32_i8 v13, v14, v2, v13
	v_add_u32_e32 v14, 0x1088, v95
	v_dot4_i32_i8 v9, v10, v106, v9
	v_and_b32_e32 v10, 0xf0f0f0f, v18
	v_dot4_i32_i8 v11, v12, v114, v11
	v_lshrrev_b32_e32 v12, 4, v18
	ds_read2_b32 v[17:18], v14 offset1:1
	ds_read_b32 v100, v50 offset:384
	v_lshrrev_b32_e32 v15, 4, v15
	v_and_b32_e32 v15, 0xf0f0f0f, v15
	v_lshrrev_b32_e32 v16, 4, v16
	s_waitcnt lgkmcnt(1)
	v_and_b32_e32 v14, 0xf0f0f0f, v17
	v_dot4_i32_i8 v13, v14, v3, v13
	v_and_b32_e32 v14, 0xf0f0f0f, v18
	v_dot4_i32_i8 v13, v14, v4, v13
	v_add_u32_e32 v14, 0x1090, v95
	ds_read2_b32 v[19:20], v14 offset1:1
	v_dot4_i32_i8 v15, v15, v108, 0
	v_and_b32_e32 v16, 0xf0f0f0f, v16
	v_dot4_i32_i8 v15, v16, v109, v15
	v_lshrrev_b32_e32 v16, 4, v17
	v_and_b32_e32 v16, 0xf0f0f0f, v16
	v_dot4_i32_i8 v15, v16, v110, v15
	v_lshrrev_b32_e32 v16, 4, v18
	s_waitcnt lgkmcnt(0)
	v_and_b32_e32 v14, 0xf0f0f0f, v19
	v_and_b32_e32 v16, 0xf0f0f0f, v16
	v_dot4_i32_i8 v13, v14, v104, v13
	v_and_b32_e32 v14, 0xf0f0f0f, v20
	v_dot4_i32_i8 v15, v16, v111, v15
	v_lshrrev_b32_e32 v16, 4, v19
	v_dot4_i32_i8 v13, v14, v105, v13
	v_add_u32_e32 v14, 0x1098, v95
	v_and_b32_e32 v16, 0xf0f0f0f, v16
	v_add_u32_e32 v17, 0x2100, v95
	ds_read2_b32 v[25:26], v14 offset1:1
	v_dot4_i32_i8 v15, v16, v112, v15
	v_lshrrev_b32_e32 v16, 4, v20
	ds_read2_b32 v[19:20], v17 offset1:1
	v_and_b32_e32 v16, 0xf0f0f0f, v16
	v_dot4_i32_i8 v15, v16, v113, v15
	s_waitcnt lgkmcnt(1)
	v_lshrrev_b32_e32 v16, 4, v25
	v_and_b32_e32 v14, 0xf0f0f0f, v25
	s_waitcnt lgkmcnt(0)
	v_and_b32_e32 v17, 0xf0f0f0f, v19
	v_dot4_i32_i8 v17, v17, v1, 0
	v_and_b32_e32 v18, 0xf0f0f0f, v20
	v_and_b32_e32 v16, 0xf0f0f0f, v16
	v_dot4_i32_i8 v17, v18, v2, v17
	v_add_u32_e32 v18, 0x2108, v95
	v_dot4_i32_i8 v13, v14, v106, v13
	v_and_b32_e32 v14, 0xf0f0f0f, v26
	v_dot4_i32_i8 v15, v16, v114, v15
	v_lshrrev_b32_e32 v16, 4, v26
	ds_read2_b32 v[25:26], v18 offset1:1
	v_lshrrev_b32_e32 v19, 4, v19
	v_and_b32_e32 v19, 0xf0f0f0f, v19
	v_lshrrev_b32_e32 v20, 4, v20
	v_dot4_i32_i8 v19, v19, v108, 0
	s_waitcnt lgkmcnt(0)
	v_and_b32_e32 v18, 0xf0f0f0f, v25
	v_dot4_i32_i8 v17, v18, v3, v17
	v_and_b32_e32 v18, 0xf0f0f0f, v26
	v_dot4_i32_i8 v17, v18, v4, v17
	v_add_u32_e32 v18, 0x2110, v95
	ds_read2_b32 v[116:117], v18 offset1:1
	v_and_b32_e32 v20, 0xf0f0f0f, v20
	v_dot4_i32_i8 v19, v20, v109, v19
	v_lshrrev_b32_e32 v20, 4, v25
	v_and_b32_e32 v20, 0xf0f0f0f, v20
	v_dot4_i32_i8 v19, v20, v110, v19
	v_lshrrev_b32_e32 v20, 4, v26
	s_waitcnt lgkmcnt(0)
	v_and_b32_e32 v18, 0xf0f0f0f, v116
	v_and_b32_e32 v20, 0xf0f0f0f, v20
	v_dot4_i32_i8 v17, v18, v104, v17
	v_and_b32_e32 v18, 0xf0f0f0f, v117
	v_dot4_i32_i8 v19, v20, v111, v19
	v_lshrrev_b32_e32 v20, 4, v116
	v_dot4_i32_i8 v17, v18, v105, v17
	v_add_u32_e32 v18, 0x2118, v95
	v_and_b32_e32 v20, 0xf0f0f0f, v20
	v_add_u32_e32 v25, 0x3180, v95
	ds_read2_b32 v[118:119], v18 offset1:1
	v_dot4_i32_i8 v19, v20, v112, v19
	v_lshrrev_b32_e32 v20, 4, v117
	ds_read2_b32 v[116:117], v25 offset1:1
	v_and_b32_e32 v20, 0xf0f0f0f, v20
	v_dot4_i32_i8 v19, v20, v113, v19
	v_dot4_i32_i8 v9, v10, v107, v9
	;; [unrolled: 1-line block ×3, first 2 shown]
	s_waitcnt lgkmcnt(0)
	v_and_b32_e32 v25, 0xf0f0f0f, v116
	v_dot4_i32_i8 v1, v25, v1, 0
	v_and_b32_e32 v25, 0xf0f0f0f, v117
	v_dot4_i32_i8 v25, v25, v2, v1
	v_add_u32_e32 v1, 0x3188, v95
	ds_read2_b32 v[1:2], v1 offset1:1
	v_lshrrev_b32_e32 v20, 4, v118
	v_and_b32_e32 v18, 0xf0f0f0f, v118
	v_and_b32_e32 v20, 0xf0f0f0f, v20
	v_dot4_i32_i8 v17, v18, v106, v17
	s_waitcnt lgkmcnt(0)
	v_and_b32_e32 v26, 0xf0f0f0f, v1
	v_dot4_i32_i8 v3, v26, v3, v25
	v_and_b32_e32 v25, 0xf0f0f0f, v2
	v_dot4_i32_i8 v25, v25, v4, v3
	v_add_u32_e32 v3, 0x3190, v95
	ds_read2_b32 v[3:4], v3 offset1:1
	v_and_b32_e32 v18, 0xf0f0f0f, v119
	v_dot4_i32_i8 v19, v20, v114, v19
	v_lshrrev_b32_e32 v20, 4, v119
	v_dot4_i32_i8 v17, v18, v107, v17
	s_waitcnt lgkmcnt(0)
	v_and_b32_e32 v26, 0xf0f0f0f, v3
	v_dot4_i32_i8 v25, v26, v104, v25
	v_and_b32_e32 v26, 0xf0f0f0f, v4
	v_dot4_i32_i8 v25, v26, v105, v25
	v_add_u32_e32 v26, 0x3198, v95
	ds_read2_b32 v[118:119], v26 offset1:1
	v_lshrrev_b32_e32 v1, 4, v1
	v_and_b32_e32 v1, 0xf0f0f0f, v1
	v_lshrrev_b32_e32 v2, 4, v2
	v_and_b32_e32 v2, 0xf0f0f0f, v2
	s_waitcnt lgkmcnt(0)
	v_and_b32_e32 v26, 0xf0f0f0f, v118
	v_dot4_i32_i8 v25, v26, v106, v25
	v_and_b32_e32 v26, 0xf0f0f0f, v119
	v_lshrrev_b32_e32 v106, 4, v116
	v_dot4_i32_i8 v105, v26, v107, v25
	v_and_b32_e32 v106, 0xf0f0f0f, v106
	v_lshrrev_b32_e32 v107, 4, v117
	v_dot4_i32_i8 v106, v106, v108, 0
	v_and_b32_e32 v107, 0xf0f0f0f, v107
	v_dot4_i32_i8 v106, v107, v109, v106
	v_dot4_i32_i8 v1, v1, v110, v106
	ds_read2_b32 v[27:28], v42 offset1:2
	v_dot4_i32_i8 v1, v2, v111, v1
	v_lshrrev_b32_e32 v2, 4, v3
	v_and_b32_e32 v2, 0xf0f0f0f, v2
	v_dot4_i32_i8 v1, v2, v112, v1
	v_lshrrev_b32_e32 v2, 4, v4
	v_and_b32_e32 v2, 0xf0f0f0f, v2
	;; [unrolled: 3-line block ×3, first 2 shown]
	v_and_b32_e32 v2, 0xf0f0f0f, v2
	s_waitcnt lgkmcnt(0)
	v_and_b32_e32 v106, 0xff, v27
	v_dot4_i32_i8 v12, v12, v115, v11
	v_dot4_i32_i8 v1, v2, v114, v1
	v_lshrrev_b32_e32 v2, 4, v119
	v_bfe_u32 v107, v27, 8, 8
	v_mul_lo_u32 v9, v9, v106
	v_and_b32_e32 v2, 0xf0f0f0f, v2
	v_mul_lo_u32 v12, v12, v107
	v_dot4_i32_i8 v113, v2, v115, v1
	ds_read_b128 v[1:4], v53 offset:20560
	v_cvt_f32_i32_e32 v9, v9
	v_cvt_f32_f16_sdwa v101, v97 dst_sel:DWORD dst_unused:UNUSED_PAD src0_sel:WORD_1
	v_cvt_f32_i32_e32 v12, v12
	v_cvt_f32_ubyte0_e32 v10, v28
	ds_read2_b32 v[29:30], v45 offset1:2
	v_cvt_f32_ubyte1_e32 v11, v28
	s_waitcnt lgkmcnt(1)
	v_fma_mix_f32 v10, v1, v10, 0 op_sel:[1,0,0] op_sel_hi:[1,0,0]
	v_fma_mix_f32 v9, v1, v9, 0 op_sel_hi:[1,0,0]
	v_fma_mix_f32 v10, v2, v11, v10 op_sel:[1,0,0] op_sel_hi:[1,0,0]
	v_fma_mix_f32 v9, v2, v12, v9 op_sel_hi:[1,0,0]
	v_mul_f32_e32 v10, v10, v101
	v_fma_mix_f32 v9, v9, v97, -v10 op_sel_hi:[0,1,0]
	v_and_b32_e32 v16, 0xf0f0f0f, v16
	v_add_f32_e32 v111, v6, v9
	s_waitcnt lgkmcnt(0)
	v_and_b32_e32 v9, 0xff, v29
	v_dot4_i32_i8 v16, v16, v115, v15
	v_bfe_u32 v10, v29, 8, 8
	v_mul_lo_u32 v9, v13, v9
	v_mul_lo_u32 v10, v16, v10
	v_cvt_f32_f16_sdwa v102, v98 dst_sel:DWORD dst_unused:UNUSED_PAD src0_sel:WORD_1
	v_cvt_f32_ubyte0_e32 v14, v30
	v_cvt_f32_i32_e32 v9, v9
	v_cvt_f32_i32_e32 v10, v10
	ds_read2_b32 v[31:32], v47 offset1:2
	v_cvt_f32_ubyte1_e32 v15, v30
	v_fma_mix_f32 v6, v1, v14, 0 op_sel:[1,0,0] op_sel_hi:[1,0,0]
	v_fma_mix_f32 v9, v1, v9, 0 op_sel_hi:[1,0,0]
	v_fma_mix_f32 v6, v2, v15, v6 op_sel:[1,0,0] op_sel_hi:[1,0,0]
	v_fma_mix_f32 v9, v2, v10, v9 op_sel_hi:[1,0,0]
	v_mul_f32_e32 v6, v6, v102
	v_fma_mix_f32 v6, v9, v98, -v6 op_sel_hi:[0,1,0]
	v_and_b32_e32 v20, 0xf0f0f0f, v20
	v_add_f32_e32 v109, v7, v6
	s_waitcnt lgkmcnt(0)
	v_and_b32_e32 v7, 0xff, v31
	v_dot4_i32_i8 v20, v20, v115, v19
	v_bfe_u32 v9, v31, 8, 8
	v_mul_lo_u32 v7, v17, v7
	v_mul_lo_u32 v9, v20, v9
	v_cvt_f32_f16_sdwa v103, v99 dst_sel:DWORD dst_unused:UNUSED_PAD src0_sel:WORD_1
	v_cvt_f32_ubyte0_e32 v18, v32
	v_cvt_f32_i32_e32 v7, v7
	v_cvt_f32_i32_e32 v9, v9
	ds_read2_b32 v[25:26], v49 offset1:2
	v_cvt_f32_ubyte1_e32 v19, v32
	v_fma_mix_f32 v6, v1, v18, 0 op_sel:[1,0,0] op_sel_hi:[1,0,0]
	v_fma_mix_f32 v7, v1, v7, 0 op_sel_hi:[1,0,0]
	v_fma_mix_f32 v6, v2, v19, v6 op_sel:[1,0,0] op_sel_hi:[1,0,0]
	v_fma_mix_f32 v7, v2, v9, v7 op_sel_hi:[1,0,0]
	v_mul_f32_e32 v6, v6, v103
	v_fma_mix_f32 v6, v7, v99, -v6 op_sel_hi:[0,1,0]
	v_add_f32_e32 v107, v8, v6
	s_waitcnt lgkmcnt(0)
	v_and_b32_e32 v6, 0xff, v25
	v_mul_lo_u32 v6, v105, v6
	v_bfe_u32 v7, v25, 8, 8
	v_mul_lo_u32 v7, v113, v7
	v_cvt_f32_ubyte0_e32 v104, v26
	v_cvt_f32_i32_e32 v6, v6
	v_lshrrev_b32_e32 v112, 24, v27
	v_cvt_f32_i32_e32 v7, v7
	v_lshrrev_b32_e32 v110, 24, v29
	v_fma_mix_f32 v6, v1, v6, 0 op_sel_hi:[1,0,0]
	v_fma_mix_f32 v1, v1, v104, 0 op_sel:[1,0,0] op_sel_hi:[1,0,0]
	v_cvt_f32_f16_sdwa v104, v100 dst_sel:DWORD dst_unused:UNUSED_PAD src0_sel:WORD_1
	v_fma_mix_f32 v6, v2, v7, v6 op_sel_hi:[1,0,0]
	v_cvt_f32_ubyte1_e32 v7, v26
	v_fma_mix_f32 v1, v2, v7, v1 op_sel:[1,0,0] op_sel_hi:[1,0,0]
	v_mul_f32_e32 v1, v1, v104
	v_fma_mix_f32 v1, v6, v100, -v1 op_sel_hi:[0,1,0]
	v_add_f32_e32 v105, v5, v1
	ds_read_b128 v[17:20], v51 offset:64
	ds_read_b128 v[13:16], v51 offset:80
	;; [unrolled: 1-line block ×4, first 2 shown]
	ds_read2_b32 v[1:2], v95 offset0:8 offset1:9
	ds_read2_b32 v[115:116], v95 offset0:10 offset1:11
	;; [unrolled: 1-line block ×4, first 2 shown]
	v_lshrrev_b32_e32 v108, 24, v31
	s_waitcnt lgkmcnt(3)
	v_and_b32_e32 v113, 0xf0f0f0f, v1
	v_lshrrev_b32_e32 v1, 4, v1
	v_and_b32_e32 v114, 0xf0f0f0f, v2
	v_and_b32_e32 v1, 0xf0f0f0f, v1
	v_lshrrev_b32_e32 v2, 4, v2
	v_dot4_i32_i8 v1, v1, v9, 0
	v_and_b32_e32 v2, 0xf0f0f0f, v2
	v_dot4_i32_i8 v1, v2, v10, v1
	s_waitcnt lgkmcnt(2)
	v_lshrrev_b32_e32 v2, 4, v115
	v_and_b32_e32 v2, 0xf0f0f0f, v2
	v_dot4_i32_i8 v1, v2, v11, v1
	v_lshrrev_b32_e32 v2, 4, v116
	v_and_b32_e32 v2, 0xf0f0f0f, v2
	v_dot4_i32_i8 v1, v2, v12, v1
	s_waitcnt lgkmcnt(1)
	v_lshrrev_b32_e32 v2, 4, v117
	v_and_b32_e32 v2, 0xf0f0f0f, v2
	v_dot4_i32_i8 v1, v2, v5, v1
	v_lshrrev_b32_e32 v2, 4, v118
	;; [unrolled: 7-line block ×3, first 2 shown]
	v_dot4_i32_i8 v113, v113, v17, 0
	v_and_b32_e32 v2, 0xf0f0f0f, v2
	v_dot4_i32_i8 v113, v114, v18, v113
	v_and_b32_e32 v114, 0xf0f0f0f, v115
	v_dot4_i32_i8 v115, v2, v8, v1
	v_add_u32_e32 v1, 0x10a0, v95
	ds_read2_b32 v[1:2], v1 offset1:1
	v_dot4_i32_i8 v113, v114, v19, v113
	v_and_b32_e32 v114, 0xf0f0f0f, v116
	v_dot4_i32_i8 v113, v114, v20, v113
	v_and_b32_e32 v114, 0xf0f0f0f, v117
	s_waitcnt lgkmcnt(0)
	v_and_b32_e32 v116, 0xf0f0f0f, v1
	v_dot4_i32_i8 v116, v116, v17, 0
	v_and_b32_e32 v117, 0xf0f0f0f, v2
	v_dot4_i32_i8 v113, v114, v13, v113
	v_and_b32_e32 v114, 0xf0f0f0f, v118
	v_dot4_i32_i8 v116, v117, v18, v116
	v_add_u32_e32 v117, 0x10a8, v95
	v_dot4_i32_i8 v113, v114, v14, v113
	v_and_b32_e32 v114, 0xf0f0f0f, v119
	ds_read2_b32 v[118:119], v117 offset1:1
	v_dot4_i32_i8 v113, v114, v15, v113
	v_and_b32_e32 v114, 0xf0f0f0f, v120
	v_lshrrev_b32_e32 v1, 4, v1
	v_and_b32_e32 v1, 0xf0f0f0f, v1
	s_waitcnt lgkmcnt(0)
	v_and_b32_e32 v117, 0xf0f0f0f, v118
	v_dot4_i32_i8 v116, v117, v19, v116
	v_and_b32_e32 v117, 0xf0f0f0f, v119
	v_dot4_i32_i8 v116, v117, v20, v116
	v_add_u32_e32 v117, 0x10b0, v95
	ds_read2_b32 v[120:121], v117 offset1:1
	v_lshrrev_b32_e32 v2, 4, v2
	v_dot4_i32_i8 v1, v1, v9, 0
	v_and_b32_e32 v2, 0xf0f0f0f, v2
	v_dot4_i32_i8 v1, v2, v10, v1
	s_waitcnt lgkmcnt(0)
	v_and_b32_e32 v117, 0xf0f0f0f, v120
	v_lshrrev_b32_e32 v2, 4, v118
	v_dot4_i32_i8 v116, v117, v13, v116
	v_and_b32_e32 v117, 0xf0f0f0f, v121
	v_and_b32_e32 v2, 0xf0f0f0f, v2
	v_dot4_i32_i8 v116, v117, v14, v116
	v_add_u32_e32 v117, 0x10b8, v95
	v_dot4_i32_i8 v1, v2, v11, v1
	v_lshrrev_b32_e32 v2, 4, v119
	ds_read2_b32 v[122:123], v117 offset1:1
	v_and_b32_e32 v2, 0xf0f0f0f, v2
	v_dot4_i32_i8 v1, v2, v12, v1
	v_lshrrev_b32_e32 v2, 4, v120
	v_and_b32_e32 v2, 0xf0f0f0f, v2
	v_dot4_i32_i8 v1, v2, v5, v1
	v_lshrrev_b32_e32 v2, 4, v121
	v_and_b32_e32 v2, 0xf0f0f0f, v2
	v_dot4_i32_i8 v1, v2, v6, v1
	s_waitcnt lgkmcnt(0)
	v_lshrrev_b32_e32 v2, 4, v122
	v_and_b32_e32 v2, 0xf0f0f0f, v2
	v_and_b32_e32 v117, 0xf0f0f0f, v122
	v_dot4_i32_i8 v1, v2, v7, v1
	v_lshrrev_b32_e32 v2, 4, v123
	v_dot4_i32_i8 v116, v117, v15, v116
	v_and_b32_e32 v117, 0xf0f0f0f, v123
	v_and_b32_e32 v2, 0xf0f0f0f, v2
	v_dot4_i32_i8 v116, v117, v16, v116
	v_cvt_f32_ubyte2_e32 v117, v30
	v_dot4_i32_i8 v2, v2, v8, v1
	v_cvt_f32_ubyte3_e32 v1, v30
	v_add_u32_e32 v30, 0x2120, v95
	ds_read2_b32 v[120:121], v30 offset1:1
	v_cvt_f32_ubyte2_e32 v119, v32
	v_dot4_i32_i8 v113, v114, v16, v113
	v_mul_lo_u32 v2, v2, v110
	v_cvt_f32_ubyte2_e32 v114, v28
	s_waitcnt lgkmcnt(0)
	v_and_b32_e32 v30, 0xf0f0f0f, v120
	v_dot4_i32_i8 v30, v30, v17, 0
	v_and_b32_e32 v118, 0xf0f0f0f, v121
	v_dot4_i32_i8 v30, v118, v18, v30
	v_add_u32_e32 v118, 0x2128, v95
	ds_read2_b32 v[122:123], v118 offset1:1
	v_cvt_f32_ubyte3_e32 v28, v28
	v_cvt_f32_i32_e32 v2, v2
	v_lshrrev_b32_e32 v106, 24, v25
	s_cmp_ge_i32 s12, s19
	s_waitcnt lgkmcnt(0)
	v_and_b32_e32 v118, 0xf0f0f0f, v122
	v_dot4_i32_i8 v30, v118, v19, v30
	v_and_b32_e32 v118, 0xf0f0f0f, v123
	v_dot4_i32_i8 v30, v118, v20, v30
	v_add_u32_e32 v118, 0x2130, v95
	ds_read2_b32 v[124:125], v118 offset1:1
	s_waitcnt lgkmcnt(0)
	v_and_b32_e32 v118, 0xf0f0f0f, v124
	v_dot4_i32_i8 v30, v118, v13, v30
	v_and_b32_e32 v118, 0xf0f0f0f, v125
	v_dot4_i32_i8 v30, v118, v14, v30
	v_add_u32_e32 v118, 0x2138, v95
	ds_read2_b32 v[126:127], v118 offset1:1
	s_waitcnt lgkmcnt(0)
	v_and_b32_e32 v118, 0xf0f0f0f, v126
	v_dot4_i32_i8 v30, v118, v15, v30
	v_and_b32_e32 v118, 0xf0f0f0f, v127
	v_dot4_i32_i8 v118, v118, v16, v30
	v_lshrrev_b32_e32 v30, 4, v120
	v_and_b32_e32 v30, 0xf0f0f0f, v30
	v_lshrrev_b32_e32 v120, 4, v121
	v_dot4_i32_i8 v30, v30, v9, 0
	v_and_b32_e32 v120, 0xf0f0f0f, v120
	v_dot4_i32_i8 v30, v120, v10, v30
	v_lshrrev_b32_e32 v120, 4, v122
	v_and_b32_e32 v120, 0xf0f0f0f, v120
	v_dot4_i32_i8 v30, v120, v11, v30
	v_lshrrev_b32_e32 v120, 4, v123
	;; [unrolled: 3-line block ×6, first 2 shown]
	v_and_b32_e32 v120, 0xf0f0f0f, v120
	v_dot4_i32_i8 v120, v120, v8, v30
	v_cvt_f32_ubyte3_e32 v30, v32
	v_add_u32_e32 v32, 0x31a0, v95
	ds_read2_b32 v[121:122], v32 offset1:1
	s_waitcnt lgkmcnt(0)
	v_and_b32_e32 v32, 0xf0f0f0f, v121
	v_dot4_i32_i8 v17, v32, v17, 0
	v_and_b32_e32 v32, 0xf0f0f0f, v122
	v_dot4_i32_i8 v32, v32, v18, v17
	v_add_u32_e32 v17, 0x31a8, v95
	ds_read2_b32 v[17:18], v17 offset1:1
	s_waitcnt lgkmcnt(0)
	v_and_b32_e32 v123, 0xf0f0f0f, v17
	v_dot4_i32_i8 v19, v123, v19, v32
	v_and_b32_e32 v32, 0xf0f0f0f, v18
	v_dot4_i32_i8 v32, v32, v20, v19
	;; [unrolled: 7-line block ×3, first 2 shown]
	v_add_u32_e32 v13, 0x31b8, v95
	ds_read2_b32 v[13:14], v13 offset1:1
	s_waitcnt lgkmcnt(0)
	s_barrier
	v_and_b32_e32 v123, 0xf0f0f0f, v13
	v_dot4_i32_i8 v15, v123, v15, v32
	v_and_b32_e32 v32, 0xf0f0f0f, v14
	v_dot4_i32_i8 v15, v32, v16, v15
	v_lshrrev_b32_e32 v32, 4, v121
	v_and_b32_e32 v32, 0xf0f0f0f, v32
	v_dot4_i32_i8 v9, v32, v9, 0
	v_lshrrev_b32_e32 v32, 4, v122
	;; [unrolled: 3-line block ×8, first 2 shown]
	v_bfe_u32 v7, v27, 16, 8
	v_and_b32_e32 v6, 0xf0f0f0f, v6
	v_mul_lo_u32 v7, v113, v7
	v_dot4_i32_i8 v5, v6, v8, v5
	v_mul_lo_u32 v8, v115, v112
	v_fma_mix_f32 v6, v3, v114, 0 op_sel:[1,0,0] op_sel_hi:[1,0,0]
	v_cvt_f32_i32_e32 v7, v7
	v_fma_mix_f32 v6, v4, v28, v6 op_sel:[1,0,0] op_sel_hi:[1,0,0]
	v_cvt_f32_i32_e32 v8, v8
	v_mul_f32_e32 v6, v6, v101
	v_fma_mix_f32 v7, v3, v7, 0 op_sel_hi:[1,0,0]
	v_cvt_f32_ubyte2_e32 v16, v26
	v_fma_mix_f32 v7, v4, v8, v7 op_sel_hi:[1,0,0]
	v_bfe_u32 v8, v29, 16, 8
	v_mul_lo_u32 v8, v116, v8
	v_fma_mix_f32 v6, v7, v97, -v6 op_sel_hi:[0,1,0]
	v_fma_mix_f32 v7, v3, v117, 0 op_sel:[1,0,0] op_sel_hi:[1,0,0]
	v_fma_mix_f32 v1, v4, v1, v7 op_sel:[1,0,0] op_sel_hi:[1,0,0]
	v_cvt_f32_i32_e32 v8, v8
	v_mul_f32_e32 v1, v1, v102
	v_add_f32_e32 v6, v111, v6
	v_fma_mix_f32 v8, v3, v8, 0 op_sel_hi:[1,0,0]
	v_fma_mix_f32 v2, v4, v2, v8 op_sel_hi:[1,0,0]
	v_fma_mix_f32 v1, v2, v98, -v1 op_sel_hi:[0,1,0]
	v_bfe_u32 v2, v31, 16, 8
	v_mul_lo_u32 v2, v118, v2
	v_mul_lo_u32 v8, v120, v108
	v_add_f32_e32 v7, v109, v1
	v_fma_mix_f32 v1, v3, v119, 0 op_sel:[1,0,0] op_sel_hi:[1,0,0]
	v_cvt_f32_i32_e32 v2, v2
	v_cvt_f32_i32_e32 v8, v8
	v_fma_mix_f32 v1, v4, v30, v1 op_sel:[1,0,0] op_sel_hi:[1,0,0]
	v_mul_f32_e32 v1, v1, v103
	v_fma_mix_f32 v2, v3, v2, 0 op_sel_hi:[1,0,0]
	v_fma_mix_f32 v2, v4, v8, v2 op_sel_hi:[1,0,0]
	v_fma_mix_f32 v1, v2, v99, -v1 op_sel_hi:[0,1,0]
	v_add_f32_e32 v8, v107, v1
	v_bfe_u32 v1, v25, 16, 8
	v_mul_lo_u32 v1, v15, v1
	v_mul_lo_u32 v2, v5, v106
	v_cvt_f32_i32_e32 v1, v1
	v_cvt_f32_i32_e32 v2, v2
	v_fma_mix_f32 v1, v3, v1, 0 op_sel_hi:[1,0,0]
	v_fma_mix_f32 v3, v3, v16, 0 op_sel:[1,0,0] op_sel_hi:[1,0,0]
	v_fma_mix_f32 v1, v4, v2, v1 op_sel_hi:[1,0,0]
	v_cvt_f32_ubyte3_e32 v2, v26
	v_fma_mix_f32 v2, v4, v2, v3 op_sel:[1,0,0] op_sel_hi:[1,0,0]
	v_mul_f32_e32 v2, v2, v104
	v_fma_mix_f32 v1, v1, v100, -v2 op_sel_hi:[0,1,0]
	v_add_f32_e32 v5, v105, v1
	s_cbranch_scc1 .LBB191_5
; %bb.12:                               ;   in Loop: Header=BB191_6 Depth=1
	v_cmp_gt_i32_e32 vcc, s9, v44
	s_and_b64 s[20:21], s[2:3], vcc
	s_and_saveexec_b64 s[4:5], s[20:21]
	s_cbranch_execz .LBB191_14
; %bb.13:                               ;   in Loop: Header=BB191_6 Depth=1
	v_add_u32_e32 v1, v54, v44
	v_mad_i64_i32 v[1:2], s[20:21], v1, 36, v[21:22]
	global_load_dword v1, v[1:2], off offset:4
	s_waitcnt vmcnt(0)
	ds_write_b32 v52, v1
.LBB191_14:                             ;   in Loop: Header=BB191_6 Depth=1
	s_or_b64 exec, exec, s[4:5]
	s_and_saveexec_b64 s[4:5], s[0:1]
	s_cbranch_execz .LBB191_4
; %bb.15:                               ;   in Loop: Header=BB191_6 Depth=1
	v_add_u32_e32 v1, 4, v96
	v_cmp_gt_i32_e32 vcc, s9, v1
	s_and_b64 s[20:21], s[2:3], vcc
	s_and_b64 exec, exec, s[20:21]
	s_cbranch_execz .LBB191_4
; %bb.16:                               ;   in Loop: Header=BB191_6 Depth=1
	v_ashrrev_i32_e32 v1, 31, v96
	v_ashrrev_i32_e32 v2, 31, v54
	v_add_co_u32_e32 v3, vcc, v54, v96
	v_addc_co_u32_e32 v4, vcc, v2, v1, vcc
	v_mad_u64_u32 v[1:2], s[20:21], v3, 36, s[14:15]
	v_mad_i32_i24 v2, v4, 36, v2
	global_load_dword v1, v[1:2], off offset:144
	v_add_u32_e32 v2, v40, v53
	s_waitcnt vmcnt(0)
	ds_write_b32 v2, v1
	s_branch .LBB191_4
.LBB191_17:
	s_mul_i32 s0, s11, s8
	s_waitcnt vmcnt(0)
	v_cmp_gt_i32_e32 vcc, s0, v33
	s_and_saveexec_b64 s[0:1], vcc
	s_cbranch_execz .LBB191_26
; %bb.18:
	v_mul_lo_u32 v1, v33, s10
	v_add_u32_e32 v0, s22, v0
	v_cmp_gt_u32_e32 vcc, s10, v0
	s_and_saveexec_b64 s[0:1], vcc
	s_cbranch_execz .LBB191_20
; %bb.19:
	v_add_u32_e32 v2, v1, v0
	v_mov_b32_e32 v3, 0
	v_lshlrev_b64 v[2:3], 2, v[2:3]
	v_mov_b32_e32 v4, s17
	v_add_co_u32_e32 v2, vcc, s16, v2
	v_addc_co_u32_e32 v3, vcc, v4, v3, vcc
	global_store_dword v[2:3], v6, off
.LBB191_20:
	s_or_b64 exec, exec, s[0:1]
	v_add_u32_e32 v2, 32, v0
	v_cmp_gt_u32_e32 vcc, s10, v2
	s_and_saveexec_b64 s[0:1], vcc
	s_cbranch_execz .LBB191_22
; %bb.21:
	v_add_u32_e32 v2, v1, v2
	v_mov_b32_e32 v3, 0
	v_lshlrev_b64 v[2:3], 2, v[2:3]
	v_mov_b32_e32 v4, s17
	v_add_co_u32_e32 v2, vcc, s16, v2
	v_addc_co_u32_e32 v3, vcc, v4, v3, vcc
	global_store_dword v[2:3], v7, off
.LBB191_22:
	s_or_b64 exec, exec, s[0:1]
	;; [unrolled: 14-line block ×3, first 2 shown]
	v_add_u32_e32 v0, 0x60, v0
	v_cmp_gt_u32_e32 vcc, s10, v0
	s_and_b64 exec, exec, vcc
	s_cbranch_execz .LBB191_26
; %bb.25:
	v_add_u32_e32 v0, v1, v0
	v_mov_b32_e32 v1, 0
	v_lshlrev_b64 v[0:1], 2, v[0:1]
	v_mov_b32_e32 v2, s17
	v_add_co_u32_e32 v0, vcc, s16, v0
	v_addc_co_u32_e32 v1, vcc, v2, v1, vcc
	global_store_dword v[0:1], v5, off
.LBB191_26:
	s_endpgm
	.section	.rodata,"a",@progbits
	.p2align	6, 0x0
	.amdhsa_kernel _ZL8moe_q4_KIfLb0EEvPKvS1_PT_PKiS5_S5_iiiiiii
		.amdhsa_group_segment_fixed_size 20688
		.amdhsa_private_segment_fixed_size 0
		.amdhsa_kernarg_size 76
		.amdhsa_user_sgpr_count 6
		.amdhsa_user_sgpr_private_segment_buffer 1
		.amdhsa_user_sgpr_dispatch_ptr 0
		.amdhsa_user_sgpr_queue_ptr 0
		.amdhsa_user_sgpr_kernarg_segment_ptr 1
		.amdhsa_user_sgpr_dispatch_id 0
		.amdhsa_user_sgpr_flat_scratch_init 0
		.amdhsa_user_sgpr_private_segment_size 0
		.amdhsa_uses_dynamic_stack 0
		.amdhsa_system_sgpr_private_segment_wavefront_offset 0
		.amdhsa_system_sgpr_workgroup_id_x 1
		.amdhsa_system_sgpr_workgroup_id_y 1
		.amdhsa_system_sgpr_workgroup_id_z 0
		.amdhsa_system_sgpr_workgroup_info 0
		.amdhsa_system_vgpr_workitem_id 1
		.amdhsa_next_free_vgpr 128
		.amdhsa_next_free_sgpr 98
		.amdhsa_reserve_vcc 1
		.amdhsa_reserve_flat_scratch 0
		.amdhsa_float_round_mode_32 0
		.amdhsa_float_round_mode_16_64 0
		.amdhsa_float_denorm_mode_32 3
		.amdhsa_float_denorm_mode_16_64 3
		.amdhsa_dx10_clamp 1
		.amdhsa_ieee_mode 1
		.amdhsa_fp16_overflow 0
		.amdhsa_exception_fp_ieee_invalid_op 0
		.amdhsa_exception_fp_denorm_src 0
		.amdhsa_exception_fp_ieee_div_zero 0
		.amdhsa_exception_fp_ieee_overflow 0
		.amdhsa_exception_fp_ieee_underflow 0
		.amdhsa_exception_fp_ieee_inexact 0
		.amdhsa_exception_int_div_zero 0
	.end_amdhsa_kernel
	.section	.text._ZL8moe_q4_KIfLb0EEvPKvS1_PT_PKiS5_S5_iiiiiii,"axG",@progbits,_ZL8moe_q4_KIfLb0EEvPKvS1_PT_PKiS5_S5_iiiiiii,comdat
.Lfunc_end191:
	.size	_ZL8moe_q4_KIfLb0EEvPKvS1_PT_PKiS5_S5_iiiiiii, .Lfunc_end191-_ZL8moe_q4_KIfLb0EEvPKvS1_PT_PKiS5_S5_iiiiiii
                                        ; -- End function
	.set _ZL8moe_q4_KIfLb0EEvPKvS1_PT_PKiS5_S5_iiiiiii.num_vgpr, 128
	.set _ZL8moe_q4_KIfLb0EEvPKvS1_PT_PKiS5_S5_iiiiiii.num_agpr, 0
	.set _ZL8moe_q4_KIfLb0EEvPKvS1_PT_PKiS5_S5_iiiiiii.numbered_sgpr, 26
	.set _ZL8moe_q4_KIfLb0EEvPKvS1_PT_PKiS5_S5_iiiiiii.num_named_barrier, 0
	.set _ZL8moe_q4_KIfLb0EEvPKvS1_PT_PKiS5_S5_iiiiiii.private_seg_size, 0
	.set _ZL8moe_q4_KIfLb0EEvPKvS1_PT_PKiS5_S5_iiiiiii.uses_vcc, 1
	.set _ZL8moe_q4_KIfLb0EEvPKvS1_PT_PKiS5_S5_iiiiiii.uses_flat_scratch, 0
	.set _ZL8moe_q4_KIfLb0EEvPKvS1_PT_PKiS5_S5_iiiiiii.has_dyn_sized_stack, 0
	.set _ZL8moe_q4_KIfLb0EEvPKvS1_PT_PKiS5_S5_iiiiiii.has_recursion, 0
	.set _ZL8moe_q4_KIfLb0EEvPKvS1_PT_PKiS5_S5_iiiiiii.has_indirect_call, 0
	.section	.AMDGPU.csdata,"",@progbits
; Kernel info:
; codeLenInByte = 11204
; TotalNumSgprs: 30
; NumVgprs: 128
; ScratchSize: 0
; MemoryBound: 0
; FloatMode: 240
; IeeeMode: 1
; LDSByteSize: 20688 bytes/workgroup (compile time only)
; SGPRBlocks: 12
; VGPRBlocks: 31
; NumSGPRsForWavesPerEU: 102
; NumVGPRsForWavesPerEU: 128
; Occupancy: 2
; WaveLimiterHint : 1
; COMPUTE_PGM_RSRC2:SCRATCH_EN: 0
; COMPUTE_PGM_RSRC2:USER_SGPR: 6
; COMPUTE_PGM_RSRC2:TRAP_HANDLER: 0
; COMPUTE_PGM_RSRC2:TGID_X_EN: 1
; COMPUTE_PGM_RSRC2:TGID_Y_EN: 1
; COMPUTE_PGM_RSRC2:TGID_Z_EN: 0
; COMPUTE_PGM_RSRC2:TIDIG_COMP_CNT: 1
	.section	.text._ZL8moe_q4_KIfLb1EEvPKvS1_PT_PKiS5_S5_iiiiiii,"axG",@progbits,_ZL8moe_q4_KIfLb1EEvPKvS1_PT_PKiS5_S5_iiiiiii,comdat
	.globl	_ZL8moe_q4_KIfLb1EEvPKvS1_PT_PKiS5_S5_iiiiiii ; -- Begin function _ZL8moe_q4_KIfLb1EEvPKvS1_PT_PKiS5_S5_iiiiiii
	.p2align	8
	.type	_ZL8moe_q4_KIfLb1EEvPKvS1_PT_PKiS5_S5_iiiiiii,@function
_ZL8moe_q4_KIfLb1EEvPKvS1_PT_PKiS5_S5_iiiiiii: ; @_ZL8moe_q4_KIfLb1EEvPKvS1_PT_PKiS5_S5_iiiiiii
; %bb.0:
	s_mov_b64 s[30:31], s[2:3]
	s_mov_b64 s[28:29], s[0:1]
	s_load_dwordx4 s[0:3], s[4:5], 0x18
	s_add_u32 s28, s28, s8
	s_mov_b32 s8, s7
	s_mov_b32 s9, 0
	s_addc_u32 s29, s29, 0
	s_lshl_b64 s[10:11], s[8:9], 2
	s_waitcnt lgkmcnt(0)
	s_add_u32 s2, s2, s10
	s_addc_u32 s3, s3, s11
	s_load_dword s2, s[2:3], 0x0
	s_waitcnt lgkmcnt(0)
	s_cmpk_gt_u32 s2, 0xff
	s_cbranch_scc1 .LBB192_27
; %bb.1:
	s_load_dwordx2 s[10:11], s[4:5], 0x28
	s_lshl_b32 s3, s8, 3
	s_waitcnt lgkmcnt(0)
	s_load_dword s7, s[10:11], 0x0
	s_waitcnt lgkmcnt(0)
	s_cmp_gt_u32 s3, s7
	s_cbranch_scc1 .LBB192_27
; %bb.2:
	v_add_u32_e32 v4, s3, v1
	v_mov_b32_e32 v5, 0
	v_lshlrev_b64 v[2:3], 2, v[4:5]
	v_mov_b32_e32 v111, v0
	v_mov_b32_e32 v0, s1
	v_add_co_u32_e32 v2, vcc, s0, v2
	v_addc_co_u32_e32 v3, vcc, v0, v3, vcc
	global_load_dword v45, v[2:3], off
	s_load_dwordx8 s[8:15], s[4:5], 0x30
	s_load_dwordx2 s[16:17], s[4:5], 0x10
	s_waitcnt lgkmcnt(0)
	s_lshl_b32 s15, s6, 7
	v_mov_b32_e32 v8, v5
	v_mov_b32_e32 v7, v5
	s_cmpk_lt_i32 s9, 0x100
	v_mov_b32_e32 v6, v5
	s_cbranch_scc1 .LBB192_18
; %bb.3:
	s_ashr_i32 s0, s9, 31
	s_lshr_b32 s0, s0, 24
	s_add_i32 s0, s9, s0
	s_ashr_i32 s22, s0, 8
	s_not_b32 s0, s15
	s_add_i32 s10, s10, s0
	v_lshlrev_b32_e32 v2, 2, v111
	v_min_i32_e32 v0, s10, v1
	s_movk_i32 s0, 0x84
	v_mad_u64_u32 v[3:4], s[18:19], v0, s0, v[2:3]
	buffer_store_dword v3, off, s[28:31], 0 ; 4-byte Folded Spill
	s_nop 0
	buffer_store_dword v4, off, s[28:31], 0 offset:4 ; 4-byte Folded Spill
	v_mul_lo_u32 v22, v0, s22
	v_add_u32_e32 v0, 8, v1
	v_min_i32_e32 v0, s10, v0
	s_movk_i32 s1, 0x4e40
	v_mul_lo_u32 v40, v0, s22
	v_and_b32_e32 v15, 3, v111
	v_lshlrev_b32_e32 v12, 2, v15
	v_lshrrev_b32_e32 v51, 3, v111
	v_mov_b32_e32 v41, 0x4200
	v_lshrrev_b32_e32 v21, 5, v111
	v_add_u32_e32 v35, 64, v111
	v_lshrrev_b32_e32 v33, 3, v35
	v_lshl_add_u32 v35, v35, 2, v33
	v_lshl_add_u32 v35, v35, 2, v41
	s_mul_i32 s3, s22, s15
	s_mul_i32 s20, s3, 0x90
	s_mul_hi_i32 s21, s3, 0x90
	s_movk_i32 s23, 0x90
	s_load_dwordx4 s[4:7], s[4:5], 0x0
	v_and_b32_e32 v44, 28, v2
	v_and_b32_e32 v5, 0x7c, v2
	s_mul_i32 s8, s2, s8
	v_lshlrev_b32_e32 v68, 4, v1
	v_mul_u32_u24_e32 v110, 0x84, v111
	v_mad_u64_u32 v[3:4], s[18:19], v0, s0, v[2:3]
	buffer_store_dword v3, off, s[28:31], 0 offset:8 ; 4-byte Folded Spill
	s_nop 0
	buffer_store_dword v4, off, s[28:31], 0 offset:12 ; 4-byte Folded Spill
	v_add_u32_e32 v3, 24, v1
	v_min_i32_e32 v8, s10, v3
	v_add_u32_e32 v3, 32, v1
	v_min_i32_e32 v10, s10, v3
	;; [unrolled: 2-line block ×13, first 2 shown]
	v_lshl_add_u32 v3, v1, 5, v111
	v_and_b32_e32 v3, 0x7f, v3
	v_min_i32_e32 v19, s10, v3
	v_ashrrev_i32_e32 v3, 31, v19
	v_lshrrev_b32_e32 v3, 27, v3
	v_add_u32_e32 v3, v19, v3
	v_ashrrev_i32_e32 v3, 5, v3
	v_lshlrev_b32_e32 v3, 2, v3
	v_lshlrev_b32_e32 v4, 2, v19
	v_add3_u32 v50, v3, v4, s1
	v_lshrrev_b32_e32 v3, 2, v111
	v_lshl_add_u32 v3, v1, 3, v3
	v_and_b32_e32 v3, 0x7f, v3
	v_min_i32_e32 v6, s10, v3
	v_ashrrev_i32_e32 v4, 31, v6
	v_lshrrev_b32_e32 v4, 29, v4
	v_add_u32_e32 v4, v6, v4
	v_add_u32_e32 v0, 16, v1
	v_ashrrev_i32_e32 v4, 3, v4
	v_xor_b32_e32 v3, 64, v3
	v_min_i32_e32 v0, s10, v0
	v_lshlrev_b32_e32 v4, 2, v4
	s_movk_i32 s18, 0x4200
	v_min_i32_e32 v9, s10, v3
	s_abs_i32 s10, s14
	v_add3_u32 v7, v4, v12, s18
	v_ashrrev_i32_e32 v3, 31, v9
	v_cvt_f32_u32_e32 v4, s10
	v_lshrrev_b32_e32 v3, 29, v3
	v_add_u32_e32 v3, v9, v3
	v_ashrrev_i32_e32 v3, 3, v3
	v_lshlrev_b32_e32 v3, 2, v3
	v_rcp_iflag_f32_e32 v4, v4
	v_add3_u32 v12, v3, v12, s18
	v_add_u32_e32 v3, v51, v2
	v_lshl_add_u32 v3, v3, 2, v41
	buffer_store_dword v3, off, s[28:31], 0 offset:16 ; 4-byte Folded Spill
	v_lshlrev_b32_e32 v3, 2, v21
	v_add3_u32 v3, v2, v3, s1
	v_mul_f32_e32 v4, 0x4f7ffffe, v4
	buffer_store_dword v3, off, s[28:31], 0 offset:20 ; 4-byte Folded Spill
	v_add_u32_e32 v3, 32, v111
	v_cvt_u32_f32_e32 v4, v4
	v_lshrrev_b32_e32 v54, 3, v3
	v_lshl_add_u32 v3, v3, 2, v54
	v_lshl_add_u32 v3, v3, 2, v41
	s_sub_i32 s18, 0, s10
	buffer_store_dword v3, off, s[28:31], 0 offset:24 ; 4-byte Folded Spill
	v_mul_lo_u32 v3, s18, v4
	buffer_store_dword v35, off, s[28:31], 0 offset:28 ; 4-byte Folded Spill
	s_waitcnt vmcnt(8)
	v_sub_u32_e32 v35, 0, v45
	v_max_i32_e32 v42, v45, v35
	v_mul_hi_u32 v3, v4, v3
	v_mul_lo_u32 v46, v0, s22
	v_mul_lo_u32 v48, v8, s22
	;; [unrolled: 1-line block ×3, first 2 shown]
	v_add_u32_e32 v3, v4, v3
	v_mul_hi_u32 v3, v42, v3
	v_add_u32_e32 v4, 0x60, v111
	v_lshrrev_b32_e32 v35, 3, v4
	v_lshl_add_u32 v4, v4, 2, v35
	v_mul_lo_u32 v43, v3, s10
	v_lshl_add_u32 v4, v4, 2, v41
	buffer_store_dword v4, off, s[28:31], 0 offset:32 ; 4-byte Folded Spill
	buffer_store_dword v45, off, s[28:31], 0 offset:68 ; 4-byte Folded Spill
	v_xor_b32_e32 v4, s14, v45
	v_ashrrev_i32_e32 v41, 31, v4
	v_sub_u32_e32 v4, v42, v43
	v_add_u32_e32 v42, 1, v3
	v_cmp_le_u32_e32 vcc, s10, v4
	v_cndmask_b32_e32 v3, v3, v42, vcc
	v_subrev_u32_e32 v42, s10, v4
	v_cndmask_b32_e32 v4, v4, v42, vcc
	v_add_u32_e32 v42, 1, v3
	v_cmp_le_u32_e32 vcc, s10, v4
	v_cndmask_b32_e32 v3, v3, v42, vcc
	v_xor_b32_e32 v42, v3, v41
	v_mov_b32_e32 v3, s20
	v_mov_b32_e32 v4, s21
	v_mad_u64_u32 v[3:4], s[18:19], v21, s23, v[3:4]
	v_sub_u32_e32 v41, v42, v41
	s_waitcnt lgkmcnt(0)
	v_mov_b32_e32 v21, s7
	v_mad_i64_i32 v[42:43], s[18:19], v22, s23, v[3:4]
	v_add_co_u32_e32 v44, vcc, s6, v44
	v_addc_co_u32_e32 v45, vcc, 0, v21, vcc
	buffer_store_dword v44, off, s[28:31], 0 offset:48 ; 4-byte Folded Spill
	s_nop 0
	buffer_store_dword v45, off, s[28:31], 0 offset:52 ; 4-byte Folded Spill
	v_add_co_u32_e32 v21, vcc, v42, v5
	v_mad_i64_i32 v[44:45], s[18:19], v40, s23, v[3:4]
	v_addc_co_u32_e32 v22, vcc, 0, v43, vcc
	v_mov_b32_e32 v43, s5
	v_add_co_u32_e32 v42, vcc, s4, v21
	v_addc_co_u32_e32 v43, vcc, v43, v22, vcc
	v_add_co_u32_e32 v21, vcc, v44, v5
	v_mad_i64_i32 v[46:47], s[18:19], v46, s23, v[3:4]
	v_addc_co_u32_e32 v22, vcc, 0, v45, vcc
	v_mov_b32_e32 v40, s5
	v_add_co_u32_e32 v44, vcc, s4, v21
	v_addc_co_u32_e32 v45, vcc, v40, v22, vcc
	v_add_co_u32_e32 v21, vcc, v46, v5
	v_mad_i64_i32 v[48:49], s[18:19], v48, s23, v[3:4]
	v_addc_co_u32_e32 v22, vcc, 0, v47, vcc
	v_add_co_u32_e32 v46, vcc, s4, v21
	v_addc_co_u32_e32 v47, vcc, v40, v22, vcc
	v_mul_lo_u32 v55, v11, s22
	v_add_co_u32_e32 v21, vcc, v48, v5
	v_mad_i64_i32 v[52:53], s[18:19], v52, s23, v[3:4]
	v_addc_co_u32_e32 v22, vcc, 0, v49, vcc
	v_add_co_u32_e32 v48, vcc, s4, v21
	v_addc_co_u32_e32 v49, vcc, v40, v22, vcc
	v_add_co_u32_e32 v21, vcc, v52, v5
	v_mad_i64_i32 v[55:56], s[18:19], v55, s23, v[3:4]
	v_mul_lo_u32 v37, v13, s22
	v_addc_co_u32_e32 v22, vcc, 0, v53, vcc
	v_add_co_u32_e32 v52, vcc, s4, v21
	v_addc_co_u32_e32 v53, vcc, v40, v22, vcc
	v_add_co_u32_e32 v21, vcc, v55, v5
	v_mul_lo_u32 v36, v14, s22
	v_addc_co_u32_e32 v22, vcc, 0, v56, vcc
	v_mad_i64_i32 v[55:56], s[18:19], v37, s23, v[3:4]
	v_add_co_u32_e32 v61, vcc, s4, v21
	v_addc_co_u32_e32 v67, vcc, v40, v22, vcc
	v_add_co_u32_e32 v21, vcc, v55, v5
	v_mad_i64_i32 v[36:37], s[18:19], v36, s23, v[3:4]
	v_mul_lo_u32 v34, v16, s22
	v_addc_co_u32_e32 v22, vcc, 0, v56, vcc
	v_add_co_u32_e32 v82, vcc, s4, v21
	v_addc_co_u32_e32 v83, vcc, v40, v22, vcc
	v_add_co_u32_e32 v21, vcc, v36, v5
	v_addc_co_u32_e32 v22, vcc, 0, v37, vcc
	v_mad_i64_i32 v[36:37], s[18:19], v34, s23, v[3:4]
	v_mul_lo_u32 v32, v17, s22
	v_add_co_u32_e32 v21, vcc, s4, v21
	v_addc_co_u32_e32 v22, vcc, v40, v22, vcc
	v_add_co_u32_e32 v34, vcc, v36, v5
	v_mul_lo_u32 v31, v18, s22
	v_addc_co_u32_e32 v40, vcc, 0, v37, vcc
	v_mad_i64_i32 v[36:37], s[18:19], v32, s23, v[3:4]
	v_mov_b32_e32 v55, s5
	v_add_co_u32_e32 v56, vcc, s4, v34
	v_addc_co_u32_e32 v55, vcc, v55, v40, vcc
	v_mul_lo_u32 v30, v20, s22
	v_add_co_u32_e32 v34, vcc, v36, v5
	v_mad_i64_i32 v[31:32], s[18:19], v31, s23, v[3:4]
	v_addc_co_u32_e32 v36, vcc, 0, v37, vcc
	v_mov_b32_e32 v37, s5
	v_add_co_u32_e32 v57, vcc, s4, v34
	v_addc_co_u32_e32 v58, vcc, v37, v36, vcc
	v_mul_lo_u32 v29, v23, s22
	v_add_co_u32_e32 v34, vcc, v31, v5
	v_mad_i64_i32 v[30:31], s[18:19], v30, s23, v[3:4]
	v_addc_co_u32_e32 v32, vcc, 0, v32, vcc
	;; [unrolled: 7-line block ×4, first 2 shown]
	v_mul_lo_u32 v26, v9, s22
	v_mov_b32_e32 v32, s5
	v_add_co_u32_e32 v94, vcc, s4, v31
	v_addc_co_u32_e32 v95, vcc, v32, v30, vcc
	v_add_co_u32_e32 v31, vcc, v28, v5
	v_mad_i64_i32 v[27:28], s[18:19], v27, s23, 0
	v_addc_co_u32_e32 v32, vcc, 0, v29, vcc
	v_mad_i64_i32 v[29:30], s[18:19], v26, s23, 0
	v_mul_lo_u32 v25, v38, s22
	v_mov_b32_e32 v34, s21
	v_add_co_u32_e32 v63, vcc, s20, v27
	v_addc_co_u32_e32 v64, vcc, v34, v28, vcc
	v_mov_b32_e32 v26, s21
	v_add_co_u32_e32 v65, vcc, s20, v29
	v_addc_co_u32_e32 v66, vcc, v26, v30, vcc
	v_mad_i64_i32 v[25:26], s[18:19], v25, s23, v[3:4]
	v_mov_b32_e32 v27, s5
	v_add_co_u32_e32 v96, vcc, s4, v31
	v_addc_co_u32_e32 v97, vcc, v27, v32, vcc
	v_add_co_u32_e32 v40, vcc, v25, v5
	v_and_b32_e32 v25, 60, v54
	v_add3_u32 v25, v2, v25, s1
	buffer_store_dword v25, off, s[28:31], 0 offset:36 ; 4-byte Folded Spill
	v_and_b32_e32 v25, 60, v33
	v_add3_u32 v25, v2, v25, s1
	buffer_store_dword v25, off, s[28:31], 0 offset:40 ; 4-byte Folded Spill
	v_and_b32_e32 v25, 60, v35
	v_add3_u32 v25, v2, v25, s1
	v_addc_co_u32_e32 v62, vcc, 0, v26, vcc
	buffer_store_dword v25, off, s[28:31], 0 offset:44 ; 4-byte Folded Spill
	v_mad_u64_u32 v[25:26], s[18:19], v0, s0, v[2:3]
	v_mad_u64_u32 v[26:27], s[18:19], v8, s0, v[2:3]
	;; [unrolled: 1-line block ×9, first 2 shown]
	v_add_u32_e32 v8, 0x5050, v2
	v_mad_u64_u32 v[34:35], s[18:19], v20, s0, v[2:3]
	buffer_store_dword v8, off, s[28:31], 0 offset:60 ; 4-byte Folded Spill
	v_mul_lo_u32 v8, v39, s22
	v_mad_u64_u32 v[35:36], s[18:19], v23, s0, v[2:3]
	v_mad_u64_u32 v[36:37], s[18:19], v24, s0, v[2:3]
	;; [unrolled: 1-line block ×3, first 2 shown]
	v_and_b32_e32 v0, 4, v2
	v_mad_u64_u32 v[38:39], s[0:1], v39, s0, v[2:3]
	v_mad_i64_i32 v[2:3], s[0:1], v8, s23, v[3:4]
	s_ashr_i32 s0, s12, 31
	v_mov_b32_e32 v4, s5
	v_add_co_u32_e32 v8, vcc, s4, v40
	s_lshr_b32 s0, s0, 27
	v_addc_co_u32_e32 v4, vcc, v4, v62, vcc
	s_add_i32 s0, s12, s0
	v_add_co_u32_e32 v2, vcc, v2, v5
	s_ashr_i32 s10, s0, 5
	v_cmp_gt_u32_e64 s[0:1], 4, v111
	v_cmp_gt_i32_e64 s[2:3], s11, v41
	v_addc_co_u32_e32 v3, vcc, 0, v3, vcc
	s_ashr_i32 s12, s8, 31
	v_mul_lo_u32 v11, v19, s22
	s_and_b64 s[18:19], s[0:1], s[2:3]
	v_mov_b32_e32 v5, s5
	v_add_co_u32_e32 v10, vcc, s4, v2
	s_add_u32 s20, s4, s20
	v_addc_co_u32_e32 v5, vcc, v5, v3, vcc
	s_addc_u32 s21, s5, s21
	v_mov_b32_e32 v2, s20
	v_mov_b32_e32 v3, s21
	v_mad_i64_i32 v[39:40], s[20:21], v11, s23, v[2:3]
	v_add_u32_e32 v2, 0xfe, v15
	v_and_b32_e32 v2, 0xff, v2
	v_cmp_gt_u32_e32 vcc, 2, v15
	v_cndmask_b32_e32 v2, v2, v15, vcc
	v_cmp_lt_u32_e32 vcc, 1, v15
	v_cndmask_b32_e32 v62, 0, v0, vcc
	v_cndmask_b32_e64 v0, 0, 1, vcc
	v_lshlrev_b32_e32 v0, 2, v0
	v_or_b32_e32 v3, v63, v0
	v_mov_b32_e32 v11, s5
	v_add_co_u32_e32 v3, vcc, s4, v3
	v_addc_co_u32_e32 v11, vcc, v11, v64, vcc
	v_cmp_ne_u32_e32 vcc, 0, v15
	v_addc_co_u32_e32 v13, vcc, 0, v2, vcc
	v_lshlrev_b32_e32 v13, 2, v13
	v_add_co_u32_e32 v14, vcc, v63, v13
	v_addc_co_u32_e32 v15, vcc, 0, v64, vcc
	v_mov_b32_e32 v16, s5
	v_add_co_u32_e32 v14, vcc, s4, v14
	v_addc_co_u32_e32 v15, vcc, v16, v15, vcc
	v_or_b32_e32 v0, v65, v0
	v_add_co_u32_e32 v0, vcc, s4, v0
	v_addc_co_u32_e32 v16, vcc, v16, v66, vcc
	v_add_co_u32_e32 v13, vcc, v65, v13
	v_addc_co_u32_e32 v17, vcc, 0, v66, vcc
	v_mov_b32_e32 v18, s5
	v_add_co_u32_e32 v13, vcc, s4, v13
	v_addc_co_u32_e32 v17, vcc, v18, v17, vcc
	v_add_co_u32_e32 v70, vcc, 16, v42
	v_addc_co_u32_e32 v71, vcc, 0, v43, vcc
	;; [unrolled: 2-line block ×19, first 2 shown]
	v_mul_lo_u32 v69, v41, s10
	v_add_co_u32_e32 v106, vcc, 4, v0
	v_lshlrev_b32_e32 v6, 4, v6
	v_lshlrev_b32_e32 v65, 1, v2
	v_mov_b32_e32 v2, 0x4a40
	v_addc_co_u32_e32 v107, vcc, 0, v16, vcc
	v_add_u32_e32 v63, v7, v6
	v_lshlrev_b32_e32 v6, 4, v9
	v_lshl_add_u32 v66, v1, 7, v2
	v_and_b32_e32 v2, 31, v111
	v_add_co_u32_e32 v108, vcc, 4, v13
	v_add_u32_e32 v64, v12, v6
	v_lshl_add_u32 v2, v2, 2, v66
	v_addc_co_u32_e32 v109, vcc, 0, v17, vcc
	s_movk_i32 s20, 0x80
	s_mov_b32 s21, 0x30303030
	v_mov_b32_e32 v6, 0
	v_mov_b32_e32 v7, 0
	v_mov_b32_e32 v8, 0
	v_mov_b32_e32 v5, 0
	buffer_store_dword v2, off, s[28:31], 0 offset:56 ; 4-byte Folded Spill
	buffer_store_dword v111, off, s[28:31], 0 offset:64 ; 4-byte Folded Spill
	s_branch .LBB192_6
.LBB192_4:                              ;   in Loop: Header=BB192_6 Depth=1
	s_or_b64 exec, exec, s[4:5]
	s_waitcnt lgkmcnt(0)
	s_barrier
	ds_read_b128 v[0:3], v66
	ds_read_b128 v[55:58], v66 offset:16
	ds_read_b128 v[119:122], v66 offset:32
	;; [unrolled: 1-line block ×3, first 2 shown]
	buffer_load_dword v4, off, s[28:31], 0 offset:20 ; 4-byte Folded Reload
	s_waitcnt vmcnt(0)
	ds_read_b32 v112, v4
	ds_read2_b32 v[11:12], v110 offset0:16 offset1:17
	ds_read2_b32 v[13:14], v110 offset0:18 offset1:19
	;; [unrolled: 1-line block ×4, first 2 shown]
	s_waitcnt lgkmcnt(4)
	v_cvt_f32_f16_sdwa v116, v112 dst_sel:DWORD dst_unused:UNUSED_PAD src0_sel:WORD_1
	s_waitcnt lgkmcnt(3)
	v_and_b32_e32 v4, 0xf0f0f0f, v11
	v_dot4_i32_i8 v4, v4, v0, 0
	v_and_b32_e32 v9, 0xf0f0f0f, v12
	v_dot4_i32_i8 v4, v9, v1, v4
	s_waitcnt lgkmcnt(2)
	v_and_b32_e32 v9, 0xf0f0f0f, v13
	v_dot4_i32_i8 v4, v9, v2, v4
	v_and_b32_e32 v9, 0xf0f0f0f, v14
	v_dot4_i32_i8 v4, v9, v3, v4
	;; [unrolled: 5-line block ×4, first 2 shown]
	buffer_load_dword v4, off, s[28:31], 0 offset:16 ; 4-byte Folded Reload
	s_waitcnt vmcnt(0)
	ds_read2_b32 v[43:44], v4 offset0:1 offset1:3
	v_lshrrev_b32_e32 v4, 4, v11
	v_and_b32_e32 v4, 0xf0f0f0f, v4
	v_lshrrev_b32_e32 v11, 4, v12
	v_dot4_i32_i8 v4, v4, v119, 0
	v_and_b32_e32 v11, 0xf0f0f0f, v11
	v_dot4_i32_i8 v4, v11, v120, v4
	v_lshrrev_b32_e32 v11, 4, v13
	v_and_b32_e32 v11, 0xf0f0f0f, v11
	v_dot4_i32_i8 v4, v11, v121, v4
	v_lshrrev_b32_e32 v11, 4, v14
	;; [unrolled: 3-line block ×6, first 2 shown]
	v_and_b32_e32 v11, 0xf0f0f0f, v11
	v_dot4_i32_i8 v12, v11, v126, v4
	buffer_load_dword v4, off, s[28:31], 0 offset:36 ; 4-byte Folded Reload
	s_waitcnt lgkmcnt(0)
	v_cvt_f32_ubyte0_e32 v10, v44
	v_cvt_f32_ubyte1_e32 v11, v44
	v_lshrrev_b32_e32 v127, 24, v43
	s_waitcnt vmcnt(0)
	ds_read_b32 v113, v4 offset:128
	v_add_u32_e32 v4, 0x10c0, v110
	ds_read2_b32 v[15:16], v4 offset1:1
	s_waitcnt lgkmcnt(1)
	v_cvt_f32_f16_sdwa v117, v113 dst_sel:DWORD dst_unused:UNUSED_PAD src0_sel:WORD_1
	s_waitcnt lgkmcnt(0)
	v_and_b32_e32 v4, 0xf0f0f0f, v15
	v_dot4_i32_i8 v4, v4, v0, 0
	v_and_b32_e32 v13, 0xf0f0f0f, v16
	v_dot4_i32_i8 v4, v13, v1, v4
	v_add_u32_e32 v13, 0x10c8, v110
	ds_read2_b32 v[17:18], v13 offset1:1
	s_waitcnt lgkmcnt(0)
	v_and_b32_e32 v13, 0xf0f0f0f, v17
	v_dot4_i32_i8 v4, v13, v2, v4
	v_and_b32_e32 v13, 0xf0f0f0f, v18
	v_dot4_i32_i8 v4, v13, v3, v4
	v_add_u32_e32 v13, 0x10d0, v110
	ds_read2_b32 v[19:20], v13 offset1:1
	;; [unrolled: 7-line block ×3, first 2 shown]
	s_waitcnt lgkmcnt(0)
	v_and_b32_e32 v13, 0xf0f0f0f, v21
	v_dot4_i32_i8 v4, v13, v57, v4
	v_and_b32_e32 v13, 0xf0f0f0f, v22
	v_dot4_i32_i8 v13, v13, v58, v4
	buffer_load_dword v4, off, s[28:31], 0 offset:24 ; 4-byte Folded Reload
	s_waitcnt vmcnt(0)
	ds_read2_b32 v[45:46], v4 offset0:1 offset1:3
	v_lshrrev_b32_e32 v4, 4, v15
	v_and_b32_e32 v4, 0xf0f0f0f, v4
	v_lshrrev_b32_e32 v15, 4, v16
	v_dot4_i32_i8 v4, v4, v119, 0
	v_and_b32_e32 v15, 0xf0f0f0f, v15
	v_dot4_i32_i8 v4, v15, v120, v4
	v_lshrrev_b32_e32 v15, 4, v17
	v_and_b32_e32 v15, 0xf0f0f0f, v15
	v_dot4_i32_i8 v4, v15, v121, v4
	v_lshrrev_b32_e32 v15, 4, v18
	;; [unrolled: 3-line block ×6, first 2 shown]
	v_and_b32_e32 v15, 0xf0f0f0f, v15
	v_dot4_i32_i8 v16, v15, v126, v4
	buffer_load_dword v4, off, s[28:31], 0 offset:40 ; 4-byte Folded Reload
	s_waitcnt lgkmcnt(0)
	v_cvt_f32_ubyte0_e32 v14, v46
	v_cvt_f32_ubyte1_e32 v15, v46
	s_waitcnt vmcnt(0)
	ds_read_b32 v114, v4 offset:256
	v_add_u32_e32 v4, 0x2140, v110
	ds_read2_b32 v[19:20], v4 offset1:1
	s_waitcnt lgkmcnt(1)
	v_cvt_f32_f16_sdwa v118, v114 dst_sel:DWORD dst_unused:UNUSED_PAD src0_sel:WORD_1
	s_waitcnt lgkmcnt(0)
	v_and_b32_e32 v4, 0xf0f0f0f, v19
	v_dot4_i32_i8 v4, v4, v0, 0
	v_and_b32_e32 v17, 0xf0f0f0f, v20
	v_dot4_i32_i8 v4, v17, v1, v4
	v_add_u32_e32 v17, 0x2148, v110
	ds_read2_b32 v[21:22], v17 offset1:1
	s_waitcnt lgkmcnt(0)
	v_and_b32_e32 v17, 0xf0f0f0f, v21
	v_dot4_i32_i8 v4, v17, v2, v4
	v_and_b32_e32 v17, 0xf0f0f0f, v22
	v_dot4_i32_i8 v4, v17, v3, v4
	v_add_u32_e32 v17, 0x2150, v110
	ds_read2_b32 v[23:24], v17 offset1:1
	;; [unrolled: 7-line block ×3, first 2 shown]
	s_waitcnt lgkmcnt(0)
	v_and_b32_e32 v17, 0xf0f0f0f, v41
	v_dot4_i32_i8 v4, v17, v57, v4
	v_and_b32_e32 v17, 0xf0f0f0f, v42
	v_dot4_i32_i8 v17, v17, v58, v4
	buffer_load_dword v4, off, s[28:31], 0 offset:28 ; 4-byte Folded Reload
	s_waitcnt vmcnt(0)
	ds_read2_b32 v[47:48], v4 offset0:1 offset1:3
	v_lshrrev_b32_e32 v4, 4, v19
	v_and_b32_e32 v4, 0xf0f0f0f, v4
	v_lshrrev_b32_e32 v19, 4, v20
	v_dot4_i32_i8 v4, v4, v119, 0
	v_and_b32_e32 v19, 0xf0f0f0f, v19
	v_dot4_i32_i8 v4, v19, v120, v4
	v_lshrrev_b32_e32 v19, 4, v21
	v_and_b32_e32 v19, 0xf0f0f0f, v19
	v_dot4_i32_i8 v4, v19, v121, v4
	v_lshrrev_b32_e32 v19, 4, v22
	;; [unrolled: 3-line block ×6, first 2 shown]
	v_and_b32_e32 v19, 0xf0f0f0f, v19
	v_dot4_i32_i8 v20, v19, v126, v4
	buffer_load_dword v4, off, s[28:31], 0 offset:44 ; 4-byte Folded Reload
	s_waitcnt lgkmcnt(0)
	v_cvt_f32_ubyte0_e32 v18, v48
	v_cvt_f32_ubyte1_e32 v19, v48
	s_waitcnt vmcnt(0)
	ds_read_b32 v115, v4 offset:384
	v_add_u32_e32 v4, 0x31c0, v110
	ds_read2_b32 v[21:22], v4 offset1:1
	s_waitcnt lgkmcnt(0)
	v_and_b32_e32 v4, 0xf0f0f0f, v21
	v_dot4_i32_i8 v0, v4, v0, 0
	v_and_b32_e32 v4, 0xf0f0f0f, v22
	v_dot4_i32_i8 v4, v4, v1, v0
	v_add_u32_e32 v0, 0x31c8, v110
	ds_read2_b32 v[0:1], v0 offset1:1
	s_waitcnt lgkmcnt(0)
	v_and_b32_e32 v23, 0xf0f0f0f, v0
	v_dot4_i32_i8 v2, v23, v2, v4
	v_and_b32_e32 v4, 0xf0f0f0f, v1
	v_dot4_i32_i8 v4, v4, v3, v2
	v_add_u32_e32 v2, 0x31d0, v110
	ds_read2_b32 v[2:3], v2 offset1:1
	v_lshrrev_b32_e32 v0, 4, v0
	v_and_b32_e32 v0, 0xf0f0f0f, v0
	v_lshrrev_b32_e32 v1, 4, v1
	v_and_b32_e32 v1, 0xf0f0f0f, v1
	s_waitcnt lgkmcnt(0)
	v_and_b32_e32 v23, 0xf0f0f0f, v2
	v_dot4_i32_i8 v4, v23, v55, v4
	v_and_b32_e32 v23, 0xf0f0f0f, v3
	v_dot4_i32_i8 v4, v23, v56, v4
	v_add_u32_e32 v23, 0x31d8, v110
	ds_read2_b32 v[23:24], v23 offset1:1
	s_waitcnt lgkmcnt(0)
	v_and_b32_e32 v41, 0xf0f0f0f, v23
	v_dot4_i32_i8 v4, v41, v57, v4
	v_and_b32_e32 v41, 0xf0f0f0f, v24
	v_dot4_i32_i8 v61, v41, v58, v4
	buffer_load_dword v4, off, s[28:31], 0 offset:32 ; 4-byte Folded Reload
	s_waitcnt vmcnt(0)
	ds_read2_b32 v[41:42], v4 offset0:1 offset1:3
	v_lshrrev_b32_e32 v4, 4, v21
	v_and_b32_e32 v4, 0xf0f0f0f, v4
	v_lshrrev_b32_e32 v21, 4, v22
	v_dot4_i32_i8 v4, v4, v119, 0
	v_and_b32_e32 v21, 0xf0f0f0f, v21
	v_dot4_i32_i8 v4, v21, v120, v4
	v_dot4_i32_i8 v0, v0, v121, v4
	;; [unrolled: 1-line block ×3, first 2 shown]
	v_lshrrev_b32_e32 v1, 4, v2
	v_and_b32_e32 v1, 0xf0f0f0f, v1
	v_dot4_i32_i8 v0, v1, v123, v0
	v_lshrrev_b32_e32 v1, 4, v3
	v_and_b32_e32 v1, 0xf0f0f0f, v1
	v_dot4_i32_i8 v0, v1, v124, v0
	;; [unrolled: 3-line block ×4, first 2 shown]
	ds_read_b128 v[1:4], v68 offset:20560
	v_bfe_u32 v21, v43, 8, 8
	v_cvt_f32_f16_sdwa v119, v115 dst_sel:DWORD dst_unused:UNUSED_PAD src0_sel:WORD_1
	s_waitcnt lgkmcnt(1)
	v_cvt_f32_ubyte0_e32 v49, v42
	v_lshrrev_b32_e32 v125, 24, v45
	s_waitcnt lgkmcnt(0)
	v_fma_mix_f32 v0, v1, v10, 0 op_sel:[1,0,0] op_sel_hi:[1,0,0]
	v_and_b32_e32 v10, 0xff, v43
	v_mul_lo_u32 v9, v9, v10
	v_mul_lo_u32 v10, v12, v21
	v_fma_mix_f32 v0, v2, v11, v0 op_sel:[1,0,0] op_sel_hi:[1,0,0]
	v_mul_f32_e32 v0, v0, v116
	v_cvt_f32_i32_e32 v9, v9
	v_cvt_f32_i32_e32 v10, v10
	v_lshrrev_b32_e32 v123, 24, v47
	v_lshrrev_b32_e32 v121, 24, v41
	v_fma_mix_f32 v9, v1, v9, 0 op_sel_hi:[1,0,0]
	v_fma_mix_f32 v9, v2, v10, v9 op_sel_hi:[1,0,0]
	v_fma_mix_f32 v0, v9, v112, -v0 op_sel_hi:[0,1,0]
	v_add_f32_e32 v126, v6, v0
	v_and_b32_e32 v6, 0xff, v45
	v_bfe_u32 v9, v45, 8, 8
	v_mul_lo_u32 v6, v13, v6
	v_mul_lo_u32 v9, v16, v9
	v_fma_mix_f32 v0, v1, v14, 0 op_sel:[1,0,0] op_sel_hi:[1,0,0]
	v_fma_mix_f32 v0, v2, v15, v0 op_sel:[1,0,0] op_sel_hi:[1,0,0]
	v_cvt_f32_i32_e32 v6, v6
	v_cvt_f32_i32_e32 v9, v9
	v_mul_f32_e32 v0, v0, v117
	v_fma_mix_f32 v6, v1, v6, 0 op_sel_hi:[1,0,0]
	v_fma_mix_f32 v6, v2, v9, v6 op_sel_hi:[1,0,0]
	v_fma_mix_f32 v0, v6, v113, -v0 op_sel_hi:[0,1,0]
	v_and_b32_e32 v6, 0xff, v47
	v_add_f32_e32 v124, v7, v0
	v_bfe_u32 v7, v47, 8, 8
	v_mul_lo_u32 v6, v17, v6
	v_mul_lo_u32 v7, v20, v7
	v_fma_mix_f32 v0, v1, v18, 0 op_sel:[1,0,0] op_sel_hi:[1,0,0]
	v_fma_mix_f32 v0, v2, v19, v0 op_sel:[1,0,0] op_sel_hi:[1,0,0]
	v_cvt_f32_i32_e32 v6, v6
	v_cvt_f32_i32_e32 v7, v7
	v_mul_f32_e32 v0, v0, v118
	v_fma_mix_f32 v6, v1, v6, 0 op_sel_hi:[1,0,0]
	v_fma_mix_f32 v6, v2, v7, v6 op_sel_hi:[1,0,0]
	v_fma_mix_f32 v0, v6, v114, -v0 op_sel_hi:[0,1,0]
	v_add_f32_e32 v122, v8, v0
	v_and_b32_e32 v0, 0xff, v41
	v_bfe_u32 v6, v41, 8, 8
	v_mul_lo_u32 v0, v61, v0
	v_mul_lo_u32 v6, v67, v6
	v_cvt_f32_ubyte2_e32 v61, v44
	v_cvt_f32_ubyte3_e32 v44, v44
	v_cvt_f32_i32_e32 v0, v0
	v_cvt_f32_i32_e32 v6, v6
	v_fma_mix_f32 v0, v1, v0, 0 op_sel_hi:[1,0,0]
	v_fma_mix_f32 v1, v1, v49, 0 op_sel:[1,0,0] op_sel_hi:[1,0,0]
	v_fma_mix_f32 v0, v2, v6, v0 op_sel_hi:[1,0,0]
	v_cvt_f32_ubyte1_e32 v6, v42
	v_fma_mix_f32 v1, v2, v6, v1 op_sel:[1,0,0] op_sel_hi:[1,0,0]
	v_mul_f32_e32 v1, v1, v119
	v_fma_mix_f32 v0, v0, v115, -v1 op_sel_hi:[0,1,0]
	v_add_f32_e32 v120, v5, v0
	ds_read_b128 v[17:20], v66 offset:64
	ds_read_b128 v[13:16], v66 offset:80
	ds_read_b128 v[9:12], v66 offset:96
	ds_read_b128 v[5:8], v66 offset:112
	ds_read2_b32 v[0:1], v110 offset0:24 offset1:25
	ds_read2_b32 v[52:53], v110 offset0:30 offset1:31
	s_waitcnt lgkmcnt(1)
	v_and_b32_e32 v2, 0xf0f0f0f, v0
	v_dot4_i32_i8 v2, v2, v17, 0
	v_and_b32_e32 v21, 0xf0f0f0f, v1
	v_dot4_i32_i8 v2, v21, v18, v2
	ds_read2_b32 v[21:22], v110 offset0:26 offset1:27
	v_lshrrev_b32_e32 v0, 4, v0
	v_and_b32_e32 v0, 0xf0f0f0f, v0
	v_lshrrev_b32_e32 v1, 4, v1
	v_dot4_i32_i8 v0, v0, v9, 0
	s_waitcnt lgkmcnt(0)
	v_and_b32_e32 v23, 0xf0f0f0f, v21
	v_dot4_i32_i8 v2, v23, v19, v2
	v_and_b32_e32 v23, 0xf0f0f0f, v22
	v_dot4_i32_i8 v2, v23, v20, v2
	ds_read2_b32 v[23:24], v110 offset0:28 offset1:29
	v_and_b32_e32 v1, 0xf0f0f0f, v1
	v_dot4_i32_i8 v0, v1, v10, v0
	v_lshrrev_b32_e32 v1, 4, v21
	v_and_b32_e32 v1, 0xf0f0f0f, v1
	v_dot4_i32_i8 v0, v1, v11, v0
	v_lshrrev_b32_e32 v1, 4, v22
	v_and_b32_e32 v1, 0xf0f0f0f, v1
	v_dot4_i32_i8 v0, v1, v12, v0
	s_waitcnt lgkmcnt(0)
	v_lshrrev_b32_e32 v1, 4, v23
	v_and_b32_e32 v1, 0xf0f0f0f, v1
	v_dot4_i32_i8 v0, v1, v5, v0
	v_lshrrev_b32_e32 v1, 4, v24
	v_and_b32_e32 v1, 0xf0f0f0f, v1
	v_dot4_i32_i8 v0, v1, v6, v0
	v_lshrrev_b32_e32 v1, 4, v52
	v_and_b32_e32 v49, 0xf0f0f0f, v23
	v_and_b32_e32 v1, 0xf0f0f0f, v1
	v_dot4_i32_i8 v2, v49, v13, v2
	v_and_b32_e32 v49, 0xf0f0f0f, v24
	v_dot4_i32_i8 v0, v1, v7, v0
	v_lshrrev_b32_e32 v1, 4, v53
	v_dot4_i32_i8 v2, v49, v14, v2
	v_and_b32_e32 v49, 0xf0f0f0f, v52
	v_and_b32_e32 v1, 0xf0f0f0f, v1
	v_dot4_i32_i8 v2, v49, v15, v2
	v_and_b32_e32 v49, 0xf0f0f0f, v53
	v_dot4_i32_i8 v67, v1, v8, v0
	v_add_u32_e32 v0, 0x10e0, v110
	v_dot4_i32_i8 v49, v49, v16, v2
	ds_read2_b32 v[1:2], v0 offset1:1
	v_cvt_f32_ubyte2_e32 v24, v46
	s_waitcnt lgkmcnt(0)
	v_and_b32_e32 v0, 0xf0f0f0f, v1
	v_dot4_i32_i8 v0, v0, v17, 0
	v_and_b32_e32 v21, 0xf0f0f0f, v2
	v_dot4_i32_i8 v0, v21, v18, v0
	v_add_u32_e32 v21, 0x10e8, v110
	ds_read2_b32 v[21:22], v21 offset1:1
	s_waitcnt lgkmcnt(0)
	v_and_b32_e32 v23, 0xf0f0f0f, v21
	v_dot4_i32_i8 v0, v23, v19, v0
	v_and_b32_e32 v23, 0xf0f0f0f, v22
	v_dot4_i32_i8 v0, v23, v20, v0
	v_add_u32_e32 v23, 0x10f0, v110
	ds_read2_b32 v[52:53], v23 offset1:1
	;; [unrolled: 7-line block ×3, first 2 shown]
	s_waitcnt lgkmcnt(0)
	v_and_b32_e32 v23, 0xf0f0f0f, v55
	v_dot4_i32_i8 v0, v23, v15, v0
	v_and_b32_e32 v23, 0xf0f0f0f, v56
	v_dot4_i32_i8 v23, v23, v16, v0
	v_lshrrev_b32_e32 v0, 4, v1
	v_and_b32_e32 v0, 0xf0f0f0f, v0
	v_lshrrev_b32_e32 v1, 4, v2
	v_dot4_i32_i8 v0, v0, v9, 0
	v_and_b32_e32 v1, 0xf0f0f0f, v1
	v_dot4_i32_i8 v0, v1, v10, v0
	v_lshrrev_b32_e32 v1, 4, v21
	v_and_b32_e32 v1, 0xf0f0f0f, v1
	v_dot4_i32_i8 v0, v1, v11, v0
	v_lshrrev_b32_e32 v1, 4, v22
	;; [unrolled: 3-line block ×6, first 2 shown]
	v_and_b32_e32 v1, 0xf0f0f0f, v1
	v_dot4_i32_i8 v2, v1, v8, v0
	v_add_u32_e32 v0, 0x2160, v110
	ds_read2_b32 v[21:22], v0 offset1:1
	v_cvt_f32_ubyte3_e32 v1, v46
	v_mul_lo_u32 v2, v2, v125
	s_waitcnt lgkmcnt(0)
	v_and_b32_e32 v0, 0xf0f0f0f, v21
	v_dot4_i32_i8 v0, v0, v17, 0
	v_and_b32_e32 v46, 0xf0f0f0f, v22
	v_dot4_i32_i8 v0, v46, v18, v0
	v_add_u32_e32 v46, 0x2168, v110
	ds_read2_b32 v[55:56], v46 offset1:1
	v_lshrrev_b32_e32 v21, 4, v21
	v_and_b32_e32 v21, 0xf0f0f0f, v21
	v_lshrrev_b32_e32 v22, 4, v22
	v_dot4_i32_i8 v21, v21, v9, 0
	s_waitcnt lgkmcnt(0)
	v_and_b32_e32 v46, 0xf0f0f0f, v55
	v_dot4_i32_i8 v0, v46, v19, v0
	v_and_b32_e32 v46, 0xf0f0f0f, v56
	v_dot4_i32_i8 v0, v46, v20, v0
	v_add_u32_e32 v46, 0x2170, v110
	ds_read2_b32 v[57:58], v46 offset1:1
	v_and_b32_e32 v22, 0xf0f0f0f, v22
	v_dot4_i32_i8 v21, v22, v10, v21
	v_lshrrev_b32_e32 v22, 4, v55
	v_and_b32_e32 v22, 0xf0f0f0f, v22
	s_waitcnt lgkmcnt(0)
	v_and_b32_e32 v46, 0xf0f0f0f, v57
	v_dot4_i32_i8 v0, v46, v13, v0
	v_and_b32_e32 v46, 0xf0f0f0f, v58
	v_dot4_i32_i8 v0, v46, v14, v0
	v_add_u32_e32 v46, 0x2178, v110
	v_dot4_i32_i8 v21, v22, v11, v21
	v_lshrrev_b32_e32 v22, 4, v56
	ds_read2_b32 v[59:60], v46 offset1:1
	v_and_b32_e32 v22, 0xf0f0f0f, v22
	v_dot4_i32_i8 v21, v22, v12, v21
	v_lshrrev_b32_e32 v22, 4, v57
	v_and_b32_e32 v22, 0xf0f0f0f, v22
	v_dot4_i32_i8 v21, v22, v5, v21
	v_lshrrev_b32_e32 v22, 4, v58
	v_and_b32_e32 v22, 0xf0f0f0f, v22
	v_dot4_i32_i8 v21, v22, v6, v21
	s_waitcnt lgkmcnt(0)
	v_lshrrev_b32_e32 v22, 4, v59
	v_and_b32_e32 v22, 0xf0f0f0f, v22
	v_dot4_i32_i8 v21, v22, v7, v21
	v_lshrrev_b32_e32 v22, 4, v60
	v_and_b32_e32 v22, 0xf0f0f0f, v22
	v_dot4_i32_i8 v53, v22, v8, v21
	v_add_u32_e32 v21, 0x31e0, v110
	ds_read2_b32 v[21:22], v21 offset1:1
	v_and_b32_e32 v46, 0xf0f0f0f, v59
	v_dot4_i32_i8 v0, v46, v15, v0
	v_and_b32_e32 v46, 0xf0f0f0f, v60
	v_dot4_i32_i8 v52, v46, v16, v0
	v_cvt_f32_ubyte2_e32 v0, v48
	v_cvt_f32_ubyte3_e32 v46, v48
	s_waitcnt lgkmcnt(0)
	v_and_b32_e32 v48, 0xf0f0f0f, v21
	v_dot4_i32_i8 v17, v48, v17, 0
	v_and_b32_e32 v48, 0xf0f0f0f, v22
	v_dot4_i32_i8 v48, v48, v18, v17
	v_add_u32_e32 v17, 0x31e8, v110
	ds_read2_b32 v[17:18], v17 offset1:1
	v_lshrrev_b32_e32 v21, 4, v21
	v_and_b32_e32 v21, 0xf0f0f0f, v21
	v_dot4_i32_i8 v9, v21, v9, 0
	v_lshrrev_b32_e32 v21, 4, v22
	s_waitcnt lgkmcnt(0)
	v_and_b32_e32 v55, 0xf0f0f0f, v17
	v_dot4_i32_i8 v19, v55, v19, v48
	v_and_b32_e32 v48, 0xf0f0f0f, v18
	v_dot4_i32_i8 v48, v48, v20, v19
	v_add_u32_e32 v19, 0x31f0, v110
	ds_read2_b32 v[19:20], v19 offset1:1
	v_and_b32_e32 v21, 0xf0f0f0f, v21
	v_dot4_i32_i8 v9, v21, v10, v9
	v_lshrrev_b32_e32 v10, 4, v17
	v_and_b32_e32 v10, 0xf0f0f0f, v10
	s_waitcnt lgkmcnt(0)
	v_and_b32_e32 v55, 0xf0f0f0f, v19
	v_dot4_i32_i8 v13, v55, v13, v48
	v_and_b32_e32 v48, 0xf0f0f0f, v20
	v_dot4_i32_i8 v48, v48, v14, v13
	v_add_u32_e32 v13, 0x31f8, v110
	v_dot4_i32_i8 v9, v10, v11, v9
	v_lshrrev_b32_e32 v10, 4, v18
	ds_read2_b32 v[13:14], v13 offset1:1
	v_and_b32_e32 v10, 0xf0f0f0f, v10
	v_dot4_i32_i8 v9, v10, v12, v9
	v_lshrrev_b32_e32 v10, 4, v19
	v_and_b32_e32 v10, 0xf0f0f0f, v10
	v_dot4_i32_i8 v5, v10, v5, v9
	v_lshrrev_b32_e32 v9, 4, v20
	v_and_b32_e32 v9, 0xf0f0f0f, v9
	v_dot4_i32_i8 v5, v9, v6, v5
	s_waitcnt lgkmcnt(0)
	v_lshrrev_b32_e32 v6, 4, v13
	v_and_b32_e32 v6, 0xf0f0f0f, v6
	v_dot4_i32_i8 v5, v6, v7, v5
	v_lshrrev_b32_e32 v6, 4, v14
	v_bfe_u32 v7, v43, 16, 8
	v_and_b32_e32 v6, 0xf0f0f0f, v6
	v_mul_lo_u32 v7, v49, v7
	v_dot4_i32_i8 v5, v6, v8, v5
	v_mul_lo_u32 v8, v67, v127
	v_fma_mix_f32 v6, v3, v61, 0 op_sel:[1,0,0] op_sel_hi:[1,0,0]
	v_cvt_f32_i32_e32 v7, v7
	v_fma_mix_f32 v6, v4, v44, v6 op_sel:[1,0,0] op_sel_hi:[1,0,0]
	v_cvt_f32_i32_e32 v8, v8
	v_cvt_f32_i32_e32 v2, v2
	v_fma_mix_f32 v7, v3, v7, 0 op_sel_hi:[1,0,0]
	v_mul_f32_e32 v6, v6, v116
	v_fma_mix_f32 v7, v4, v8, v7 op_sel_hi:[1,0,0]
	v_bfe_u32 v8, v45, 16, 8
	v_mul_lo_u32 v8, v23, v8
	v_fma_mix_f32 v6, v7, v112, -v6 op_sel_hi:[0,1,0]
	v_fma_mix_f32 v7, v3, v24, 0 op_sel:[1,0,0] op_sel_hi:[1,0,0]
	v_fma_mix_f32 v1, v4, v1, v7 op_sel:[1,0,0] op_sel_hi:[1,0,0]
	v_cvt_f32_i32_e32 v8, v8
	v_mul_f32_e32 v1, v1, v117
	v_fma_mix_f32 v0, v3, v0, 0 op_sel:[1,0,0] op_sel_hi:[1,0,0]
	v_fma_mix_f32 v0, v4, v46, v0 op_sel:[1,0,0] op_sel_hi:[1,0,0]
	v_fma_mix_f32 v8, v3, v8, 0 op_sel_hi:[1,0,0]
	v_fma_mix_f32 v2, v4, v2, v8 op_sel_hi:[1,0,0]
	v_fma_mix_f32 v1, v2, v113, -v1 op_sel_hi:[0,1,0]
	v_add_f32_e32 v7, v124, v1
	v_bfe_u32 v1, v47, 16, 8
	v_mul_lo_u32 v1, v52, v1
	v_mul_lo_u32 v2, v53, v123
	v_and_b32_e32 v55, 0xf0f0f0f, v13
	v_mul_f32_e32 v0, v0, v118
	v_cvt_f32_i32_e32 v1, v1
	v_cvt_f32_i32_e32 v2, v2
	v_dot4_i32_i8 v15, v55, v15, v48
	v_and_b32_e32 v48, 0xf0f0f0f, v14
	v_fma_mix_f32 v1, v3, v1, 0 op_sel_hi:[1,0,0]
	v_fma_mix_f32 v1, v4, v2, v1 op_sel_hi:[1,0,0]
	v_fma_mix_f32 v0, v1, v114, -v0 op_sel_hi:[0,1,0]
	v_dot4_i32_i8 v15, v48, v16, v15
	v_add_f32_e32 v8, v122, v0
	v_bfe_u32 v0, v41, 16, 8
	v_mul_lo_u32 v0, v15, v0
	v_mul_lo_u32 v1, v5, v121
	v_cvt_f32_ubyte2_e32 v16, v42
	v_fma_mix_f32 v2, v3, v16, 0 op_sel:[1,0,0] op_sel_hi:[1,0,0]
	v_cvt_f32_i32_e32 v0, v0
	v_cvt_f32_i32_e32 v1, v1
	v_add_f32_e32 v6, v126, v6
	v_fma_mix_f32 v0, v3, v0, 0 op_sel_hi:[1,0,0]
	v_fma_mix_f32 v0, v4, v1, v0 op_sel_hi:[1,0,0]
	v_cvt_f32_ubyte3_e32 v1, v42
	v_fma_mix_f32 v1, v4, v1, v2 op_sel:[1,0,0] op_sel_hi:[1,0,0]
	v_mul_f32_e32 v1, v1, v119
	v_fma_mix_f32 v0, v0, v115, -v1 op_sel_hi:[0,1,0]
	v_add_f32_e32 v5, v120, v0
	s_barrier
.LBB192_5:                              ;   in Loop: Header=BB192_6 Depth=1
	v_add_co_u32_e32 v70, vcc, 0x90, v70
	v_addc_co_u32_e32 v71, vcc, 0, v71, vcc
	v_add_co_u32_e32 v72, vcc, 0x90, v72
	v_addc_co_u32_e32 v73, vcc, 0, v73, vcc
	;; [unrolled: 2-line block ×20, first 2 shown]
	s_add_i32 s22, s22, -1
	s_addk_i32 s20, 0x100
	v_add_co_u32_e32 v108, vcc, 0x90, v108
	v_add_u32_e32 v54, 8, v54
	v_add_u32_e32 v51, 8, v51
	;; [unrolled: 1-line block ×3, first 2 shown]
	s_cmp_eq_u32 s22, 0
	v_addc_co_u32_e32 v109, vcc, 0, v109, vcc
	s_cbranch_scc1 .LBB192_17
.LBB192_6:                              ; =>This Inner Loop Header: Depth=1
	v_mov_b32_e32 v2, s12
	v_add_co_u32_e32 v0, vcc, s8, v70
	v_addc_co_u32_e32 v1, vcc, v71, v2, vcc
	global_load_dword v3, v[0:1], off
	v_add_co_u32_e32 v0, vcc, s8, v72
	v_addc_co_u32_e32 v1, vcc, v73, v2, vcc
	global_load_dword v4, v[0:1], off
	;; [unrolled: 3-line block ×21, first 2 shown]
	s_nop 0
	buffer_load_dword v1, off, s[28:31], 0  ; 4-byte Folded Reload
	buffer_load_dword v2, off, s[28:31], 0 offset:4 ; 4-byte Folded Reload
	s_add_i32 s4, s20, 0xffffff80
	s_cmp_lt_i32 s4, s9
	s_waitcnt vmcnt(1)
	ds_write_b32 v1, v3
	buffer_load_dword v1, off, s[28:31], 0 offset:8 ; 4-byte Folded Reload
	buffer_load_dword v2, off, s[28:31], 0 offset:12 ; 4-byte Folded Reload
	s_waitcnt vmcnt(0)
	v_ashrrev_i32_e32 v2, v65, v41
	v_ashrrev_i32_e32 v0, v65, v0
	ds_write_b32 v1, v4
	ds_write_b32 v25, v9
	;; [unrolled: 1-line block ×16, first 2 shown]
	v_ashrrev_i32_e32 v1, v62, v24
	v_and_b32_e32 v1, 0xf0f0f0f, v1
	v_and_or_b32 v1, v2, s21, v1
	ds_write_b32 v63, v1
	v_ashrrev_i32_e32 v1, v62, v42
	v_and_b32_e32 v1, 0xf0f0f0f, v1
	v_and_or_b32 v0, v0, s21, v1
	ds_write_b32 v64, v0
	s_cbranch_scc0 .LBB192_5
; %bb.7:                                ;   in Loop: Header=BB192_6 Depth=1
	v_cmp_gt_i32_e32 vcc, s10, v51
	s_and_b64 s[24:25], s[2:3], vcc
	s_and_saveexec_b64 s[4:5], s[24:25]
	s_cbranch_execz .LBB192_9
; %bb.8:                                ;   in Loop: Header=BB192_6 Depth=1
	buffer_load_dword v1, off, s[28:31], 0 offset:48 ; 4-byte Folded Reload
	buffer_load_dword v2, off, s[28:31], 0 offset:52 ; 4-byte Folded Reload
	v_add_u32_e32 v0, v69, v51
	s_waitcnt vmcnt(0)
	v_mad_i64_i32 v[0:1], s[24:25], v0, 36, v[1:2]
	global_load_dword v0, v[0:1], off offset:4
	s_nop 0
	buffer_load_dword v1, off, s[28:31], 0 offset:56 ; 4-byte Folded Reload
	s_waitcnt vmcnt(0)
	ds_write_b32 v1, v0
.LBB192_9:                              ;   in Loop: Header=BB192_6 Depth=1
	s_or_b64 exec, exec, s[4:5]
	v_cmp_gt_i32_e32 vcc, s10, v111
	s_and_b64 s[24:25], s[18:19], vcc
	s_and_saveexec_b64 s[4:5], s[24:25]
	s_cbranch_execz .LBB192_11
; %bb.10:                               ;   in Loop: Header=BB192_6 Depth=1
	v_add_u32_e32 v0, v69, v111
	v_mad_i64_i32 v[0:1], s[24:25], v0, 36, s[6:7]
	global_load_dword v0, v[0:1], off
	s_nop 0
	buffer_load_dword v1, off, s[28:31], 0 offset:60 ; 4-byte Folded Reload
	s_waitcnt vmcnt(0)
	v_add_u32_e32 v1, v1, v68
	ds_write_b32 v1, v0
.LBB192_11:                             ;   in Loop: Header=BB192_6 Depth=1
	s_or_b64 exec, exec, s[4:5]
	s_waitcnt lgkmcnt(0)
	s_barrier
	ds_read_b128 v[0:3], v66
	ds_read_b128 v[119:122], v66 offset:16
	ds_read_b128 v[123:126], v66 offset:32
	;; [unrolled: 1-line block ×3, first 2 shown]
	buffer_load_dword v4, off, s[28:31], 0 offset:20 ; 4-byte Folded Reload
	s_cmp_ge_i32 s20, s9
	s_waitcnt vmcnt(0)
	ds_read_b32 v112, v4
	ds_read2_b32 v[11:12], v110 offset1:1
	ds_read2_b32 v[13:14], v110 offset0:2 offset1:3
	ds_read2_b32 v[15:16], v110 offset0:4 offset1:5
	;; [unrolled: 1-line block ×3, first 2 shown]
	s_waitcnt lgkmcnt(4)
	v_cvt_f32_f16_sdwa v116, v112 dst_sel:DWORD dst_unused:UNUSED_PAD src0_sel:WORD_1
	s_waitcnt lgkmcnt(3)
	v_and_b32_e32 v4, 0xf0f0f0f, v11
	v_dot4_i32_i8 v4, v4, v0, 0
	v_and_b32_e32 v9, 0xf0f0f0f, v12
	v_dot4_i32_i8 v4, v9, v1, v4
	s_waitcnt lgkmcnt(2)
	v_and_b32_e32 v9, 0xf0f0f0f, v13
	v_dot4_i32_i8 v4, v9, v2, v4
	v_and_b32_e32 v9, 0xf0f0f0f, v14
	v_dot4_i32_i8 v4, v9, v3, v4
	;; [unrolled: 5-line block ×4, first 2 shown]
	buffer_load_dword v4, off, s[28:31], 0 offset:16 ; 4-byte Folded Reload
	s_waitcnt vmcnt(0)
	ds_read2_b32 v[43:44], v4 offset1:2
	v_lshrrev_b32_e32 v4, 4, v11
	v_and_b32_e32 v4, 0xf0f0f0f, v4
	v_lshrrev_b32_e32 v11, 4, v12
	v_dot4_i32_i8 v4, v4, v123, 0
	v_and_b32_e32 v11, 0xf0f0f0f, v11
	v_dot4_i32_i8 v4, v11, v124, v4
	v_lshrrev_b32_e32 v11, 4, v13
	v_and_b32_e32 v11, 0xf0f0f0f, v11
	v_dot4_i32_i8 v4, v11, v125, v4
	v_lshrrev_b32_e32 v11, 4, v14
	;; [unrolled: 3-line block ×6, first 2 shown]
	v_and_b32_e32 v11, 0xf0f0f0f, v11
	v_dot4_i32_i8 v12, v11, v58, v4
	buffer_load_dword v4, off, s[28:31], 0 offset:36 ; 4-byte Folded Reload
	s_waitcnt lgkmcnt(0)
	v_cvt_f32_ubyte0_e32 v10, v44
	v_cvt_f32_ubyte1_e32 v11, v44
	v_lshrrev_b32_e32 v127, 24, v43
	s_waitcnt vmcnt(0)
	ds_read_b32 v113, v4 offset:128
	v_add_u32_e32 v4, 0x1080, v110
	ds_read2_b32 v[15:16], v4 offset1:1
	s_waitcnt lgkmcnt(1)
	v_cvt_f32_f16_sdwa v117, v113 dst_sel:DWORD dst_unused:UNUSED_PAD src0_sel:WORD_1
	s_waitcnt lgkmcnt(0)
	v_and_b32_e32 v4, 0xf0f0f0f, v15
	v_dot4_i32_i8 v4, v4, v0, 0
	v_and_b32_e32 v13, 0xf0f0f0f, v16
	v_dot4_i32_i8 v4, v13, v1, v4
	v_add_u32_e32 v13, 0x1088, v110
	ds_read2_b32 v[17:18], v13 offset1:1
	s_waitcnt lgkmcnt(0)
	v_and_b32_e32 v13, 0xf0f0f0f, v17
	v_dot4_i32_i8 v4, v13, v2, v4
	v_and_b32_e32 v13, 0xf0f0f0f, v18
	v_dot4_i32_i8 v4, v13, v3, v4
	v_add_u32_e32 v13, 0x1090, v110
	ds_read2_b32 v[19:20], v13 offset1:1
	s_waitcnt lgkmcnt(0)
	v_and_b32_e32 v13, 0xf0f0f0f, v19
	v_dot4_i32_i8 v4, v13, v119, v4
	v_and_b32_e32 v13, 0xf0f0f0f, v20
	v_dot4_i32_i8 v4, v13, v120, v4
	v_add_u32_e32 v13, 0x1098, v110
	ds_read2_b32 v[23:24], v13 offset1:1
	s_waitcnt lgkmcnt(0)
	v_and_b32_e32 v13, 0xf0f0f0f, v23
	v_dot4_i32_i8 v4, v13, v121, v4
	v_and_b32_e32 v13, 0xf0f0f0f, v24
	v_dot4_i32_i8 v13, v13, v122, v4
	buffer_load_dword v4, off, s[28:31], 0 offset:24 ; 4-byte Folded Reload
	s_waitcnt vmcnt(0)
	ds_read2_b32 v[45:46], v4 offset1:2
	v_lshrrev_b32_e32 v4, 4, v15
	v_and_b32_e32 v4, 0xf0f0f0f, v4
	v_lshrrev_b32_e32 v15, 4, v16
	v_dot4_i32_i8 v4, v4, v123, 0
	v_and_b32_e32 v15, 0xf0f0f0f, v15
	v_dot4_i32_i8 v4, v15, v124, v4
	v_lshrrev_b32_e32 v15, 4, v17
	v_and_b32_e32 v15, 0xf0f0f0f, v15
	v_dot4_i32_i8 v4, v15, v125, v4
	v_lshrrev_b32_e32 v15, 4, v18
	;; [unrolled: 3-line block ×6, first 2 shown]
	v_and_b32_e32 v15, 0xf0f0f0f, v15
	v_dot4_i32_i8 v16, v15, v58, v4
	buffer_load_dword v4, off, s[28:31], 0 offset:40 ; 4-byte Folded Reload
	s_waitcnt lgkmcnt(0)
	v_cvt_f32_ubyte0_e32 v14, v46
	v_cvt_f32_ubyte1_e32 v15, v46
	s_waitcnt vmcnt(0)
	ds_read_b32 v114, v4 offset:256
	v_add_u32_e32 v4, 0x2100, v110
	ds_read2_b32 v[19:20], v4 offset1:1
	s_waitcnt lgkmcnt(1)
	v_cvt_f32_f16_sdwa v118, v114 dst_sel:DWORD dst_unused:UNUSED_PAD src0_sel:WORD_1
	s_waitcnt lgkmcnt(0)
	v_and_b32_e32 v4, 0xf0f0f0f, v19
	v_dot4_i32_i8 v4, v4, v0, 0
	v_and_b32_e32 v17, 0xf0f0f0f, v20
	v_dot4_i32_i8 v4, v17, v1, v4
	v_add_u32_e32 v17, 0x2108, v110
	ds_read2_b32 v[23:24], v17 offset1:1
	s_waitcnt lgkmcnt(0)
	v_and_b32_e32 v17, 0xf0f0f0f, v23
	v_dot4_i32_i8 v4, v17, v2, v4
	v_and_b32_e32 v17, 0xf0f0f0f, v24
	v_dot4_i32_i8 v4, v17, v3, v4
	v_add_u32_e32 v17, 0x2110, v110
	ds_read2_b32 v[41:42], v17 offset1:1
	;; [unrolled: 7-line block ×3, first 2 shown]
	s_waitcnt lgkmcnt(0)
	v_and_b32_e32 v17, 0xf0f0f0f, v52
	v_dot4_i32_i8 v4, v17, v121, v4
	v_and_b32_e32 v17, 0xf0f0f0f, v53
	v_dot4_i32_i8 v17, v17, v122, v4
	buffer_load_dword v4, off, s[28:31], 0 offset:28 ; 4-byte Folded Reload
	s_waitcnt vmcnt(0)
	ds_read2_b32 v[47:48], v4 offset1:2
	v_lshrrev_b32_e32 v4, 4, v19
	v_and_b32_e32 v4, 0xf0f0f0f, v4
	v_lshrrev_b32_e32 v19, 4, v20
	v_dot4_i32_i8 v4, v4, v123, 0
	v_and_b32_e32 v19, 0xf0f0f0f, v19
	v_dot4_i32_i8 v4, v19, v124, v4
	v_lshrrev_b32_e32 v19, 4, v23
	v_and_b32_e32 v19, 0xf0f0f0f, v19
	v_dot4_i32_i8 v4, v19, v125, v4
	v_lshrrev_b32_e32 v19, 4, v24
	;; [unrolled: 3-line block ×6, first 2 shown]
	v_and_b32_e32 v19, 0xf0f0f0f, v19
	v_dot4_i32_i8 v20, v19, v58, v4
	buffer_load_dword v4, off, s[28:31], 0 offset:44 ; 4-byte Folded Reload
	s_waitcnt lgkmcnt(0)
	v_cvt_f32_ubyte0_e32 v18, v48
	v_cvt_f32_ubyte1_e32 v19, v48
	s_waitcnt vmcnt(0)
	ds_read_b32 v115, v4 offset:384
	v_add_u32_e32 v4, 0x3180, v110
	ds_read2_b32 v[23:24], v4 offset1:1
	s_waitcnt lgkmcnt(0)
	v_and_b32_e32 v4, 0xf0f0f0f, v23
	v_dot4_i32_i8 v0, v4, v0, 0
	v_and_b32_e32 v4, 0xf0f0f0f, v24
	v_dot4_i32_i8 v4, v4, v1, v0
	v_add_u32_e32 v0, 0x3188, v110
	ds_read2_b32 v[0:1], v0 offset1:1
	s_waitcnt lgkmcnt(0)
	v_and_b32_e32 v21, 0xf0f0f0f, v0
	v_dot4_i32_i8 v2, v21, v2, v4
	v_and_b32_e32 v4, 0xf0f0f0f, v1
	v_dot4_i32_i8 v4, v4, v3, v2
	v_add_u32_e32 v2, 0x3190, v110
	ds_read2_b32 v[2:3], v2 offset1:1
	v_lshrrev_b32_e32 v0, 4, v0
	v_and_b32_e32 v0, 0xf0f0f0f, v0
	v_lshrrev_b32_e32 v1, 4, v1
	v_and_b32_e32 v1, 0xf0f0f0f, v1
	s_waitcnt lgkmcnt(0)
	v_and_b32_e32 v21, 0xf0f0f0f, v2
	v_dot4_i32_i8 v4, v21, v119, v4
	v_and_b32_e32 v21, 0xf0f0f0f, v3
	v_dot4_i32_i8 v4, v21, v120, v4
	v_add_u32_e32 v21, 0x3198, v110
	ds_read2_b32 v[52:53], v21 offset1:1
	v_cvt_f32_f16_sdwa v119, v115 dst_sel:DWORD dst_unused:UNUSED_PAD src0_sel:WORD_1
	s_waitcnt lgkmcnt(0)
	v_and_b32_e32 v21, 0xf0f0f0f, v52
	v_dot4_i32_i8 v4, v21, v121, v4
	v_and_b32_e32 v21, 0xf0f0f0f, v53
	v_dot4_i32_i8 v61, v21, v122, v4
	buffer_load_dword v4, off, s[28:31], 0 offset:32 ; 4-byte Folded Reload
	v_lshrrev_b32_e32 v21, 4, v24
	v_and_b32_e32 v21, 0xf0f0f0f, v21
	s_waitcnt vmcnt(0)
	ds_read2_b32 v[41:42], v4 offset1:2
	v_lshrrev_b32_e32 v4, 4, v23
	v_and_b32_e32 v4, 0xf0f0f0f, v4
	v_dot4_i32_i8 v4, v4, v123, 0
	v_dot4_i32_i8 v4, v21, v124, v4
	;; [unrolled: 1-line block ×4, first 2 shown]
	v_lshrrev_b32_e32 v1, 4, v2
	v_and_b32_e32 v1, 0xf0f0f0f, v1
	v_dot4_i32_i8 v0, v1, v55, v0
	v_lshrrev_b32_e32 v1, 4, v3
	v_and_b32_e32 v1, 0xf0f0f0f, v1
	v_dot4_i32_i8 v0, v1, v56, v0
	v_lshrrev_b32_e32 v1, 4, v52
	v_and_b32_e32 v1, 0xf0f0f0f, v1
	v_dot4_i32_i8 v0, v1, v57, v0
	v_lshrrev_b32_e32 v1, 4, v53
	v_and_b32_e32 v1, 0xf0f0f0f, v1
	v_dot4_i32_i8 v67, v1, v58, v0
	ds_read_b128 v[1:4], v68 offset:20560
	v_bfe_u32 v21, v43, 8, 8
	s_waitcnt lgkmcnt(1)
	v_cvt_f32_ubyte0_e32 v49, v42
	v_lshrrev_b32_e32 v125, 24, v45
	v_lshrrev_b32_e32 v123, 24, v47
	s_waitcnt lgkmcnt(0)
	v_fma_mix_f32 v0, v1, v10, 0 op_sel:[1,0,0] op_sel_hi:[1,0,0]
	v_and_b32_e32 v10, 0xff, v43
	v_mul_lo_u32 v9, v9, v10
	v_mul_lo_u32 v10, v12, v21
	v_fma_mix_f32 v0, v2, v11, v0 op_sel:[1,0,0] op_sel_hi:[1,0,0]
	v_mul_f32_e32 v0, v0, v116
	v_cvt_f32_i32_e32 v9, v9
	v_cvt_f32_i32_e32 v10, v10
	v_lshrrev_b32_e32 v121, 24, v41
	v_fma_mix_f32 v9, v1, v9, 0 op_sel_hi:[1,0,0]
	v_fma_mix_f32 v9, v2, v10, v9 op_sel_hi:[1,0,0]
	v_fma_mix_f32 v0, v9, v112, -v0 op_sel_hi:[0,1,0]
	v_add_f32_e32 v126, v6, v0
	v_and_b32_e32 v6, 0xff, v45
	v_bfe_u32 v9, v45, 8, 8
	v_mul_lo_u32 v6, v13, v6
	v_mul_lo_u32 v9, v16, v9
	v_fma_mix_f32 v0, v1, v14, 0 op_sel:[1,0,0] op_sel_hi:[1,0,0]
	v_fma_mix_f32 v0, v2, v15, v0 op_sel:[1,0,0] op_sel_hi:[1,0,0]
	v_cvt_f32_i32_e32 v6, v6
	v_cvt_f32_i32_e32 v9, v9
	v_mul_f32_e32 v0, v0, v117
	v_fma_mix_f32 v6, v1, v6, 0 op_sel_hi:[1,0,0]
	v_fma_mix_f32 v6, v2, v9, v6 op_sel_hi:[1,0,0]
	v_fma_mix_f32 v0, v6, v113, -v0 op_sel_hi:[0,1,0]
	v_and_b32_e32 v6, 0xff, v47
	v_add_f32_e32 v124, v7, v0
	v_bfe_u32 v7, v47, 8, 8
	v_mul_lo_u32 v6, v17, v6
	v_mul_lo_u32 v7, v20, v7
	v_fma_mix_f32 v0, v1, v18, 0 op_sel:[1,0,0] op_sel_hi:[1,0,0]
	v_fma_mix_f32 v0, v2, v19, v0 op_sel:[1,0,0] op_sel_hi:[1,0,0]
	v_cvt_f32_i32_e32 v6, v6
	v_cvt_f32_i32_e32 v7, v7
	v_mul_f32_e32 v0, v0, v118
	v_fma_mix_f32 v6, v1, v6, 0 op_sel_hi:[1,0,0]
	v_fma_mix_f32 v6, v2, v7, v6 op_sel_hi:[1,0,0]
	v_fma_mix_f32 v0, v6, v114, -v0 op_sel_hi:[0,1,0]
	v_add_f32_e32 v122, v8, v0
	v_and_b32_e32 v0, 0xff, v41
	v_bfe_u32 v6, v41, 8, 8
	v_mul_lo_u32 v0, v61, v0
	v_mul_lo_u32 v6, v67, v6
	v_cvt_f32_ubyte2_e32 v61, v44
	v_cvt_f32_ubyte3_e32 v44, v44
	v_cvt_f32_i32_e32 v0, v0
	v_cvt_f32_i32_e32 v6, v6
	v_fma_mix_f32 v0, v1, v0, 0 op_sel_hi:[1,0,0]
	v_fma_mix_f32 v1, v1, v49, 0 op_sel:[1,0,0] op_sel_hi:[1,0,0]
	v_fma_mix_f32 v0, v2, v6, v0 op_sel_hi:[1,0,0]
	v_cvt_f32_ubyte1_e32 v6, v42
	v_fma_mix_f32 v1, v2, v6, v1 op_sel:[1,0,0] op_sel_hi:[1,0,0]
	v_mul_f32_e32 v1, v1, v119
	v_fma_mix_f32 v0, v0, v115, -v1 op_sel_hi:[0,1,0]
	v_add_f32_e32 v120, v5, v0
	ds_read_b128 v[17:20], v66 offset:64
	ds_read_b128 v[13:16], v66 offset:80
	;; [unrolled: 1-line block ×4, first 2 shown]
	ds_read2_b32 v[0:1], v110 offset0:8 offset1:9
	ds_read2_b32 v[23:24], v110 offset0:10 offset1:11
	;; [unrolled: 1-line block ×4, first 2 shown]
	s_waitcnt lgkmcnt(3)
	v_and_b32_e32 v2, 0xf0f0f0f, v0
	v_lshrrev_b32_e32 v0, 4, v0
	v_and_b32_e32 v21, 0xf0f0f0f, v1
	v_and_b32_e32 v0, 0xf0f0f0f, v0
	v_lshrrev_b32_e32 v1, 4, v1
	v_dot4_i32_i8 v0, v0, v9, 0
	v_and_b32_e32 v1, 0xf0f0f0f, v1
	v_dot4_i32_i8 v0, v1, v10, v0
	s_waitcnt lgkmcnt(2)
	v_lshrrev_b32_e32 v1, 4, v23
	v_and_b32_e32 v1, 0xf0f0f0f, v1
	v_dot4_i32_i8 v0, v1, v11, v0
	v_lshrrev_b32_e32 v1, 4, v24
	v_and_b32_e32 v1, 0xf0f0f0f, v1
	v_dot4_i32_i8 v0, v1, v12, v0
	s_waitcnt lgkmcnt(1)
	v_lshrrev_b32_e32 v1, 4, v52
	v_and_b32_e32 v1, 0xf0f0f0f, v1
	v_dot4_i32_i8 v2, v2, v17, 0
	v_dot4_i32_i8 v0, v1, v5, v0
	v_lshrrev_b32_e32 v1, 4, v53
	v_dot4_i32_i8 v2, v21, v18, v2
	v_and_b32_e32 v21, 0xf0f0f0f, v23
	v_and_b32_e32 v1, 0xf0f0f0f, v1
	v_dot4_i32_i8 v2, v21, v19, v2
	v_and_b32_e32 v21, 0xf0f0f0f, v24
	v_dot4_i32_i8 v0, v1, v6, v0
	s_waitcnt lgkmcnt(0)
	v_lshrrev_b32_e32 v1, 4, v55
	v_dot4_i32_i8 v2, v21, v20, v2
	v_and_b32_e32 v21, 0xf0f0f0f, v52
	v_and_b32_e32 v1, 0xf0f0f0f, v1
	v_dot4_i32_i8 v2, v21, v13, v2
	v_and_b32_e32 v21, 0xf0f0f0f, v53
	v_dot4_i32_i8 v0, v1, v7, v0
	v_lshrrev_b32_e32 v1, 4, v56
	v_dot4_i32_i8 v2, v21, v14, v2
	v_and_b32_e32 v21, 0xf0f0f0f, v55
	v_and_b32_e32 v1, 0xf0f0f0f, v1
	v_dot4_i32_i8 v2, v21, v15, v2
	v_and_b32_e32 v21, 0xf0f0f0f, v56
	v_dot4_i32_i8 v67, v1, v8, v0
	v_add_u32_e32 v0, 0x10a0, v110
	v_dot4_i32_i8 v49, v21, v16, v2
	ds_read2_b32 v[1:2], v0 offset1:1
	v_cvt_f32_ubyte2_e32 v24, v46
	s_waitcnt lgkmcnt(0)
	v_and_b32_e32 v0, 0xf0f0f0f, v1
	v_dot4_i32_i8 v0, v0, v17, 0
	v_and_b32_e32 v21, 0xf0f0f0f, v2
	v_dot4_i32_i8 v0, v21, v18, v0
	v_add_u32_e32 v21, 0x10a8, v110
	ds_read2_b32 v[52:53], v21 offset1:1
	s_waitcnt lgkmcnt(0)
	v_and_b32_e32 v21, 0xf0f0f0f, v52
	v_dot4_i32_i8 v0, v21, v19, v0
	v_and_b32_e32 v21, 0xf0f0f0f, v53
	v_dot4_i32_i8 v0, v21, v20, v0
	v_add_u32_e32 v21, 0x10b0, v110
	ds_read2_b32 v[55:56], v21 offset1:1
	;; [unrolled: 7-line block ×3, first 2 shown]
	s_waitcnt lgkmcnt(0)
	v_and_b32_e32 v21, 0xf0f0f0f, v57
	v_dot4_i32_i8 v0, v21, v15, v0
	v_and_b32_e32 v21, 0xf0f0f0f, v58
	v_dot4_i32_i8 v23, v21, v16, v0
	v_lshrrev_b32_e32 v0, 4, v1
	v_and_b32_e32 v0, 0xf0f0f0f, v0
	v_lshrrev_b32_e32 v1, 4, v2
	v_dot4_i32_i8 v0, v0, v9, 0
	v_and_b32_e32 v1, 0xf0f0f0f, v1
	v_dot4_i32_i8 v0, v1, v10, v0
	v_lshrrev_b32_e32 v1, 4, v52
	v_and_b32_e32 v1, 0xf0f0f0f, v1
	v_dot4_i32_i8 v0, v1, v11, v0
	v_lshrrev_b32_e32 v1, 4, v53
	;; [unrolled: 3-line block ×6, first 2 shown]
	v_and_b32_e32 v1, 0xf0f0f0f, v1
	v_dot4_i32_i8 v2, v1, v8, v0
	v_add_u32_e32 v0, 0x2120, v110
	ds_read2_b32 v[55:56], v0 offset1:1
	v_cvt_f32_ubyte3_e32 v1, v46
	v_mul_lo_u32 v2, v2, v125
	s_waitcnt lgkmcnt(0)
	v_and_b32_e32 v0, 0xf0f0f0f, v55
	v_dot4_i32_i8 v0, v0, v17, 0
	v_and_b32_e32 v21, 0xf0f0f0f, v56
	v_dot4_i32_i8 v0, v21, v18, v0
	v_add_u32_e32 v21, 0x2128, v110
	ds_read2_b32 v[57:58], v21 offset1:1
	v_lshrrev_b32_e32 v53, 4, v56
	v_and_b32_e32 v53, 0xf0f0f0f, v53
	v_cvt_f32_i32_e32 v2, v2
	s_waitcnt lgkmcnt(0)
	v_and_b32_e32 v21, 0xf0f0f0f, v57
	v_dot4_i32_i8 v0, v21, v19, v0
	v_and_b32_e32 v21, 0xf0f0f0f, v58
	v_dot4_i32_i8 v0, v21, v20, v0
	v_add_u32_e32 v21, 0x2130, v110
	ds_read2_b32 v[59:60], v21 offset1:1
	s_waitcnt lgkmcnt(0)
	v_and_b32_e32 v21, 0xf0f0f0f, v59
	v_dot4_i32_i8 v0, v21, v13, v0
	v_and_b32_e32 v21, 0xf0f0f0f, v60
	v_dot4_i32_i8 v0, v21, v14, v0
	v_add_u32_e32 v21, 0x2138, v110
	ds_read2_b32 v[21:22], v21 offset1:1
	s_waitcnt lgkmcnt(0)
	v_and_b32_e32 v46, 0xf0f0f0f, v21
	v_dot4_i32_i8 v0, v46, v15, v0
	v_and_b32_e32 v46, 0xf0f0f0f, v22
	v_dot4_i32_i8 v52, v46, v16, v0
	v_lshrrev_b32_e32 v46, 4, v55
	v_and_b32_e32 v46, 0xf0f0f0f, v46
	v_dot4_i32_i8 v46, v46, v9, 0
	v_dot4_i32_i8 v46, v53, v10, v46
	v_lshrrev_b32_e32 v53, 4, v57
	v_and_b32_e32 v53, 0xf0f0f0f, v53
	v_dot4_i32_i8 v46, v53, v11, v46
	v_lshrrev_b32_e32 v53, 4, v58
	v_and_b32_e32 v53, 0xf0f0f0f, v53
	;; [unrolled: 3-line block ×4, first 2 shown]
	v_lshrrev_b32_e32 v21, 4, v21
	v_dot4_i32_i8 v46, v53, v6, v46
	v_and_b32_e32 v21, 0xf0f0f0f, v21
	v_lshrrev_b32_e32 v22, 4, v22
	v_dot4_i32_i8 v21, v21, v7, v46
	v_and_b32_e32 v22, 0xf0f0f0f, v22
	v_dot4_i32_i8 v53, v22, v8, v21
	v_add_u32_e32 v21, 0x31a0, v110
	ds_read2_b32 v[21:22], v21 offset1:1
	v_cvt_f32_ubyte2_e32 v0, v48
	v_cvt_f32_ubyte3_e32 v46, v48
	v_fma_mix_f32 v0, v3, v0, 0 op_sel:[1,0,0] op_sel_hi:[1,0,0]
	v_fma_mix_f32 v0, v4, v46, v0 op_sel:[1,0,0] op_sel_hi:[1,0,0]
	s_waitcnt lgkmcnt(0)
	v_and_b32_e32 v48, 0xf0f0f0f, v21
	v_dot4_i32_i8 v17, v48, v17, 0
	v_and_b32_e32 v48, 0xf0f0f0f, v22
	v_dot4_i32_i8 v48, v48, v18, v17
	v_add_u32_e32 v17, 0x31a8, v110
	ds_read2_b32 v[17:18], v17 offset1:1
	v_lshrrev_b32_e32 v21, 4, v21
	v_and_b32_e32 v21, 0xf0f0f0f, v21
	v_dot4_i32_i8 v9, v21, v9, 0
	v_lshrrev_b32_e32 v21, 4, v22
	s_waitcnt lgkmcnt(0)
	v_and_b32_e32 v55, 0xf0f0f0f, v17
	v_dot4_i32_i8 v19, v55, v19, v48
	v_and_b32_e32 v48, 0xf0f0f0f, v18
	v_dot4_i32_i8 v48, v48, v20, v19
	v_add_u32_e32 v19, 0x31b0, v110
	ds_read2_b32 v[19:20], v19 offset1:1
	v_and_b32_e32 v21, 0xf0f0f0f, v21
	v_dot4_i32_i8 v9, v21, v10, v9
	v_lshrrev_b32_e32 v10, 4, v17
	v_and_b32_e32 v10, 0xf0f0f0f, v10
	s_waitcnt lgkmcnt(0)
	v_and_b32_e32 v55, 0xf0f0f0f, v19
	v_dot4_i32_i8 v13, v55, v13, v48
	v_and_b32_e32 v48, 0xf0f0f0f, v20
	v_dot4_i32_i8 v48, v48, v14, v13
	v_add_u32_e32 v13, 0x31b8, v110
	v_dot4_i32_i8 v9, v10, v11, v9
	v_lshrrev_b32_e32 v10, 4, v18
	ds_read2_b32 v[13:14], v13 offset1:1
	v_and_b32_e32 v10, 0xf0f0f0f, v10
	v_dot4_i32_i8 v9, v10, v12, v9
	v_lshrrev_b32_e32 v10, 4, v19
	v_and_b32_e32 v10, 0xf0f0f0f, v10
	v_dot4_i32_i8 v5, v10, v5, v9
	v_lshrrev_b32_e32 v9, 4, v20
	v_and_b32_e32 v9, 0xf0f0f0f, v9
	v_dot4_i32_i8 v5, v9, v6, v5
	s_waitcnt lgkmcnt(0)
	v_lshrrev_b32_e32 v6, 4, v13
	v_and_b32_e32 v6, 0xf0f0f0f, v6
	v_dot4_i32_i8 v5, v6, v7, v5
	v_lshrrev_b32_e32 v6, 4, v14
	v_bfe_u32 v7, v43, 16, 8
	v_and_b32_e32 v6, 0xf0f0f0f, v6
	v_mul_lo_u32 v7, v49, v7
	v_dot4_i32_i8 v5, v6, v8, v5
	v_mul_lo_u32 v8, v67, v127
	v_fma_mix_f32 v6, v3, v61, 0 op_sel:[1,0,0] op_sel_hi:[1,0,0]
	v_cvt_f32_i32_e32 v7, v7
	v_fma_mix_f32 v6, v4, v44, v6 op_sel:[1,0,0] op_sel_hi:[1,0,0]
	v_cvt_f32_i32_e32 v8, v8
	v_mul_f32_e32 v6, v6, v116
	v_fma_mix_f32 v7, v3, v7, 0 op_sel_hi:[1,0,0]
	v_and_b32_e32 v55, 0xf0f0f0f, v13
	v_fma_mix_f32 v7, v4, v8, v7 op_sel_hi:[1,0,0]
	v_bfe_u32 v8, v45, 16, 8
	v_mul_lo_u32 v8, v23, v8
	v_fma_mix_f32 v6, v7, v112, -v6 op_sel_hi:[0,1,0]
	v_fma_mix_f32 v7, v3, v24, 0 op_sel:[1,0,0] op_sel_hi:[1,0,0]
	v_fma_mix_f32 v1, v4, v1, v7 op_sel:[1,0,0] op_sel_hi:[1,0,0]
	v_cvt_f32_i32_e32 v8, v8
	v_mul_f32_e32 v1, v1, v117
	v_mul_f32_e32 v0, v0, v118
	v_dot4_i32_i8 v15, v55, v15, v48
	v_fma_mix_f32 v8, v3, v8, 0 op_sel_hi:[1,0,0]
	v_fma_mix_f32 v2, v4, v2, v8 op_sel_hi:[1,0,0]
	v_fma_mix_f32 v1, v2, v113, -v1 op_sel_hi:[0,1,0]
	v_add_f32_e32 v7, v124, v1
	v_bfe_u32 v1, v47, 16, 8
	v_mul_lo_u32 v1, v52, v1
	v_mul_lo_u32 v2, v53, v123
	v_and_b32_e32 v48, 0xf0f0f0f, v14
	v_dot4_i32_i8 v15, v48, v16, v15
	v_cvt_f32_i32_e32 v1, v1
	v_cvt_f32_i32_e32 v2, v2
	v_cvt_f32_ubyte2_e32 v16, v42
	v_add_f32_e32 v6, v126, v6
	v_fma_mix_f32 v1, v3, v1, 0 op_sel_hi:[1,0,0]
	v_fma_mix_f32 v1, v4, v2, v1 op_sel_hi:[1,0,0]
	v_fma_mix_f32 v0, v1, v114, -v0 op_sel_hi:[0,1,0]
	v_add_f32_e32 v8, v122, v0
	v_bfe_u32 v0, v41, 16, 8
	v_mul_lo_u32 v0, v15, v0
	v_mul_lo_u32 v1, v5, v121
	v_fma_mix_f32 v2, v3, v16, 0 op_sel:[1,0,0] op_sel_hi:[1,0,0]
	v_cvt_f32_i32_e32 v0, v0
	v_cvt_f32_i32_e32 v1, v1
	s_barrier
	v_fma_mix_f32 v0, v3, v0, 0 op_sel_hi:[1,0,0]
	v_fma_mix_f32 v0, v4, v1, v0 op_sel_hi:[1,0,0]
	v_cvt_f32_ubyte3_e32 v1, v42
	v_fma_mix_f32 v1, v4, v1, v2 op_sel:[1,0,0] op_sel_hi:[1,0,0]
	v_mul_f32_e32 v1, v1, v119
	v_fma_mix_f32 v0, v0, v115, -v1 op_sel_hi:[0,1,0]
	v_add_f32_e32 v5, v120, v0
	s_cbranch_scc1 .LBB192_5
; %bb.12:                               ;   in Loop: Header=BB192_6 Depth=1
	v_cmp_gt_i32_e32 vcc, s10, v54
	s_and_b64 s[24:25], s[2:3], vcc
	s_and_saveexec_b64 s[4:5], s[24:25]
	s_cbranch_execz .LBB192_14
; %bb.13:                               ;   in Loop: Header=BB192_6 Depth=1
	buffer_load_dword v1, off, s[28:31], 0 offset:48 ; 4-byte Folded Reload
	buffer_load_dword v2, off, s[28:31], 0 offset:52 ; 4-byte Folded Reload
	v_add_u32_e32 v0, v69, v54
	s_waitcnt vmcnt(0)
	v_mad_i64_i32 v[0:1], s[24:25], v0, 36, v[1:2]
	global_load_dword v0, v[0:1], off offset:4
	s_nop 0
	buffer_load_dword v1, off, s[28:31], 0 offset:56 ; 4-byte Folded Reload
	s_waitcnt vmcnt(0)
	ds_write_b32 v1, v0
.LBB192_14:                             ;   in Loop: Header=BB192_6 Depth=1
	s_or_b64 exec, exec, s[4:5]
	s_and_saveexec_b64 s[4:5], s[0:1]
	s_cbranch_execz .LBB192_4
; %bb.15:                               ;   in Loop: Header=BB192_6 Depth=1
	v_add_u32_e32 v0, 4, v111
	v_cmp_gt_i32_e32 vcc, s10, v0
	s_and_b64 s[24:25], s[2:3], vcc
	s_and_b64 exec, exec, s[24:25]
	s_cbranch_execz .LBB192_4
; %bb.16:                               ;   in Loop: Header=BB192_6 Depth=1
	v_ashrrev_i32_e32 v0, 31, v111
	v_ashrrev_i32_e32 v1, 31, v69
	v_add_co_u32_e32 v2, vcc, v69, v111
	v_addc_co_u32_e32 v3, vcc, v1, v0, vcc
	v_mad_u64_u32 v[0:1], s[24:25], v2, 36, s[6:7]
	v_mad_i32_i24 v1, v3, 36, v1
	global_load_dword v0, v[0:1], off offset:144
	s_nop 0
	buffer_load_dword v1, off, s[28:31], 0 offset:60 ; 4-byte Folded Reload
	s_waitcnt vmcnt(0)
	v_add_u32_e32 v1, v1, v68
	ds_write_b32 v1, v0
	s_branch .LBB192_4
.LBB192_17:
	buffer_load_dword v111, off, s[28:31], 0 offset:64 ; 4-byte Folded Reload
	buffer_load_dword v45, off, s[28:31], 0 offset:68 ; 4-byte Folded Reload
.LBB192_18:
	s_mul_i32 s0, s14, s11
	s_waitcnt vmcnt(0)
	v_cmp_gt_i32_e32 vcc, s0, v45
	s_and_saveexec_b64 s[0:1], vcc
	s_cbranch_execz .LBB192_27
; %bb.19:
	v_mul_lo_u32 v0, v45, s13
	v_add_u32_e32 v1, s15, v111
	v_cmp_gt_u32_e32 vcc, s13, v1
	s_and_saveexec_b64 s[0:1], vcc
	s_cbranch_execz .LBB192_21
; %bb.20:
	v_add_u32_e32 v2, v0, v1
	v_mov_b32_e32 v3, 0
	v_lshlrev_b64 v[2:3], 2, v[2:3]
	v_mov_b32_e32 v4, s17
	v_add_co_u32_e32 v2, vcc, s16, v2
	v_addc_co_u32_e32 v3, vcc, v4, v3, vcc
	global_store_dword v[2:3], v6, off
.LBB192_21:
	s_or_b64 exec, exec, s[0:1]
	v_add_u32_e32 v2, 32, v1
	v_cmp_gt_u32_e32 vcc, s13, v2
	s_and_saveexec_b64 s[0:1], vcc
	s_cbranch_execz .LBB192_23
; %bb.22:
	v_add_u32_e32 v2, v0, v2
	v_mov_b32_e32 v3, 0
	v_lshlrev_b64 v[2:3], 2, v[2:3]
	v_mov_b32_e32 v4, s17
	v_add_co_u32_e32 v2, vcc, s16, v2
	v_addc_co_u32_e32 v3, vcc, v4, v3, vcc
	global_store_dword v[2:3], v7, off
.LBB192_23:
	s_or_b64 exec, exec, s[0:1]
	;; [unrolled: 14-line block ×3, first 2 shown]
	v_add_u32_e32 v1, 0x60, v1
	v_cmp_gt_u32_e32 vcc, s13, v1
	s_and_b64 exec, exec, vcc
	s_cbranch_execz .LBB192_27
; %bb.26:
	v_add_u32_e32 v0, v0, v1
	v_mov_b32_e32 v1, 0
	v_lshlrev_b64 v[0:1], 2, v[0:1]
	v_mov_b32_e32 v2, s17
	v_add_co_u32_e32 v0, vcc, s16, v0
	v_addc_co_u32_e32 v1, vcc, v2, v1, vcc
	global_store_dword v[0:1], v5, off
.LBB192_27:
	s_endpgm
	.section	.rodata,"a",@progbits
	.p2align	6, 0x0
	.amdhsa_kernel _ZL8moe_q4_KIfLb1EEvPKvS1_PT_PKiS5_S5_iiiiiii
		.amdhsa_group_segment_fixed_size 20688
		.amdhsa_private_segment_fixed_size 76
		.amdhsa_kernarg_size 76
		.amdhsa_user_sgpr_count 6
		.amdhsa_user_sgpr_private_segment_buffer 1
		.amdhsa_user_sgpr_dispatch_ptr 0
		.amdhsa_user_sgpr_queue_ptr 0
		.amdhsa_user_sgpr_kernarg_segment_ptr 1
		.amdhsa_user_sgpr_dispatch_id 0
		.amdhsa_user_sgpr_flat_scratch_init 0
		.amdhsa_user_sgpr_private_segment_size 0
		.amdhsa_uses_dynamic_stack 0
		.amdhsa_system_sgpr_private_segment_wavefront_offset 1
		.amdhsa_system_sgpr_workgroup_id_x 1
		.amdhsa_system_sgpr_workgroup_id_y 1
		.amdhsa_system_sgpr_workgroup_id_z 0
		.amdhsa_system_sgpr_workgroup_info 0
		.amdhsa_system_vgpr_workitem_id 1
		.amdhsa_next_free_vgpr 128
		.amdhsa_next_free_sgpr 98
		.amdhsa_reserve_vcc 1
		.amdhsa_reserve_flat_scratch 0
		.amdhsa_float_round_mode_32 0
		.amdhsa_float_round_mode_16_64 0
		.amdhsa_float_denorm_mode_32 3
		.amdhsa_float_denorm_mode_16_64 3
		.amdhsa_dx10_clamp 1
		.amdhsa_ieee_mode 1
		.amdhsa_fp16_overflow 0
		.amdhsa_exception_fp_ieee_invalid_op 0
		.amdhsa_exception_fp_denorm_src 0
		.amdhsa_exception_fp_ieee_div_zero 0
		.amdhsa_exception_fp_ieee_overflow 0
		.amdhsa_exception_fp_ieee_underflow 0
		.amdhsa_exception_fp_ieee_inexact 0
		.amdhsa_exception_int_div_zero 0
	.end_amdhsa_kernel
	.section	.text._ZL8moe_q4_KIfLb1EEvPKvS1_PT_PKiS5_S5_iiiiiii,"axG",@progbits,_ZL8moe_q4_KIfLb1EEvPKvS1_PT_PKiS5_S5_iiiiiii,comdat
.Lfunc_end192:
	.size	_ZL8moe_q4_KIfLb1EEvPKvS1_PT_PKiS5_S5_iiiiiii, .Lfunc_end192-_ZL8moe_q4_KIfLb1EEvPKvS1_PT_PKiS5_S5_iiiiiii
                                        ; -- End function
	.set _ZL8moe_q4_KIfLb1EEvPKvS1_PT_PKiS5_S5_iiiiiii.num_vgpr, 128
	.set _ZL8moe_q4_KIfLb1EEvPKvS1_PT_PKiS5_S5_iiiiiii.num_agpr, 0
	.set _ZL8moe_q4_KIfLb1EEvPKvS1_PT_PKiS5_S5_iiiiiii.numbered_sgpr, 32
	.set _ZL8moe_q4_KIfLb1EEvPKvS1_PT_PKiS5_S5_iiiiiii.num_named_barrier, 0
	.set _ZL8moe_q4_KIfLb1EEvPKvS1_PT_PKiS5_S5_iiiiiii.private_seg_size, 76
	.set _ZL8moe_q4_KIfLb1EEvPKvS1_PT_PKiS5_S5_iiiiiii.uses_vcc, 1
	.set _ZL8moe_q4_KIfLb1EEvPKvS1_PT_PKiS5_S5_iiiiiii.uses_flat_scratch, 0
	.set _ZL8moe_q4_KIfLb1EEvPKvS1_PT_PKiS5_S5_iiiiiii.has_dyn_sized_stack, 0
	.set _ZL8moe_q4_KIfLb1EEvPKvS1_PT_PKiS5_S5_iiiiiii.has_recursion, 0
	.set _ZL8moe_q4_KIfLb1EEvPKvS1_PT_PKiS5_S5_iiiiiii.has_indirect_call, 0
	.section	.AMDGPU.csdata,"",@progbits
; Kernel info:
; codeLenInByte = 11624
; TotalNumSgprs: 36
; NumVgprs: 128
; ScratchSize: 76
; MemoryBound: 0
; FloatMode: 240
; IeeeMode: 1
; LDSByteSize: 20688 bytes/workgroup (compile time only)
; SGPRBlocks: 12
; VGPRBlocks: 31
; NumSGPRsForWavesPerEU: 102
; NumVGPRsForWavesPerEU: 128
; Occupancy: 2
; WaveLimiterHint : 1
; COMPUTE_PGM_RSRC2:SCRATCH_EN: 1
; COMPUTE_PGM_RSRC2:USER_SGPR: 6
; COMPUTE_PGM_RSRC2:TRAP_HANDLER: 0
; COMPUTE_PGM_RSRC2:TGID_X_EN: 1
; COMPUTE_PGM_RSRC2:TGID_Y_EN: 1
; COMPUTE_PGM_RSRC2:TGID_Z_EN: 0
; COMPUTE_PGM_RSRC2:TIDIG_COMP_CNT: 1
	.section	.text._ZL8moe_q5_KIfLb0EEvPKvS1_PT_PKiS5_S5_iiiiiii,"axG",@progbits,_ZL8moe_q5_KIfLb0EEvPKvS1_PT_PKiS5_S5_iiiiiii,comdat
	.globl	_ZL8moe_q5_KIfLb0EEvPKvS1_PT_PKiS5_S5_iiiiiii ; -- Begin function _ZL8moe_q5_KIfLb0EEvPKvS1_PT_PKiS5_S5_iiiiiii
	.p2align	8
	.type	_ZL8moe_q5_KIfLb0EEvPKvS1_PT_PKiS5_S5_iiiiiii,@function
_ZL8moe_q5_KIfLb0EEvPKvS1_PT_PKiS5_S5_iiiiiii: ; @_ZL8moe_q5_KIfLb0EEvPKvS1_PT_PKiS5_S5_iiiiiii
; %bb.0:
	s_load_dwordx4 s[0:3], s[4:5], 0x18
	s_mov_b32 s8, s7
	s_mov_b32 s9, 0
	s_lshl_b64 s[10:11], s[8:9], 2
	s_waitcnt lgkmcnt(0)
	s_add_u32 s2, s2, s10
	s_addc_u32 s3, s3, s11
	s_load_dword s2, s[2:3], 0x0
	s_waitcnt lgkmcnt(0)
	s_cmpk_gt_u32 s2, 0xff
	s_cbranch_scc1 .LBB193_26
; %bb.1:
	s_load_dwordx2 s[10:11], s[4:5], 0x28
	s_lshl_b32 s3, s8, 3
	s_waitcnt lgkmcnt(0)
	s_load_dword s7, s[10:11], 0x0
	s_waitcnt lgkmcnt(0)
	s_cmp_gt_u32 s3, s7
	s_cbranch_scc1 .LBB193_26
; %bb.2:
	v_add_u32_e32 v8, s3, v1
	v_mov_b32_e32 v9, 0
	v_lshlrev_b64 v[2:3], 2, v[8:9]
	v_mov_b32_e32 v4, s1
	v_add_co_u32_e32 v2, vcc, s0, v2
	v_addc_co_u32_e32 v3, vcc, v4, v3, vcc
	global_load_dword v10, v[2:3], off
	s_load_dwordx2 s[18:19], s[4:5], 0x30
	s_load_dwordx2 s[16:17], s[4:5], 0x10
	s_load_dwordx4 s[8:11], s[4:5], 0x3c
	s_lshl_b32 s22, s6, 7
	v_mov_b32_e32 v126, v9
	s_waitcnt lgkmcnt(0)
	s_cmpk_lt_i32 s19, 0x100
	v_mov_b32_e32 v127, v9
	v_mov_b32_e32 v82, v9
	s_cbranch_scc1 .LBB193_17
; %bb.3:
	s_ashr_i32 s0, s19, 31
	s_lshr_b32 s0, s0, 24
	s_add_i32 s0, s19, s0
	s_ashr_i32 s23, s0, 8
	s_ashr_i32 s0, s9, 31
	s_lshr_b32 s0, s0, 27
	s_add_i32 s0, s9, s0
	v_and_b32_e32 v4, 7, v0
	s_ashr_i32 s9, s0, 5
	v_lshlrev_b32_e32 v9, 3, v0
	v_lshlrev_b32_e32 v4, 2, v4
	s_movk_i32 s0, 0xc0
	v_mul_u32_u24_e32 v7, 0x41, v1
	v_and_or_b32 v4, v9, s0, v4
	s_lshl_b32 s0, s23, 3
	v_lshl_add_u32 v13, v7, 2, v4
	v_mov_b32_e32 v4, s0
	v_mad_i32_i24 v40, s23, v1, v4
	v_add_u32_e32 v44, s0, v40
	v_add_u32_e32 v48, s0, v44
	;; [unrolled: 1-line block ×5, first 2 shown]
	v_lshl_add_u32 v4, v1, 5, v0
	v_add_u32_e32 v64, s0, v60
	v_and_b32_e32 v9, 0x7f, v4
	v_lshrrev_b32_e32 v4, 3, v4
	s_mul_i32 s18, s2, s18
	v_add_u32_e32 v68, s0, v64
	v_mul_i32_i24_e32 v7, s23, v9
	v_and_b32_e32 v4, 12, v4
	v_lshlrev_b32_e32 v9, 2, v9
	s_mov_b32 s2, 0x8e40
	v_and_b32_e32 v18, 3, v0
	v_add_u32_e32 v72, s0, v68
	v_add3_u32 v14, v9, v4, s2
	v_add_u32_e32 v4, 0xfe, v18
	v_add_u32_e32 v76, s0, v72
	v_and_b32_e32 v4, 0xff, v4
	v_cmp_gt_u32_e32 vcc, 2, v18
	v_lshrrev_b32_e32 v6, 2, v0
	v_add_u32_e32 v80, s0, v76
	v_lshlrev_b32_e32 v9, 3, v1
	v_cndmask_b32_e32 v16, v4, v18, vcc
	v_cmp_ne_u32_e32 vcc, 0, v18
	v_and_b32_e32 v11, 6, v6
	v_add_u32_e32 v85, s0, v80
	v_add_u32_e32 v17, v6, v9
	v_addc_co_u32_e32 v4, vcc, 0, v16, vcc
	v_add_u16_e32 v6, v6, v9
	v_add_u32_e32 v89, s0, v85
	v_cmp_lt_u32_e32 vcc, 1, v18
	v_and_b32_e32 v19, 0x7f, v17
	v_lshlrev_b32_e32 v18, 2, v18
	v_lshrrev_b16_e32 v6, 1, v6
	v_add_u32_e32 v93, s0, v89
	v_lshl_or_b32 v17, v19, 4, v18
	v_and_b32_e32 v6, 60, v6
	s_mov_b32 s0, 0x8200
	s_load_dwordx4 s[12:15], s[4:5], 0x0
	v_add3_u32 v17, v17, v6, s0
	v_xor_b32_e32 v6, 64, v19
	s_abs_i32 s5, s11
	v_mul_i32_i24_e32 v103, s23, v6
	v_lshl_or_b32 v9, v6, 4, v18
	v_lshrrev_b32_e32 v6, 1, v6
	v_cvt_f32_u32_e32 v29, s5
	v_and_b32_e32 v6, 60, v6
	v_add3_u32 v18, v9, v6, s0
	v_mov_b32_e32 v9, 0x8a40
	v_lshlrev_b32_e32 v5, 2, v0
	v_and_b32_e32 v6, 31, v0
	v_lshl_add_u32 v20, v1, 7, v9
	v_lshrrev_b32_e32 v23, 3, v0
	v_lshrrev_b32_e32 v8, 5, v0
	v_lshl_add_u32 v21, v6, 2, v20
	v_add_u32_e32 v6, v23, v5
	v_mov_b32_e32 v9, 0x8200
	v_rcp_iflag_f32_e32 v30, v29
	v_lshl_add_u32 v24, v6, 2, v9
	v_lshlrev_b32_e32 v6, 2, v8
	v_add3_u32 v26, v5, v6, s2
	v_add_u32_e32 v6, 32, v0
	v_lshrrev_b32_e32 v27, 3, v6
	v_lshl_add_u32 v6, v6, 2, v27
	v_mul_f32_e32 v30, 0x4f7ffffe, v30
	v_lshl_add_u32 v28, v6, 2, v9
	v_and_b32_e32 v6, 60, v27
	v_cvt_u32_f32_e32 v32, v30
	v_add3_u32 v29, v5, v6, s2
	v_add_u32_e32 v6, 64, v0
	v_lshrrev_b32_e32 v31, 3, v6
	v_lshl_add_u32 v6, v6, 2, v31
	s_sub_i32 s3, 0, s5
	v_lshl_add_u32 v30, v6, 2, v9
	v_mul_lo_u32 v6, s3, v32
	s_waitcnt vmcnt(0)
	v_sub_u32_e32 v36, 0, v10
	v_max_i32_e32 v36, v10, v36
	v_add_u32_e32 v33, 0x60, v0
	v_mul_hi_u32 v6, v32, v6
	v_lshrrev_b32_e32 v34, 3, v33
	v_and_b32_e32 v31, 60, v31
	v_add3_u32 v31, v5, v31, s2
	v_add_u32_e32 v6, v32, v6
	v_mul_hi_u32 v6, v36, v6
	v_lshl_add_u32 v32, v33, 2, v34
	v_lshl_add_u32 v32, v32, 2, v9
	v_and_b32_e32 v9, 60, v34
	v_mul_lo_u32 v34, v6, s5
	v_add3_u32 v33, v5, v9, s2
	v_and_b32_e32 v2, 0x7c, v5
	v_and_b32_e32 v3, 28, v5
	v_sub_u32_e32 v9, v36, v34
	v_add_u32_e32 v34, 1, v6
	v_cmp_le_u32_e64 s[2:3], s5, v9
	v_cndmask_b32_e64 v6, v6, v34, s[2:3]
	v_subrev_u32_e32 v34, s5, v9
	v_cndmask_b32_e64 v9, v9, v34, s[2:3]
	v_and_b32_e32 v15, 4, v5
	v_mul_i32_i24_e32 v101, s23, v19
	v_add_u32_e32 v19, 0x9050, v5
	v_xor_b32_e32 v5, s11, v10
	v_add_u32_e32 v34, 1, v6
	v_cmp_le_u32_e64 s[2:3], s5, v9
	s_mul_i32 s4, s23, s22
	v_ashrrev_i32_e32 v5, 31, v5
	v_cndmask_b32_e64 v6, v6, v34, s[2:3]
	v_xor_b32_e32 v6, v6, v5
	s_mul_i32 s20, s4, 0xb0
	v_sub_u32_e32 v34, v6, v5
	s_mul_hi_i32 s21, s4, 0xb0
	v_mov_b32_e32 v5, s20
	s_movk_i32 s25, 0xb0
	v_mov_b32_e32 v6, s21
	v_mad_u64_u32 v[8:9], s[4:5], v8, s25, v[5:6]
	v_mul_i32_i24_e32 v35, s23, v1
	s_waitcnt lgkmcnt(0)
	v_mov_b32_e32 v36, s15
	v_add_co_u32_e64 v5, s[4:5], s14, v3
	v_addc_co_u32_e64 v6, s[4:5], 0, v36, s[4:5]
	v_mad_u64_u32 v[38:39], s[4:5], v35, s25, v[8:9]
	v_mov_b32_e32 v41, s13
	v_mov_b32_e32 v45, s13
	v_add_co_u32_e64 v36, s[4:5], v38, v3
	v_addc_co_u32_e64 v37, s[4:5], 0, v39, s[4:5]
	v_add_co_u32_e64 v36, s[4:5], s12, v36
	v_addc_co_u32_e64 v37, s[4:5], v41, v37, s[4:5]
	;; [unrolled: 2-line block ×5, first 2 shown]
	v_mad_u64_u32 v[42:43], s[4:5], v40, s25, v[8:9]
	v_add_co_u32_e64 v38, s[4:5], 48, v38
	v_addc_co_u32_e64 v39, s[4:5], 0, v39, s[4:5]
	v_add_co_u32_e64 v40, s[4:5], v42, v3
	v_addc_co_u32_e64 v41, s[4:5], 0, v43, s[4:5]
	;; [unrolled: 2-line block ×6, first 2 shown]
	v_mad_u64_u32 v[46:47], s[4:5], v44, s25, v[8:9]
	v_add_co_u32_e64 v42, s[4:5], 48, v42
	v_addc_co_u32_e64 v43, s[4:5], 0, v43, s[4:5]
	v_add_co_u32_e64 v44, s[4:5], v46, v3
	v_addc_co_u32_e64 v45, s[4:5], 0, v47, s[4:5]
	v_mov_b32_e32 v49, s13
	v_add_co_u32_e64 v44, s[4:5], s12, v44
	v_addc_co_u32_e64 v45, s[4:5], v49, v45, s[4:5]
	v_add_co_u32_e64 v44, s[4:5], 16, v44
	v_addc_co_u32_e64 v45, s[4:5], 0, v45, s[4:5]
	v_add_co_u32_e64 v46, s[4:5], v46, v2
	v_addc_co_u32_e64 v47, s[4:5], 0, v47, s[4:5]
	v_add_co_u32_e64 v46, s[4:5], s12, v46
	v_addc_co_u32_e64 v47, s[4:5], v49, v47, s[4:5]
	v_mad_u64_u32 v[50:51], s[4:5], v48, s25, v[8:9]
	v_add_co_u32_e64 v46, s[4:5], 48, v46
	v_addc_co_u32_e64 v47, s[4:5], 0, v47, s[4:5]
	v_add_co_u32_e64 v48, s[4:5], v50, v3
	v_addc_co_u32_e64 v49, s[4:5], 0, v51, s[4:5]
	v_mov_b32_e32 v53, s13
	v_add_co_u32_e64 v48, s[4:5], s12, v48
	v_addc_co_u32_e64 v49, s[4:5], v53, v49, s[4:5]
	v_add_co_u32_e64 v48, s[4:5], 16, v48
	v_addc_co_u32_e64 v49, s[4:5], 0, v49, s[4:5]
	v_add_co_u32_e64 v50, s[4:5], v50, v2
	v_addc_co_u32_e64 v51, s[4:5], 0, v51, s[4:5]
	v_add_co_u32_e64 v50, s[4:5], s12, v50
	v_addc_co_u32_e64 v51, s[4:5], v53, v51, s[4:5]
	;; [unrolled: 14-line block ×13, first 2 shown]
	s_mul_i32 s4, s23, 0x78
	v_mov_b32_e32 v97, s4
	v_lshlrev_b32_e32 v22, 4, v1
	v_mad_i32_i24 v1, s23, v1, v97
	v_mad_u64_u32 v[8:9], s[4:5], v1, s25, v[8:9]
	v_add_co_u32_e64 v95, s[4:5], 48, v95
	v_addc_co_u32_e64 v96, s[4:5], 0, v96, s[4:5]
	v_add_co_u32_e64 v1, s[4:5], v8, v3
	v_addc_co_u32_e64 v3, s[4:5], 0, v9, s[4:5]
	v_mov_b32_e32 v97, s13
	v_add_co_u32_e64 v1, s[4:5], s12, v1
	v_addc_co_u32_e64 v3, s[4:5], v97, v3, s[4:5]
	v_add_co_u32_e64 v97, s[4:5], 16, v1
	v_addc_co_u32_e64 v98, s[4:5], 0, v3, s[4:5]
	;; [unrolled: 2-line block ×3, first 2 shown]
	v_mov_b32_e32 v3, s13
	v_add_co_u32_e64 v1, s[4:5], s12, v1
	v_addc_co_u32_e64 v2, s[4:5], v3, v2, s[4:5]
	v_cmp_gt_u32_e64 s[0:1], 4, v0
	v_cmp_gt_i32_e64 s[2:3], s8, v34
	v_add_co_u32_e64 v99, s[4:5], 48, v1
	s_ashr_i32 s24, s18, 31
	s_and_b64 s[6:7], s[0:1], s[2:3]
	v_addc_co_u32_e64 v100, s[4:5], 0, v2, s[4:5]
	s_add_u32 s4, s12, s20
	s_addc_u32 s5, s13, s21
	v_mov_b32_e32 v1, s4
	v_mov_b32_e32 v2, s5
	v_mad_u64_u32 v[101:102], s[4:5], v101, s25, 0
	v_mad_u64_u32 v[7:8], s[4:5], v7, s25, v[1:2]
	v_cndmask_b32_e64 v3, 0, 1, vcc
	v_add_co_u32_e64 v2, s[4:5], s20, v101
	v_lshlrev_b32_e32 v3, 2, v3
	v_mov_b32_e32 v1, s21
	v_or_b32_e32 v9, v2, v3
	v_cndmask_b32_e32 v15, 0, v15, vcc
	v_addc_co_u32_e64 v1, s[4:5], v1, v102, s[4:5]
	v_mov_b32_e32 v101, s13
	v_add_co_u32_e32 v9, vcc, s12, v9
	v_addc_co_u32_e32 v102, vcc, v101, v1, vcc
	v_add_co_u32_e32 v101, vcc, 4, v9
	v_addc_co_u32_e32 v102, vcc, 0, v102, vcc
	v_lshlrev_b32_e32 v4, 2, v4
	v_add_co_u32_e32 v2, vcc, v2, v4
	v_addc_co_u32_e32 v1, vcc, 0, v1, vcc
	v_mov_b32_e32 v9, s13
	v_add_co_u32_e32 v104, vcc, s12, v2
	v_addc_co_u32_e32 v9, vcc, v9, v1, vcc
	v_mad_u64_u32 v[1:2], s[4:5], v103, s25, 0
	v_add_co_u32_e32 v103, vcc, 4, v104
	v_addc_co_u32_e32 v104, vcc, 0, v9, vcc
	v_mov_b32_e32 v9, s21
	v_add_co_u32_e32 v1, vcc, s20, v1
	v_addc_co_u32_e32 v2, vcc, v9, v2, vcc
	v_or_b32_e32 v3, v1, v3
	v_mov_b32_e32 v9, s13
	v_add_co_u32_e32 v3, vcc, s12, v3
	v_addc_co_u32_e32 v9, vcc, v9, v2, vcc
	v_add_co_u32_e32 v105, vcc, 4, v3
	v_addc_co_u32_e32 v106, vcc, 0, v9, vcc
	v_add_co_u32_e32 v1, vcc, v1, v4
	v_mul_lo_u32 v34, v34, s9
	v_addc_co_u32_e32 v2, vcc, 0, v2, vcc
	v_mov_b32_e32 v3, s13
	v_add_co_u32_e32 v1, vcc, s12, v1
	v_addc_co_u32_e32 v2, vcc, v3, v2, vcc
	v_add_co_u32_e32 v107, vcc, 4, v1
	v_mov_b32_e32 v82, 0
	v_or_b32_e32 v12, 1, v11
	v_lshlrev_b32_e32 v16, 1, v16
	v_mul_u32_u24_e32 v25, 0x104, v0
	v_ashrrev_i32_e32 v35, 31, v34
	v_addc_co_u32_e32 v108, vcc, 0, v2, vcc
	s_movk_i32 s12, 0x80
	s_mov_b32 s13, 0x10101010
	s_mov_b32 s20, 0x30303030
	v_mov_b32_e32 v109, s24
	v_add_u32_e32 v110, 0x800, v13
	v_add_u32_e32 v111, 0x1000, v13
	;; [unrolled: 1-line block ×15, first 2 shown]
	v_mov_b32_e32 v125, v0
	v_mov_b32_e32 v127, 0
	;; [unrolled: 1-line block ×4, first 2 shown]
	s_branch .LBB193_6
.LBB193_4:                              ;   in Loop: Header=BB193_6 Depth=1
	s_or_b64 exec, exec, s[4:5]
	s_waitcnt lgkmcnt(0)
	s_barrier
	ds_read_b128 v[129:132], v20
	ds_read_b128 v[133:136], v20 offset:16
	ds_read2_b32 v[145:146], v25 offset0:32 offset1:33
	ds_read_b128 v[137:140], v20 offset:32
	ds_read_b128 v[141:144], v20 offset:48
	ds_read_b32 v128, v26
	ds_read_b128 v[1:4], v22 offset:36944
	ds_read2_b32 v[147:148], v25 offset0:34 offset1:35
	s_waitcnt lgkmcnt(5)
	v_dot4_i32_i8 v145, v145, v129, 0
	v_dot4_i32_i8 v153, v146, v130, v145
	ds_read2_b32 v[145:146], v25 offset0:36 offset1:37
	ds_read2_b32 v[149:150], v25 offset0:38 offset1:39
	;; [unrolled: 1-line block ×3, first 2 shown]
	v_add_u32_e32 v157, 0x2110, v25
	s_waitcnt lgkmcnt(3)
	v_dot4_i32_i8 v147, v147, v131, v153
	v_dot4_i32_i8 v153, v148, v132, v147
	s_waitcnt lgkmcnt(2)
	v_dot4_i32_i8 v145, v145, v133, v153
	v_dot4_i32_i8 v145, v146, v134, v145
	;; [unrolled: 3-line block ×3, first 2 shown]
	ds_read2_b32 v[145:146], v25 offset0:42 offset1:43
	s_waitcnt lgkmcnt(1)
	v_dot4_i32_i8 v149, v151, v137, 0
	ds_read2_b32 v[147:148], v24 offset0:1 offset1:3
	v_dot4_i32_i8 v155, v152, v138, v149
	ds_read2_b32 v[149:150], v25 offset0:44 offset1:45
	ds_read2_b32 v[151:152], v25 offset0:46 offset1:47
	;; [unrolled: 1-line block ×3, first 2 shown]
	s_waitcnt lgkmcnt(4)
	v_dot4_i32_i8 v145, v145, v139, v155
	v_dot4_i32_i8 v145, v146, v140, v145
	s_waitcnt lgkmcnt(2)
	v_dot4_i32_i8 v145, v149, v141, v145
	v_dot4_i32_i8 v145, v150, v142, v145
	;; [unrolled: 3-line block ×3, first 2 shown]
	v_add_u32_e32 v145, 0x2100, v25
	ds_read2_b32 v[145:146], v145 offset1:1
	ds_read2_b32 v[149:150], v25 offset0:58 offset1:59
	ds_read2_b32 v[151:152], v25 offset0:60 offset1:61
	;; [unrolled: 1-line block ×3, first 2 shown]
	ds_read_b32 v172, v29 offset:128
	ds_read_b32 v173, v31 offset:256
	;; [unrolled: 1-line block ×3, first 2 shown]
	s_waitcnt lgkmcnt(6)
	v_dot4_i32_i8 v145, v145, v129, 0
	v_dot4_i32_i8 v163, v146, v130, v145
	v_add_u32_e32 v145, 0x2108, v25
	ds_read2_b32 v[145:146], v145 offset1:1
	v_add_u32_e32 v159, 0x2118, v25
	v_add_u32_e32 v161, 0x2120, v25
	ds_read2_b32 v[157:158], v157 offset1:1
	ds_read2_b32 v[159:160], v159 offset1:1
	;; [unrolled: 1-line block ×3, first 2 shown]
	v_cvt_f32_ubyte0_e32 v168, v148
	s_waitcnt lgkmcnt(3)
	v_dot4_i32_i8 v145, v145, v131, v163
	v_dot4_i32_i8 v163, v146, v132, v145
	s_waitcnt lgkmcnt(2)
	v_dot4_i32_i8 v157, v157, v133, v163
	v_dot4_i32_i8 v157, v158, v134, v157
	;; [unrolled: 3-line block ×4, first 2 shown]
	v_add_u32_e32 v157, 0x2128, v25
	ds_read2_b32 v[157:158], v157 offset1:1
	v_add_u32_e32 v159, 0x2130, v25
	v_add_u32_e32 v161, 0x2138, v25
	;; [unrolled: 1-line block ×3, first 2 shown]
	ds_read2_b32 v[145:146], v28 offset0:1 offset1:3
	ds_read2_b32 v[159:160], v159 offset1:1
	ds_read2_b32 v[161:162], v161 offset1:1
	;; [unrolled: 1-line block ×3, first 2 shown]
	s_waitcnt lgkmcnt(4)
	v_dot4_i32_i8 v157, v157, v139, v165
	v_dot4_i32_i8 v157, v158, v140, v157
	s_waitcnt lgkmcnt(2)
	v_dot4_i32_i8 v157, v159, v141, v157
	v_dot4_i32_i8 v157, v160, v142, v157
	;; [unrolled: 3-line block ×4, first 2 shown]
	v_add_u32_e32 v157, 0x4188, v25
	ds_read2_b32 v[157:158], v157 offset1:1
	v_add_u32_e32 v159, 0x4190, v25
	v_add_u32_e32 v161, 0x4198, v25
	;; [unrolled: 1-line block ×3, first 2 shown]
	ds_read2_b32 v[159:160], v159 offset1:1
	ds_read2_b32 v[161:162], v161 offset1:1
	;; [unrolled: 1-line block ×3, first 2 shown]
	s_waitcnt lgkmcnt(3)
	v_dot4_i32_i8 v157, v157, v131, v165
	v_dot4_i32_i8 v165, v158, v132, v157
	s_waitcnt lgkmcnt(2)
	v_dot4_i32_i8 v159, v159, v133, v165
	v_dot4_i32_i8 v159, v160, v134, v159
	;; [unrolled: 3-line block ×4, first 2 shown]
	v_add_u32_e32 v159, 0x41a8, v25
	v_add_u32_e32 v161, 0x41b0, v25
	;; [unrolled: 1-line block ×4, first 2 shown]
	ds_read2_b32 v[157:158], v30 offset0:1 offset1:3
	ds_read2_b32 v[159:160], v159 offset1:1
	ds_read2_b32 v[161:162], v161 offset1:1
	;; [unrolled: 1-line block ×4, first 2 shown]
	v_cvt_f32_ubyte1_e32 v170, v148
	v_cvt_f32_f16_sdwa v171, v128 dst_sel:DWORD dst_unused:UNUSED_PAD src0_sel:WORD_1
	v_cvt_f32_ubyte0_e32 v176, v146
	s_waitcnt lgkmcnt(3)
	v_dot4_i32_i8 v159, v159, v139, v182
	s_waitcnt lgkmcnt(0)
	v_dot4_i32_i8 v129, v165, v129, 0
	v_dot4_i32_i8 v159, v160, v140, v159
	;; [unrolled: 1-line block ×3, first 2 shown]
	v_add_u32_e32 v129, 0x6208, v25
	v_dot4_i32_i8 v159, v161, v141, v159
	ds_read2_b32 v[129:130], v129 offset1:1
	v_dot4_i32_i8 v159, v162, v142, v159
	v_dot4_i32_i8 v159, v163, v143, v159
	;; [unrolled: 1-line block ×3, first 2 shown]
	v_add_u32_e32 v159, 0x6210, v25
	v_add_u32_e32 v161, 0x6218, v25
	;; [unrolled: 1-line block ×3, first 2 shown]
	ds_read2_b32 v[159:160], v159 offset1:1
	ds_read2_b32 v[161:162], v161 offset1:1
	;; [unrolled: 1-line block ×3, first 2 shown]
	s_waitcnt lgkmcnt(3)
	v_dot4_i32_i8 v129, v129, v131, v165
	v_dot4_i32_i8 v129, v130, v132, v129
	s_waitcnt lgkmcnt(2)
	v_dot4_i32_i8 v129, v159, v133, v129
	v_dot4_i32_i8 v129, v160, v134, v129
	;; [unrolled: 3-line block ×4, first 2 shown]
	v_add_u32_e32 v129, 0x6228, v25
	ds_read2_b32 v[129:130], v129 offset1:1
	v_add_u32_e32 v131, 0x6230, v25
	v_add_u32_e32 v133, 0x6238, v25
	ds_read2_b32 v[165:166], v32 offset0:1 offset1:3
	v_add_u32_e32 v138, 0x2140, v25
	ds_read2_b32 v[131:132], v131 offset1:1
	ds_read2_b32 v[133:134], v133 offset1:1
	;; [unrolled: 1-line block ×3, first 2 shown]
	s_waitcnt lgkmcnt(4)
	v_dot4_i32_i8 v129, v129, v139, v137
	v_dot4_i32_i8 v129, v130, v140, v129
	v_and_b32_e32 v130, 0xff, v147
	s_waitcnt lgkmcnt(2)
	v_dot4_i32_i8 v129, v131, v141, v129
	v_bfe_u32 v131, v147, 8, 8
	v_mul_lo_u32 v130, v167, v130
	v_mul_lo_u32 v131, v169, v131
	v_dot4_i32_i8 v129, v132, v142, v129
	v_fma_mix_f32 v132, v1, v168, 0 op_sel:[1,0,0] op_sel_hi:[1,0,0]
	v_cvt_f32_i32_e32 v130, v130
	v_cvt_f32_i32_e32 v131, v131
	s_waitcnt lgkmcnt(1)
	v_dot4_i32_i8 v129, v133, v143, v129
	v_bfe_u32 v133, v145, 8, 8
	v_fma_mix_f32 v130, v1, v130, 0 op_sel_hi:[1,0,0]
	v_fma_mix_f32 v130, v2, v131, v130 op_sel_hi:[1,0,0]
	v_fma_mix_f32 v131, v2, v170, v132 op_sel:[1,0,0] op_sel_hi:[1,0,0]
	v_and_b32_e32 v132, 0xff, v145
	v_mul_lo_u32 v132, v175, v132
	v_mul_lo_u32 v133, v177, v133
	v_mul_f32_e32 v131, v131, v171
	v_fma_mix_f32 v130, v130, v128, -v131 op_sel_hi:[0,1,0]
	v_add_f32_e32 v82, v82, v130
	v_cvt_f32_i32_e32 v130, v132
	v_cvt_f32_i32_e32 v131, v133
	v_cvt_f32_ubyte1_e32 v178, v146
	v_cvt_f32_f16_sdwa v179, v172 dst_sel:DWORD dst_unused:UNUSED_PAD src0_sel:WORD_1
	v_fma_mix_f32 v132, v1, v176, 0 op_sel:[1,0,0] op_sel_hi:[1,0,0]
	v_fma_mix_f32 v130, v1, v130, 0 op_sel_hi:[1,0,0]
	v_fma_mix_f32 v130, v2, v131, v130 op_sel_hi:[1,0,0]
	v_fma_mix_f32 v131, v2, v178, v132 op_sel:[1,0,0] op_sel_hi:[1,0,0]
	v_and_b32_e32 v132, 0xff, v157
	v_bfe_u32 v133, v157, 8, 8
	v_mul_lo_u32 v132, v180, v132
	v_mul_lo_u32 v133, v182, v133
	v_mul_f32_e32 v131, v131, v179
	v_fma_mix_f32 v130, v130, v172, -v131 op_sel_hi:[0,1,0]
	v_add_f32_e32 v167, v127, v130
	v_cvt_f32_i32_e32 v127, v132
	v_cvt_f32_i32_e32 v130, v133
	v_cvt_f32_f16_sdwa v184, v173 dst_sel:DWORD dst_unused:UNUSED_PAD src0_sel:WORD_1
	v_cvt_f32_ubyte0_e32 v181, v158
	v_cvt_f32_ubyte1_e32 v183, v158
	v_fma_mix_f32 v131, v1, v181, 0 op_sel:[1,0,0] op_sel_hi:[1,0,0]
	v_fma_mix_f32 v127, v1, v127, 0 op_sel_hi:[1,0,0]
	v_fma_mix_f32 v127, v2, v130, v127 op_sel_hi:[1,0,0]
	v_fma_mix_f32 v130, v2, v183, v131 op_sel:[1,0,0] op_sel_hi:[1,0,0]
	v_mul_f32_e32 v130, v130, v184
	v_and_b32_e32 v131, 0xff, v165
	v_dot4_i32_i8 v129, v134, v144, v129
	v_mul_lo_u32 v131, v135, v131
	v_fma_mix_f32 v127, v127, v173, -v130 op_sel_hi:[0,1,0]
	v_bfe_u32 v130, v165, 8, 8
	v_mul_lo_u32 v129, v129, v130
	v_cvt_f32_i32_e32 v130, v131
	v_add_f32_e32 v169, v126, v127
	v_cvt_f32_f16_sdwa v175, v174 dst_sel:DWORD dst_unused:UNUSED_PAD src0_sel:WORD_1
	v_cvt_f32_i32_e32 v126, v129
	v_cvt_f32_ubyte0_e32 v136, v166
	v_fma_mix_f32 v127, v1, v130, 0 op_sel_hi:[1,0,0]
	v_fma_mix_f32 v1, v1, v136, 0 op_sel:[1,0,0] op_sel_hi:[1,0,0]
	v_fma_mix_f32 v126, v2, v126, v127 op_sel_hi:[1,0,0]
	v_cvt_f32_ubyte1_e32 v127, v166
	v_fma_mix_f32 v1, v2, v127, v1 op_sel:[1,0,0] op_sel_hi:[1,0,0]
	v_mul_f32_e32 v1, v1, v175
	ds_read_b128 v[129:132], v20 offset:64
	v_fma_mix_f32 v1, v126, v174, -v1 op_sel_hi:[0,1,0]
	v_add_f32_e32 v9, v9, v1
	ds_read_b128 v[133:136], v20 offset:80
	ds_read_b128 v[137:140], v20 offset:96
	;; [unrolled: 1-line block ×3, first 2 shown]
	ds_read2_b32 v[1:2], v25 offset0:50 offset1:51
	s_waitcnt lgkmcnt(4)
	v_dot4_i32_i8 v126, v153, v129, 0
	v_dot4_i32_i8 v176, v154, v130, v126
	ds_read2_b32 v[126:127], v25 offset0:52 offset1:53
	ds_read2_b32 v[153:154], v25 offset0:54 offset1:55
	;; [unrolled: 1-line block ×3, first 2 shown]
	v_lshrrev_b32_e32 v163, 24, v147
	s_waitcnt lgkmcnt(3)
	v_dot4_i32_i8 v1, v1, v131, v176
	v_dot4_i32_i8 v1, v2, v132, v1
	s_waitcnt lgkmcnt(2)
	v_dot4_i32_i8 v1, v126, v133, v1
	v_dot4_i32_i8 v1, v127, v134, v1
	;; [unrolled: 3-line block ×4, first 2 shown]
	v_dot4_i32_i8 v1, v149, v139, v1
	v_dot4_i32_i8 v1, v150, v140, v1
	;; [unrolled: 1-line block ×8, first 2 shown]
	v_add_u32_e32 v1, 0x2148, v25
	ds_read2_b32 v[1:2], v1 offset1:1
	v_cvt_f32_ubyte2_e32 v154, v148
	v_cvt_f32_ubyte3_e32 v155, v148
	v_add_u32_e32 v126, 0x2150, v25
	v_add_u32_e32 v148, 0x2158, v25
	v_add_u32_e32 v150, 0x2160, v25
	ds_read2_b32 v[126:127], v126 offset1:1
	ds_read2_b32 v[148:149], v148 offset1:1
	ds_read2_b32 v[150:151], v150 offset1:1
	s_waitcnt lgkmcnt(3)
	v_dot4_i32_i8 v1, v1, v131, v156
	v_dot4_i32_i8 v1, v2, v132, v1
	s_waitcnt lgkmcnt(2)
	v_dot4_i32_i8 v1, v126, v133, v1
	v_dot4_i32_i8 v1, v127, v134, v1
	s_waitcnt lgkmcnt(1)
	v_dot4_i32_i8 v1, v148, v135, v1
	v_dot4_i32_i8 v156, v149, v136, v1
	s_waitcnt lgkmcnt(0)
	v_dot4_i32_i8 v1, v150, v137, 0
	v_dot4_i32_i8 v160, v151, v138, v1
	v_add_u32_e32 v1, 0x2168, v25
	ds_read2_b32 v[1:2], v1 offset1:1
	v_add_u32_e32 v126, 0x2170, v25
	v_add_u32_e32 v148, 0x2178, v25
	v_add_u32_e32 v150, 0x41c0, v25
	ds_read2_b32 v[126:127], v126 offset1:1
	ds_read2_b32 v[148:149], v148 offset1:1
	ds_read2_b32 v[150:151], v150 offset1:1
	s_waitcnt lgkmcnt(3)
	v_dot4_i32_i8 v1, v1, v139, v160
	v_dot4_i32_i8 v1, v2, v140, v1
	s_waitcnt lgkmcnt(2)
	v_dot4_i32_i8 v1, v126, v141, v1
	v_dot4_i32_i8 v1, v127, v142, v1
	s_waitcnt lgkmcnt(1)
	v_dot4_i32_i8 v1, v148, v143, v1
	v_dot4_i32_i8 v160, v149, v144, v1
	s_waitcnt lgkmcnt(0)
	v_dot4_i32_i8 v1, v150, v129, 0
	v_dot4_i32_i8 v161, v151, v130, v1
	v_add_u32_e32 v1, 0x41c8, v25
	ds_read2_b32 v[1:2], v1 offset1:1
	;; [unrolled: 20-line block ×5, first 2 shown]
	v_add_u32_e32 v126, 0x6270, v25
	ds_read2_b32 v[126:127], v126 offset1:1
	v_add_u32_e32 v129, 0x6278, v25
	ds_read2_b32 v[129:130], v129 offset1:1
	s_waitcnt lgkmcnt(2)
	v_dot4_i32_i8 v1, v1, v139, v133
	v_dot4_i32_i8 v1, v2, v140, v1
	v_bfe_u32 v2, v147, 16, 8
	v_mul_lo_u32 v2, v153, v2
	s_waitcnt lgkmcnt(1)
	v_dot4_i32_i8 v1, v126, v141, v1
	v_mul_lo_u32 v126, v152, v163
	v_dot4_i32_i8 v1, v127, v142, v1
	v_cvt_f32_i32_e32 v2, v2
	v_fma_mix_f32 v127, v3, v154, 0 op_sel:[1,0,0] op_sel_hi:[1,0,0]
	v_cvt_f32_i32_e32 v126, v126
	v_lshrrev_b32_e32 v164, 24, v145
	v_fma_mix_f32 v2, v3, v2, 0 op_sel_hi:[1,0,0]
	s_waitcnt lgkmcnt(0)
	v_dot4_i32_i8 v1, v129, v143, v1
	v_fma_mix_f32 v2, v4, v126, v2 op_sel_hi:[1,0,0]
	v_fma_mix_f32 v126, v4, v155, v127 op_sel:[1,0,0] op_sel_hi:[1,0,0]
	v_bfe_u32 v127, v145, 16, 8
	v_mul_lo_u32 v127, v156, v127
	v_mul_lo_u32 v129, v160, v164
	v_mul_f32_e32 v126, v126, v171
	v_fma_mix_f32 v2, v2, v128, -v126 op_sel_hi:[0,1,0]
	v_cvt_f32_i32_e32 v126, v127
	v_cvt_f32_i32_e32 v127, v129
	v_lshrrev_b32_e32 v168, 24, v157
	v_cvt_f32_ubyte2_e32 v159, v146
	v_fma_mix_f32 v126, v3, v126, 0 op_sel_hi:[1,0,0]
	v_fma_mix_f32 v126, v4, v127, v126 op_sel_hi:[1,0,0]
	v_bfe_u32 v127, v157, 16, 8
	v_mul_lo_u32 v127, v161, v127
	v_cvt_f32_ubyte3_e32 v146, v146
	v_add_f32_e32 v82, v82, v2
	v_fma_mix_f32 v2, v3, v159, 0 op_sel:[1,0,0] op_sel_hi:[1,0,0]
	v_mul_lo_u32 v128, v176, v168
	v_fma_mix_f32 v2, v4, v146, v2 op_sel:[1,0,0] op_sel_hi:[1,0,0]
	v_mul_f32_e32 v2, v2, v179
	v_fma_mix_f32 v2, v126, v172, -v2 op_sel_hi:[0,1,0]
	v_cvt_f32_i32_e32 v126, v127
	v_cvt_f32_i32_e32 v128, v128
	v_lshrrev_b32_e32 v170, 24, v165
	v_dot4_i32_i8 v1, v130, v144, v1
	v_fma_mix_f32 v126, v3, v126, 0 op_sel_hi:[1,0,0]
	v_fma_mix_f32 v126, v4, v128, v126 op_sel_hi:[1,0,0]
	v_bfe_u32 v128, v165, 16, 8
	v_mul_lo_u32 v128, v131, v128
	v_mul_lo_u32 v1, v1, v170
	v_cvt_f32_ubyte2_e32 v162, v158
	v_cvt_f32_ubyte3_e32 v158, v158
	v_add_f32_e32 v127, v167, v2
	v_fma_mix_f32 v2, v3, v162, 0 op_sel:[1,0,0] op_sel_hi:[1,0,0]
	v_cvt_f32_i32_e32 v128, v128
	v_fma_mix_f32 v2, v4, v158, v2 op_sel:[1,0,0] op_sel_hi:[1,0,0]
	v_cvt_f32_i32_e32 v1, v1
	v_mul_f32_e32 v2, v2, v184
	v_fma_mix_f32 v2, v126, v173, -v2 op_sel_hi:[0,1,0]
	v_cvt_f32_ubyte2_e32 v132, v166
	v_add_f32_e32 v126, v169, v2
	v_fma_mix_f32 v2, v3, v128, 0 op_sel_hi:[1,0,0]
	v_fma_mix_f32 v3, v3, v132, 0 op_sel:[1,0,0] op_sel_hi:[1,0,0]
	v_fma_mix_f32 v1, v4, v1, v2 op_sel_hi:[1,0,0]
	v_cvt_f32_ubyte3_e32 v2, v166
	v_fma_mix_f32 v2, v4, v2, v3 op_sel:[1,0,0] op_sel_hi:[1,0,0]
	v_mul_f32_e32 v2, v2, v175
	v_fma_mix_f32 v1, v1, v174, -v2 op_sel_hi:[0,1,0]
	v_add_f32_e32 v9, v9, v1
	s_barrier
.LBB193_5:                              ;   in Loop: Header=BB193_6 Depth=1
	v_add_co_u32_e32 v36, vcc, 0xb0, v36
	v_addc_co_u32_e32 v37, vcc, 0, v37, vcc
	v_add_co_u32_e32 v38, vcc, 0xb0, v38
	v_addc_co_u32_e32 v39, vcc, 0, v39, vcc
	;; [unrolled: 2-line block ×36, first 2 shown]
	s_add_i32 s23, s23, -1
	s_addk_i32 s12, 0x100
	v_add_co_u32_e32 v107, vcc, 0xb0, v107
	v_add_u32_e32 v27, 8, v27
	v_add_u32_e32 v23, 8, v23
	;; [unrolled: 1-line block ×3, first 2 shown]
	s_cmp_eq_u32 s23, 0
	v_addc_co_u32_e32 v108, vcc, 0, v108, vcc
	s_cbranch_scc1 .LBB193_17
.LBB193_6:                              ; =>This Inner Loop Header: Depth=1
	v_add_co_u32_e32 v1, vcc, s18, v38
	v_addc_co_u32_e32 v2, vcc, v39, v109, vcc
	global_load_dword v128, v[1:2], off
	v_add_co_u32_e32 v1, vcc, s18, v36
	v_addc_co_u32_e32 v2, vcc, v37, v109, vcc
	global_load_dword v129, v[1:2], off
	v_add_co_u32_e32 v1, vcc, s18, v42
	v_addc_co_u32_e32 v2, vcc, v43, v109, vcc
	v_add_co_u32_e32 v3, vcc, s18, v40
	v_addc_co_u32_e32 v4, vcc, v41, v109, vcc
	global_load_dword v130, v[1:2], off
	v_add_co_u32_e32 v1, vcc, s18, v46
	v_addc_co_u32_e32 v2, vcc, v47, v109, vcc
	global_load_dword v131, v[3:4], off
	;; [unrolled: 3-line block ×13, first 2 shown]
	s_add_i32 s4, s12, 0xffffff80
	global_load_dword v3, v[3:4], off
	s_cmp_lt_i32 s4, s19
	s_waitcnt vmcnt(15)
	v_lshrrev_b32_e32 v1, 4, v128
	v_and_b32_e32 v144, 0xf0f0f0f, v1
	v_add_co_u32_e32 v1, vcc, s18, v70
	v_addc_co_u32_e32 v2, vcc, v71, v109, vcc
	global_load_dword v4, v[1:2], off
	v_add_co_u32_e32 v1, vcc, s18, v68
	v_addc_co_u32_e32 v2, vcc, v69, v109, vcc
	global_load_dword v1, v[1:2], off
	v_and_b32_e32 v143, 0xf0f0f0f, v128
	s_waitcnt vmcnt(16)
	v_ashrrev_i32_e32 v128, v11, v129
	v_lshlrev_b32_e32 v2, 4, v128
	v_ashrrev_i32_e32 v128, v12, v129
	v_lshlrev_b32_e32 v128, 4, v128
	v_and_or_b32 v2, v2, s13, v143
	v_and_or_b32 v128, v128, s13, v144
	ds_write2_b32 v13, v2, v128 offset1:8
	s_waitcnt vmcnt(15)
	v_and_b32_e32 v2, 0xf0f0f0f, v130
	v_lshrrev_b32_e32 v128, 4, v130
	s_waitcnt vmcnt(14)
	v_ashrrev_i32_e32 v129, v11, v131
	v_ashrrev_i32_e32 v130, v12, v131
	v_and_b32_e32 v128, 0xf0f0f0f, v128
	v_lshlrev_b32_e32 v129, 4, v129
	v_lshlrev_b32_e32 v130, 4, v130
	v_and_or_b32 v2, v129, s13, v2
	v_and_or_b32 v128, v130, s13, v128
	ds_write2_b32 v110, v2, v128 offset0:8 offset1:16
	s_waitcnt vmcnt(13)
	v_lshrrev_b32_e32 v128, 4, v132
	s_waitcnt vmcnt(12)
	v_ashrrev_i32_e32 v129, v11, v133
	v_ashrrev_i32_e32 v130, v12, v133
	v_and_b32_e32 v2, 0xf0f0f0f, v132
	v_and_b32_e32 v128, 0xf0f0f0f, v128
	v_lshlrev_b32_e32 v129, 4, v129
	v_lshlrev_b32_e32 v130, 4, v130
	v_and_or_b32 v2, v129, s13, v2
	v_and_or_b32 v128, v130, s13, v128
	ds_write2_b32 v111, v2, v128 offset0:16 offset1:24
	s_waitcnt vmcnt(11)
	v_lshrrev_b32_e32 v128, 4, v134
	s_waitcnt vmcnt(10)
	v_ashrrev_i32_e32 v129, v11, v135
	v_ashrrev_i32_e32 v130, v12, v135
	v_and_b32_e32 v2, 0xf0f0f0f, v134
	;; [unrolled: 12-line block ×6, first 2 shown]
	v_and_b32_e32 v128, 0xf0f0f0f, v128
	v_lshlrev_b32_e32 v129, 4, v129
	v_lshlrev_b32_e32 v3, 4, v3
	v_and_or_b32 v2, v129, s13, v2
	v_and_or_b32 v3, v3, s13, v128
	ds_write2_b32 v116, v2, v3 offset0:56 offset1:64
	s_waitcnt vmcnt(1)
	v_and_b32_e32 v2, 0xf0f0f0f, v4
	v_lshrrev_b32_e32 v3, 4, v4
	s_waitcnt vmcnt(0)
	v_ashrrev_i32_e32 v4, v11, v1
	v_ashrrev_i32_e32 v1, v12, v1
	v_and_b32_e32 v3, 0xf0f0f0f, v3
	v_lshlrev_b32_e32 v1, 4, v1
	v_lshlrev_b32_e32 v4, 4, v4
	v_and_or_b32 v3, v1, s13, v3
	v_add_co_u32_e32 v1, vcc, s18, v74
	v_and_or_b32 v4, v4, s13, v2
	v_addc_co_u32_e32 v2, vcc, v75, v109, vcc
	global_load_dword v128, v[1:2], off
	v_add_co_u32_e32 v1, vcc, s18, v72
	v_addc_co_u32_e32 v2, vcc, v73, v109, vcc
	global_load_dword v129, v[1:2], off
	v_add_co_u32_e32 v1, vcc, s18, v78
	;; [unrolled: 3-line block ×18, first 2 shown]
	v_addc_co_u32_e32 v2, vcc, v106, v109, vcc
	global_load_dword v1, v[1:2], off
	ds_write2_b32 v117, v4, v3 offset0:64 offset1:72
	s_waitcnt vmcnt(18)
	v_and_b32_e32 v2, 0xf0f0f0f, v128
	v_lshrrev_b32_e32 v3, 4, v128
	s_waitcnt vmcnt(17)
	v_ashrrev_i32_e32 v4, v11, v129
	v_ashrrev_i32_e32 v128, v12, v129
	v_and_b32_e32 v3, 0xf0f0f0f, v3
	v_lshlrev_b32_e32 v4, 4, v4
	v_lshlrev_b32_e32 v128, 4, v128
	v_and_or_b32 v2, v4, s13, v2
	v_and_or_b32 v3, v128, s13, v3
	ds_write2_b32 v118, v2, v3 offset0:72 offset1:80
	s_waitcnt vmcnt(16)
	v_lshrrev_b32_e32 v3, 4, v130
	s_waitcnt vmcnt(15)
	v_ashrrev_i32_e32 v4, v11, v131
	v_ashrrev_i32_e32 v128, v12, v131
	v_and_b32_e32 v2, 0xf0f0f0f, v130
	v_and_b32_e32 v3, 0xf0f0f0f, v3
	v_lshlrev_b32_e32 v4, 4, v4
	v_lshlrev_b32_e32 v128, 4, v128
	v_and_or_b32 v2, v4, s13, v2
	v_and_or_b32 v3, v128, s13, v3
	ds_write2_b32 v119, v2, v3 offset0:80 offset1:88
	s_waitcnt vmcnt(14)
	v_lshrrev_b32_e32 v3, 4, v132
	s_waitcnt vmcnt(13)
	v_ashrrev_i32_e32 v4, v11, v133
	v_ashrrev_i32_e32 v128, v12, v133
	v_and_b32_e32 v2, 0xf0f0f0f, v132
	;; [unrolled: 12-line block ×6, first 2 shown]
	v_and_b32_e32 v3, 0xf0f0f0f, v3
	v_lshlrev_b32_e32 v4, 4, v4
	v_lshlrev_b32_e32 v128, 4, v128
	v_and_or_b32 v2, v4, s13, v2
	v_and_or_b32 v3, v128, s13, v3
	ds_write2_b32 v124, v2, v3 offset0:120 offset1:128
	s_waitcnt vmcnt(4)
	ds_write_b32 v14, v142
	s_waitcnt vmcnt(3)
	v_ashrrev_i32_e32 v2, v15, v143
	v_and_b32_e32 v2, 0xf0f0f0f, v2
	s_waitcnt vmcnt(2)
	v_ashrrev_i32_e32 v3, v16, v144
	v_and_or_b32 v2, v3, s20, v2
	ds_write_b32 v17, v2
	s_waitcnt vmcnt(1)
	v_ashrrev_i32_e32 v2, v15, v145
	v_and_b32_e32 v2, 0xf0f0f0f, v2
	s_waitcnt vmcnt(0)
	v_ashrrev_i32_e32 v1, v16, v1
	v_and_or_b32 v1, v1, s20, v2
	ds_write_b32 v18, v1
	s_cbranch_scc0 .LBB193_5
; %bb.7:                                ;   in Loop: Header=BB193_6 Depth=1
	v_cmp_gt_i32_e32 vcc, s9, v23
	s_and_b64 s[24:25], s[2:3], vcc
	s_and_saveexec_b64 s[4:5], s[24:25]
	s_cbranch_execz .LBB193_9
; %bb.8:                                ;   in Loop: Header=BB193_6 Depth=1
	v_add_u32_e32 v1, v34, v23
	v_mad_i64_i32 v[1:2], s[24:25], v1, 36, v[5:6]
	global_load_dword v1, v[1:2], off offset:4
	s_waitcnt vmcnt(0)
	ds_write_b32 v21, v1
.LBB193_9:                              ;   in Loop: Header=BB193_6 Depth=1
	s_or_b64 exec, exec, s[4:5]
	v_cmp_gt_i32_e32 vcc, s9, v125
	s_and_b64 s[24:25], s[6:7], vcc
	s_and_saveexec_b64 s[4:5], s[24:25]
	s_cbranch_execz .LBB193_11
; %bb.10:                               ;   in Loop: Header=BB193_6 Depth=1
	v_add_u32_e32 v1, v34, v125
	v_mad_i64_i32 v[1:2], s[24:25], v1, 36, s[14:15]
	global_load_dword v1, v[1:2], off
	v_add_u32_e32 v2, v19, v22
	s_waitcnt vmcnt(0)
	ds_write_b32 v2, v1
.LBB193_11:                             ;   in Loop: Header=BB193_6 Depth=1
	s_or_b64 exec, exec, s[4:5]
	s_waitcnt lgkmcnt(0)
	s_barrier
	ds_read_b128 v[129:132], v20
	ds_read_b128 v[133:136], v20 offset:16
	ds_read2_b32 v[145:146], v25 offset1:1
	ds_read_b128 v[137:140], v20 offset:32
	ds_read_b128 v[141:144], v20 offset:48
	ds_read_b32 v128, v26
	ds_read_b128 v[1:4], v22 offset:36944
	ds_read2_b32 v[147:148], v25 offset0:2 offset1:3
	s_waitcnt lgkmcnt(5)
	v_dot4_i32_i8 v145, v145, v129, 0
	v_dot4_i32_i8 v153, v146, v130, v145
	ds_read2_b32 v[145:146], v25 offset0:4 offset1:5
	ds_read2_b32 v[149:150], v25 offset0:6 offset1:7
	ds_read2_b32 v[151:152], v25 offset0:8 offset1:9
	v_add_u32_e32 v157, 0x2090, v25
	s_waitcnt lgkmcnt(3)
	v_dot4_i32_i8 v147, v147, v131, v153
	v_dot4_i32_i8 v153, v148, v132, v147
	s_waitcnt lgkmcnt(2)
	v_dot4_i32_i8 v145, v145, v133, v153
	v_dot4_i32_i8 v145, v146, v134, v145
	;; [unrolled: 3-line block ×3, first 2 shown]
	ds_read2_b32 v[145:146], v25 offset0:10 offset1:11
	s_waitcnt lgkmcnt(1)
	v_dot4_i32_i8 v149, v151, v137, 0
	ds_read2_b32 v[147:148], v24 offset1:2
	v_dot4_i32_i8 v155, v152, v138, v149
	ds_read2_b32 v[149:150], v25 offset0:12 offset1:13
	ds_read2_b32 v[151:152], v25 offset0:14 offset1:15
	;; [unrolled: 1-line block ×3, first 2 shown]
	s_waitcnt lgkmcnt(4)
	v_dot4_i32_i8 v145, v145, v139, v155
	v_dot4_i32_i8 v145, v146, v140, v145
	s_waitcnt lgkmcnt(2)
	v_dot4_i32_i8 v145, v149, v141, v145
	v_dot4_i32_i8 v145, v150, v142, v145
	s_waitcnt lgkmcnt(1)
	v_dot4_i32_i8 v145, v151, v143, v145
	v_dot4_i32_i8 v169, v152, v144, v145
	v_add_u32_e32 v145, 0x2080, v25
	ds_read2_b32 v[145:146], v145 offset1:1
	ds_read2_b32 v[149:150], v25 offset0:26 offset1:27
	ds_read2_b32 v[151:152], v25 offset0:28 offset1:29
	;; [unrolled: 1-line block ×3, first 2 shown]
	ds_read_b32 v172, v29 offset:128
	ds_read_b32 v173, v31 offset:256
	;; [unrolled: 1-line block ×3, first 2 shown]
	s_waitcnt lgkmcnt(6)
	v_dot4_i32_i8 v145, v145, v129, 0
	v_dot4_i32_i8 v163, v146, v130, v145
	v_add_u32_e32 v145, 0x2088, v25
	ds_read2_b32 v[145:146], v145 offset1:1
	v_add_u32_e32 v159, 0x2098, v25
	v_add_u32_e32 v161, 0x20a0, v25
	ds_read2_b32 v[157:158], v157 offset1:1
	ds_read2_b32 v[159:160], v159 offset1:1
	;; [unrolled: 1-line block ×3, first 2 shown]
	v_cvt_f32_ubyte0_e32 v168, v148
	s_waitcnt lgkmcnt(3)
	v_dot4_i32_i8 v145, v145, v131, v163
	v_dot4_i32_i8 v163, v146, v132, v145
	s_waitcnt lgkmcnt(2)
	v_dot4_i32_i8 v157, v157, v133, v163
	v_dot4_i32_i8 v157, v158, v134, v157
	;; [unrolled: 3-line block ×4, first 2 shown]
	v_add_u32_e32 v157, 0x20a8, v25
	ds_read2_b32 v[157:158], v157 offset1:1
	v_add_u32_e32 v159, 0x20b0, v25
	v_add_u32_e32 v161, 0x20b8, v25
	;; [unrolled: 1-line block ×3, first 2 shown]
	ds_read2_b32 v[145:146], v28 offset1:2
	ds_read2_b32 v[159:160], v159 offset1:1
	;; [unrolled: 1-line block ×4, first 2 shown]
	s_waitcnt lgkmcnt(4)
	v_dot4_i32_i8 v157, v157, v139, v165
	v_dot4_i32_i8 v157, v158, v140, v157
	s_waitcnt lgkmcnt(2)
	v_dot4_i32_i8 v157, v159, v141, v157
	v_dot4_i32_i8 v157, v160, v142, v157
	;; [unrolled: 3-line block ×4, first 2 shown]
	v_add_u32_e32 v157, 0x4108, v25
	ds_read2_b32 v[157:158], v157 offset1:1
	v_add_u32_e32 v159, 0x4110, v25
	v_add_u32_e32 v161, 0x4118, v25
	;; [unrolled: 1-line block ×3, first 2 shown]
	ds_read2_b32 v[159:160], v159 offset1:1
	ds_read2_b32 v[161:162], v161 offset1:1
	;; [unrolled: 1-line block ×3, first 2 shown]
	s_waitcnt lgkmcnt(3)
	v_dot4_i32_i8 v157, v157, v131, v165
	v_dot4_i32_i8 v165, v158, v132, v157
	s_waitcnt lgkmcnt(2)
	v_dot4_i32_i8 v159, v159, v133, v165
	v_dot4_i32_i8 v159, v160, v134, v159
	;; [unrolled: 3-line block ×4, first 2 shown]
	v_add_u32_e32 v159, 0x4128, v25
	v_add_u32_e32 v161, 0x4130, v25
	;; [unrolled: 1-line block ×4, first 2 shown]
	ds_read2_b32 v[157:158], v30 offset1:2
	ds_read2_b32 v[159:160], v159 offset1:1
	;; [unrolled: 1-line block ×5, first 2 shown]
	v_cvt_f32_ubyte1_e32 v170, v148
	v_cvt_f32_f16_sdwa v171, v128 dst_sel:DWORD dst_unused:UNUSED_PAD src0_sel:WORD_1
	v_cvt_f32_ubyte0_e32 v176, v146
	s_waitcnt lgkmcnt(3)
	v_dot4_i32_i8 v159, v159, v139, v182
	s_waitcnt lgkmcnt(0)
	v_dot4_i32_i8 v129, v165, v129, 0
	v_dot4_i32_i8 v159, v160, v140, v159
	;; [unrolled: 1-line block ×3, first 2 shown]
	v_add_u32_e32 v129, 0x6188, v25
	v_dot4_i32_i8 v159, v161, v141, v159
	ds_read2_b32 v[129:130], v129 offset1:1
	v_dot4_i32_i8 v159, v162, v142, v159
	v_dot4_i32_i8 v159, v163, v143, v159
	;; [unrolled: 1-line block ×3, first 2 shown]
	v_add_u32_e32 v159, 0x6190, v25
	v_add_u32_e32 v161, 0x6198, v25
	;; [unrolled: 1-line block ×3, first 2 shown]
	ds_read2_b32 v[159:160], v159 offset1:1
	ds_read2_b32 v[161:162], v161 offset1:1
	;; [unrolled: 1-line block ×3, first 2 shown]
	s_waitcnt lgkmcnt(3)
	v_dot4_i32_i8 v129, v129, v131, v165
	v_dot4_i32_i8 v129, v130, v132, v129
	s_waitcnt lgkmcnt(2)
	v_dot4_i32_i8 v129, v159, v133, v129
	v_dot4_i32_i8 v129, v160, v134, v129
	;; [unrolled: 3-line block ×4, first 2 shown]
	v_add_u32_e32 v129, 0x61a8, v25
	ds_read2_b32 v[129:130], v129 offset1:1
	v_add_u32_e32 v131, 0x61b0, v25
	v_add_u32_e32 v133, 0x61b8, v25
	ds_read2_b32 v[165:166], v32 offset1:2
	v_add_u32_e32 v138, 0x20c0, v25
	ds_read2_b32 v[131:132], v131 offset1:1
	ds_read2_b32 v[133:134], v133 offset1:1
	;; [unrolled: 1-line block ×3, first 2 shown]
	s_waitcnt lgkmcnt(4)
	v_dot4_i32_i8 v129, v129, v139, v137
	v_dot4_i32_i8 v129, v130, v140, v129
	v_and_b32_e32 v130, 0xff, v147
	s_waitcnt lgkmcnt(2)
	v_dot4_i32_i8 v129, v131, v141, v129
	v_bfe_u32 v131, v147, 8, 8
	v_mul_lo_u32 v130, v167, v130
	v_mul_lo_u32 v131, v169, v131
	v_dot4_i32_i8 v129, v132, v142, v129
	v_fma_mix_f32 v132, v1, v168, 0 op_sel:[1,0,0] op_sel_hi:[1,0,0]
	v_cvt_f32_i32_e32 v130, v130
	v_cvt_f32_i32_e32 v131, v131
	s_waitcnt lgkmcnt(1)
	v_dot4_i32_i8 v129, v133, v143, v129
	v_bfe_u32 v133, v145, 8, 8
	v_fma_mix_f32 v130, v1, v130, 0 op_sel_hi:[1,0,0]
	v_fma_mix_f32 v130, v2, v131, v130 op_sel_hi:[1,0,0]
	v_fma_mix_f32 v131, v2, v170, v132 op_sel:[1,0,0] op_sel_hi:[1,0,0]
	v_and_b32_e32 v132, 0xff, v145
	v_mul_lo_u32 v132, v175, v132
	v_mul_lo_u32 v133, v177, v133
	v_mul_f32_e32 v131, v131, v171
	v_fma_mix_f32 v130, v130, v128, -v131 op_sel_hi:[0,1,0]
	v_add_f32_e32 v82, v82, v130
	v_cvt_f32_i32_e32 v130, v132
	v_cvt_f32_i32_e32 v131, v133
	v_cvt_f32_ubyte1_e32 v178, v146
	v_cvt_f32_f16_sdwa v179, v172 dst_sel:DWORD dst_unused:UNUSED_PAD src0_sel:WORD_1
	v_fma_mix_f32 v132, v1, v176, 0 op_sel:[1,0,0] op_sel_hi:[1,0,0]
	v_fma_mix_f32 v130, v1, v130, 0 op_sel_hi:[1,0,0]
	v_fma_mix_f32 v130, v2, v131, v130 op_sel_hi:[1,0,0]
	v_fma_mix_f32 v131, v2, v178, v132 op_sel:[1,0,0] op_sel_hi:[1,0,0]
	v_and_b32_e32 v132, 0xff, v157
	v_bfe_u32 v133, v157, 8, 8
	v_mul_lo_u32 v132, v180, v132
	v_mul_lo_u32 v133, v182, v133
	v_mul_f32_e32 v131, v131, v179
	v_fma_mix_f32 v130, v130, v172, -v131 op_sel_hi:[0,1,0]
	v_add_f32_e32 v167, v127, v130
	v_cvt_f32_i32_e32 v127, v132
	v_cvt_f32_i32_e32 v130, v133
	v_cvt_f32_f16_sdwa v184, v173 dst_sel:DWORD dst_unused:UNUSED_PAD src0_sel:WORD_1
	v_cvt_f32_ubyte0_e32 v181, v158
	v_cvt_f32_ubyte1_e32 v183, v158
	v_fma_mix_f32 v131, v1, v181, 0 op_sel:[1,0,0] op_sel_hi:[1,0,0]
	v_fma_mix_f32 v127, v1, v127, 0 op_sel_hi:[1,0,0]
	v_fma_mix_f32 v127, v2, v130, v127 op_sel_hi:[1,0,0]
	v_fma_mix_f32 v130, v2, v183, v131 op_sel:[1,0,0] op_sel_hi:[1,0,0]
	v_mul_f32_e32 v130, v130, v184
	v_and_b32_e32 v131, 0xff, v165
	v_dot4_i32_i8 v129, v134, v144, v129
	v_mul_lo_u32 v131, v135, v131
	v_fma_mix_f32 v127, v127, v173, -v130 op_sel_hi:[0,1,0]
	v_bfe_u32 v130, v165, 8, 8
	v_mul_lo_u32 v129, v129, v130
	v_cvt_f32_i32_e32 v130, v131
	v_add_f32_e32 v169, v126, v127
	v_cvt_f32_f16_sdwa v175, v174 dst_sel:DWORD dst_unused:UNUSED_PAD src0_sel:WORD_1
	v_cvt_f32_i32_e32 v126, v129
	v_cvt_f32_ubyte0_e32 v136, v166
	v_fma_mix_f32 v127, v1, v130, 0 op_sel_hi:[1,0,0]
	v_fma_mix_f32 v1, v1, v136, 0 op_sel:[1,0,0] op_sel_hi:[1,0,0]
	v_fma_mix_f32 v126, v2, v126, v127 op_sel_hi:[1,0,0]
	v_cvt_f32_ubyte1_e32 v127, v166
	v_fma_mix_f32 v1, v2, v127, v1 op_sel:[1,0,0] op_sel_hi:[1,0,0]
	v_mul_f32_e32 v1, v1, v175
	ds_read_b128 v[129:132], v20 offset:64
	v_fma_mix_f32 v1, v126, v174, -v1 op_sel_hi:[0,1,0]
	v_add_f32_e32 v9, v9, v1
	ds_read_b128 v[133:136], v20 offset:80
	ds_read_b128 v[137:140], v20 offset:96
	;; [unrolled: 1-line block ×3, first 2 shown]
	ds_read2_b32 v[1:2], v25 offset0:18 offset1:19
	s_waitcnt lgkmcnt(4)
	v_dot4_i32_i8 v126, v153, v129, 0
	v_dot4_i32_i8 v176, v154, v130, v126
	ds_read2_b32 v[126:127], v25 offset0:20 offset1:21
	ds_read2_b32 v[153:154], v25 offset0:22 offset1:23
	;; [unrolled: 1-line block ×3, first 2 shown]
	v_lshrrev_b32_e32 v163, 24, v147
	s_waitcnt lgkmcnt(3)
	v_dot4_i32_i8 v1, v1, v131, v176
	v_dot4_i32_i8 v1, v2, v132, v1
	s_waitcnt lgkmcnt(2)
	v_dot4_i32_i8 v1, v126, v133, v1
	v_dot4_i32_i8 v1, v127, v134, v1
	;; [unrolled: 3-line block ×4, first 2 shown]
	v_dot4_i32_i8 v1, v149, v139, v1
	v_dot4_i32_i8 v1, v150, v140, v1
	;; [unrolled: 1-line block ×8, first 2 shown]
	v_add_u32_e32 v1, 0x20c8, v25
	ds_read2_b32 v[1:2], v1 offset1:1
	v_cvt_f32_ubyte2_e32 v154, v148
	v_cvt_f32_ubyte3_e32 v155, v148
	v_add_u32_e32 v126, 0x20d0, v25
	v_add_u32_e32 v148, 0x20d8, v25
	v_add_u32_e32 v150, 0x20e0, v25
	ds_read2_b32 v[126:127], v126 offset1:1
	ds_read2_b32 v[148:149], v148 offset1:1
	ds_read2_b32 v[150:151], v150 offset1:1
	s_waitcnt lgkmcnt(3)
	v_dot4_i32_i8 v1, v1, v131, v156
	v_dot4_i32_i8 v1, v2, v132, v1
	s_waitcnt lgkmcnt(2)
	v_dot4_i32_i8 v1, v126, v133, v1
	v_dot4_i32_i8 v1, v127, v134, v1
	s_waitcnt lgkmcnt(1)
	v_dot4_i32_i8 v1, v148, v135, v1
	v_dot4_i32_i8 v156, v149, v136, v1
	s_waitcnt lgkmcnt(0)
	v_dot4_i32_i8 v1, v150, v137, 0
	v_dot4_i32_i8 v160, v151, v138, v1
	v_add_u32_e32 v1, 0x20e8, v25
	ds_read2_b32 v[1:2], v1 offset1:1
	v_add_u32_e32 v126, 0x20f0, v25
	v_add_u32_e32 v148, 0x20f8, v25
	v_add_u32_e32 v150, 0x4140, v25
	ds_read2_b32 v[126:127], v126 offset1:1
	ds_read2_b32 v[148:149], v148 offset1:1
	ds_read2_b32 v[150:151], v150 offset1:1
	s_waitcnt lgkmcnt(3)
	v_dot4_i32_i8 v1, v1, v139, v160
	v_dot4_i32_i8 v1, v2, v140, v1
	s_waitcnt lgkmcnt(2)
	v_dot4_i32_i8 v1, v126, v141, v1
	v_dot4_i32_i8 v1, v127, v142, v1
	s_waitcnt lgkmcnt(1)
	v_dot4_i32_i8 v1, v148, v143, v1
	v_dot4_i32_i8 v160, v149, v144, v1
	s_waitcnt lgkmcnt(0)
	v_dot4_i32_i8 v1, v150, v129, 0
	v_dot4_i32_i8 v161, v151, v130, v1
	v_add_u32_e32 v1, 0x4148, v25
	ds_read2_b32 v[1:2], v1 offset1:1
	;; [unrolled: 20-line block ×5, first 2 shown]
	v_add_u32_e32 v126, 0x61f0, v25
	ds_read2_b32 v[126:127], v126 offset1:1
	v_add_u32_e32 v129, 0x61f8, v25
	ds_read2_b32 v[129:130], v129 offset1:1
	s_waitcnt lgkmcnt(2)
	v_dot4_i32_i8 v1, v1, v139, v133
	v_dot4_i32_i8 v1, v2, v140, v1
	v_bfe_u32 v2, v147, 16, 8
	v_mul_lo_u32 v2, v153, v2
	s_waitcnt lgkmcnt(1)
	v_dot4_i32_i8 v1, v126, v141, v1
	v_mul_lo_u32 v126, v152, v163
	v_dot4_i32_i8 v1, v127, v142, v1
	v_cvt_f32_i32_e32 v2, v2
	v_fma_mix_f32 v127, v3, v154, 0 op_sel:[1,0,0] op_sel_hi:[1,0,0]
	v_cvt_f32_i32_e32 v126, v126
	v_lshrrev_b32_e32 v164, 24, v145
	v_fma_mix_f32 v2, v3, v2, 0 op_sel_hi:[1,0,0]
	s_waitcnt lgkmcnt(0)
	v_dot4_i32_i8 v1, v129, v143, v1
	v_fma_mix_f32 v2, v4, v126, v2 op_sel_hi:[1,0,0]
	v_fma_mix_f32 v126, v4, v155, v127 op_sel:[1,0,0] op_sel_hi:[1,0,0]
	v_bfe_u32 v127, v145, 16, 8
	v_mul_lo_u32 v127, v156, v127
	v_mul_lo_u32 v129, v160, v164
	v_mul_f32_e32 v126, v126, v171
	v_fma_mix_f32 v2, v2, v128, -v126 op_sel_hi:[0,1,0]
	v_cvt_f32_i32_e32 v126, v127
	v_cvt_f32_i32_e32 v127, v129
	v_lshrrev_b32_e32 v168, 24, v157
	v_cvt_f32_ubyte2_e32 v159, v146
	v_fma_mix_f32 v126, v3, v126, 0 op_sel_hi:[1,0,0]
	v_fma_mix_f32 v126, v4, v127, v126 op_sel_hi:[1,0,0]
	v_bfe_u32 v127, v157, 16, 8
	v_mul_lo_u32 v127, v161, v127
	v_cvt_f32_ubyte3_e32 v146, v146
	v_add_f32_e32 v82, v82, v2
	v_fma_mix_f32 v2, v3, v159, 0 op_sel:[1,0,0] op_sel_hi:[1,0,0]
	v_mul_lo_u32 v128, v176, v168
	v_fma_mix_f32 v2, v4, v146, v2 op_sel:[1,0,0] op_sel_hi:[1,0,0]
	v_mul_f32_e32 v2, v2, v179
	v_fma_mix_f32 v2, v126, v172, -v2 op_sel_hi:[0,1,0]
	v_cvt_f32_i32_e32 v126, v127
	v_cvt_f32_i32_e32 v128, v128
	v_lshrrev_b32_e32 v170, 24, v165
	v_dot4_i32_i8 v1, v130, v144, v1
	v_fma_mix_f32 v126, v3, v126, 0 op_sel_hi:[1,0,0]
	v_fma_mix_f32 v126, v4, v128, v126 op_sel_hi:[1,0,0]
	v_bfe_u32 v128, v165, 16, 8
	v_mul_lo_u32 v128, v131, v128
	v_mul_lo_u32 v1, v1, v170
	v_cvt_f32_ubyte2_e32 v162, v158
	v_cvt_f32_ubyte3_e32 v158, v158
	v_add_f32_e32 v127, v167, v2
	v_fma_mix_f32 v2, v3, v162, 0 op_sel:[1,0,0] op_sel_hi:[1,0,0]
	v_cvt_f32_i32_e32 v128, v128
	v_fma_mix_f32 v2, v4, v158, v2 op_sel:[1,0,0] op_sel_hi:[1,0,0]
	v_cvt_f32_i32_e32 v1, v1
	v_mul_f32_e32 v2, v2, v184
	v_fma_mix_f32 v2, v126, v173, -v2 op_sel_hi:[0,1,0]
	v_cvt_f32_ubyte2_e32 v132, v166
	v_add_f32_e32 v126, v169, v2
	v_fma_mix_f32 v2, v3, v128, 0 op_sel_hi:[1,0,0]
	v_fma_mix_f32 v3, v3, v132, 0 op_sel:[1,0,0] op_sel_hi:[1,0,0]
	v_fma_mix_f32 v1, v4, v1, v2 op_sel_hi:[1,0,0]
	v_cvt_f32_ubyte3_e32 v2, v166
	v_fma_mix_f32 v2, v4, v2, v3 op_sel:[1,0,0] op_sel_hi:[1,0,0]
	v_mul_f32_e32 v2, v2, v175
	v_fma_mix_f32 v1, v1, v174, -v2 op_sel_hi:[0,1,0]
	v_add_f32_e32 v9, v9, v1
	s_cmp_ge_i32 s12, s19
	s_barrier
	s_cbranch_scc1 .LBB193_5
; %bb.12:                               ;   in Loop: Header=BB193_6 Depth=1
	v_cmp_gt_i32_e32 vcc, s9, v27
	s_and_b64 s[24:25], s[2:3], vcc
	s_and_saveexec_b64 s[4:5], s[24:25]
	s_cbranch_execz .LBB193_14
; %bb.13:                               ;   in Loop: Header=BB193_6 Depth=1
	v_add_u32_e32 v1, v34, v27
	v_mad_i64_i32 v[1:2], s[24:25], v1, 36, v[5:6]
	global_load_dword v1, v[1:2], off offset:4
	s_waitcnt vmcnt(0)
	ds_write_b32 v21, v1
.LBB193_14:                             ;   in Loop: Header=BB193_6 Depth=1
	s_or_b64 exec, exec, s[4:5]
	s_and_saveexec_b64 s[4:5], s[0:1]
	s_cbranch_execz .LBB193_4
; %bb.15:                               ;   in Loop: Header=BB193_6 Depth=1
	v_add_u32_e32 v1, 4, v125
	v_cmp_gt_i32_e32 vcc, s9, v1
	s_and_b64 s[24:25], s[2:3], vcc
	s_and_b64 exec, exec, s[24:25]
	s_cbranch_execz .LBB193_4
; %bb.16:                               ;   in Loop: Header=BB193_6 Depth=1
	v_ashrrev_i32_e32 v1, 31, v125
	v_add_co_u32_e32 v2, vcc, v34, v125
	v_addc_co_u32_e32 v3, vcc, v35, v1, vcc
	v_mad_u64_u32 v[1:2], s[24:25], v2, 36, s[14:15]
	v_mad_i32_i24 v2, v3, 36, v2
	global_load_dword v1, v[1:2], off offset:144
	v_add_u32_e32 v2, v19, v22
	s_waitcnt vmcnt(0)
	ds_write_b32 v2, v1
	s_branch .LBB193_4
.LBB193_17:
	s_mul_i32 s0, s11, s8
	s_waitcnt vmcnt(0)
	v_cmp_gt_i32_e32 vcc, s0, v10
	s_and_saveexec_b64 s[0:1], vcc
	s_cbranch_execz .LBB193_26
; %bb.18:
	v_mul_lo_u32 v1, v10, s10
	v_add_u32_e32 v0, s22, v0
	v_cmp_gt_u32_e32 vcc, s10, v0
	s_and_saveexec_b64 s[0:1], vcc
	s_cbranch_execz .LBB193_20
; %bb.19:
	v_add_u32_e32 v2, v1, v0
	v_mov_b32_e32 v3, 0
	v_lshlrev_b64 v[2:3], 2, v[2:3]
	v_mov_b32_e32 v4, s17
	v_add_co_u32_e32 v2, vcc, s16, v2
	v_addc_co_u32_e32 v3, vcc, v4, v3, vcc
	global_store_dword v[2:3], v82, off
.LBB193_20:
	s_or_b64 exec, exec, s[0:1]
	v_add_u32_e32 v2, 32, v0
	v_cmp_gt_u32_e32 vcc, s10, v2
	s_and_saveexec_b64 s[0:1], vcc
	s_cbranch_execz .LBB193_22
; %bb.21:
	v_add_u32_e32 v2, v1, v2
	v_mov_b32_e32 v3, 0
	v_lshlrev_b64 v[2:3], 2, v[2:3]
	v_mov_b32_e32 v4, s17
	v_add_co_u32_e32 v2, vcc, s16, v2
	v_addc_co_u32_e32 v3, vcc, v4, v3, vcc
	global_store_dword v[2:3], v127, off
.LBB193_22:
	s_or_b64 exec, exec, s[0:1]
	;; [unrolled: 14-line block ×3, first 2 shown]
	v_add_u32_e32 v0, 0x60, v0
	v_cmp_gt_u32_e32 vcc, s10, v0
	s_and_b64 exec, exec, vcc
	s_cbranch_execz .LBB193_26
; %bb.25:
	v_add_u32_e32 v0, v1, v0
	v_mov_b32_e32 v1, 0
	v_lshlrev_b64 v[0:1], 2, v[0:1]
	v_mov_b32_e32 v2, s17
	v_add_co_u32_e32 v0, vcc, s16, v0
	v_addc_co_u32_e32 v1, vcc, v2, v1, vcc
	global_store_dword v[0:1], v9, off
.LBB193_26:
	s_endpgm
	.section	.rodata,"a",@progbits
	.p2align	6, 0x0
	.amdhsa_kernel _ZL8moe_q5_KIfLb0EEvPKvS1_PT_PKiS5_S5_iiiiiii
		.amdhsa_group_segment_fixed_size 37072
		.amdhsa_private_segment_fixed_size 0
		.amdhsa_kernarg_size 76
		.amdhsa_user_sgpr_count 6
		.amdhsa_user_sgpr_private_segment_buffer 1
		.amdhsa_user_sgpr_dispatch_ptr 0
		.amdhsa_user_sgpr_queue_ptr 0
		.amdhsa_user_sgpr_kernarg_segment_ptr 1
		.amdhsa_user_sgpr_dispatch_id 0
		.amdhsa_user_sgpr_flat_scratch_init 0
		.amdhsa_user_sgpr_private_segment_size 0
		.amdhsa_uses_dynamic_stack 0
		.amdhsa_system_sgpr_private_segment_wavefront_offset 0
		.amdhsa_system_sgpr_workgroup_id_x 1
		.amdhsa_system_sgpr_workgroup_id_y 1
		.amdhsa_system_sgpr_workgroup_id_z 0
		.amdhsa_system_sgpr_workgroup_info 0
		.amdhsa_system_vgpr_workitem_id 1
		.amdhsa_next_free_vgpr 185
		.amdhsa_next_free_sgpr 98
		.amdhsa_reserve_vcc 1
		.amdhsa_reserve_flat_scratch 0
		.amdhsa_float_round_mode_32 0
		.amdhsa_float_round_mode_16_64 0
		.amdhsa_float_denorm_mode_32 3
		.amdhsa_float_denorm_mode_16_64 3
		.amdhsa_dx10_clamp 1
		.amdhsa_ieee_mode 1
		.amdhsa_fp16_overflow 0
		.amdhsa_exception_fp_ieee_invalid_op 0
		.amdhsa_exception_fp_denorm_src 0
		.amdhsa_exception_fp_ieee_div_zero 0
		.amdhsa_exception_fp_ieee_overflow 0
		.amdhsa_exception_fp_ieee_underflow 0
		.amdhsa_exception_fp_ieee_inexact 0
		.amdhsa_exception_int_div_zero 0
	.end_amdhsa_kernel
	.section	.text._ZL8moe_q5_KIfLb0EEvPKvS1_PT_PKiS5_S5_iiiiiii,"axG",@progbits,_ZL8moe_q5_KIfLb0EEvPKvS1_PT_PKiS5_S5_iiiiiii,comdat
.Lfunc_end193:
	.size	_ZL8moe_q5_KIfLb0EEvPKvS1_PT_PKiS5_S5_iiiiiii, .Lfunc_end193-_ZL8moe_q5_KIfLb0EEvPKvS1_PT_PKiS5_S5_iiiiiii
                                        ; -- End function
	.set _ZL8moe_q5_KIfLb0EEvPKvS1_PT_PKiS5_S5_iiiiiii.num_vgpr, 185
	.set _ZL8moe_q5_KIfLb0EEvPKvS1_PT_PKiS5_S5_iiiiiii.num_agpr, 0
	.set _ZL8moe_q5_KIfLb0EEvPKvS1_PT_PKiS5_S5_iiiiiii.numbered_sgpr, 26
	.set _ZL8moe_q5_KIfLb0EEvPKvS1_PT_PKiS5_S5_iiiiiii.num_named_barrier, 0
	.set _ZL8moe_q5_KIfLb0EEvPKvS1_PT_PKiS5_S5_iiiiiii.private_seg_size, 0
	.set _ZL8moe_q5_KIfLb0EEvPKvS1_PT_PKiS5_S5_iiiiiii.uses_vcc, 1
	.set _ZL8moe_q5_KIfLb0EEvPKvS1_PT_PKiS5_S5_iiiiiii.uses_flat_scratch, 0
	.set _ZL8moe_q5_KIfLb0EEvPKvS1_PT_PKiS5_S5_iiiiiii.has_dyn_sized_stack, 0
	.set _ZL8moe_q5_KIfLb0EEvPKvS1_PT_PKiS5_S5_iiiiiii.has_recursion, 0
	.set _ZL8moe_q5_KIfLb0EEvPKvS1_PT_PKiS5_S5_iiiiiii.has_indirect_call, 0
	.section	.AMDGPU.csdata,"",@progbits
; Kernel info:
; codeLenInByte = 12052
; TotalNumSgprs: 30
; NumVgprs: 185
; ScratchSize: 0
; MemoryBound: 0
; FloatMode: 240
; IeeeMode: 1
; LDSByteSize: 37072 bytes/workgroup (compile time only)
; SGPRBlocks: 12
; VGPRBlocks: 46
; NumSGPRsForWavesPerEU: 102
; NumVGPRsForWavesPerEU: 185
; Occupancy: 1
; WaveLimiterHint : 1
; COMPUTE_PGM_RSRC2:SCRATCH_EN: 0
; COMPUTE_PGM_RSRC2:USER_SGPR: 6
; COMPUTE_PGM_RSRC2:TRAP_HANDLER: 0
; COMPUTE_PGM_RSRC2:TGID_X_EN: 1
; COMPUTE_PGM_RSRC2:TGID_Y_EN: 1
; COMPUTE_PGM_RSRC2:TGID_Z_EN: 0
; COMPUTE_PGM_RSRC2:TIDIG_COMP_CNT: 1
	.section	.text._ZL8moe_q5_KIfLb1EEvPKvS1_PT_PKiS5_S5_iiiiiii,"axG",@progbits,_ZL8moe_q5_KIfLb1EEvPKvS1_PT_PKiS5_S5_iiiiiii,comdat
	.globl	_ZL8moe_q5_KIfLb1EEvPKvS1_PT_PKiS5_S5_iiiiiii ; -- Begin function _ZL8moe_q5_KIfLb1EEvPKvS1_PT_PKiS5_S5_iiiiiii
	.p2align	8
	.type	_ZL8moe_q5_KIfLb1EEvPKvS1_PT_PKiS5_S5_iiiiiii,@function
_ZL8moe_q5_KIfLb1EEvPKvS1_PT_PKiS5_S5_iiiiiii: ; @_ZL8moe_q5_KIfLb1EEvPKvS1_PT_PKiS5_S5_iiiiiii
; %bb.0:
	s_load_dwordx4 s[0:3], s[4:5], 0x18
	s_mov_b32 s8, s7
	s_mov_b32 s9, 0
	s_lshl_b64 s[10:11], s[8:9], 2
	s_waitcnt lgkmcnt(0)
	s_add_u32 s2, s2, s10
	s_addc_u32 s3, s3, s11
	s_load_dword s2, s[2:3], 0x0
	s_waitcnt lgkmcnt(0)
	s_cmpk_gt_u32 s2, 0xff
	s_cbranch_scc1 .LBB194_26
; %bb.1:
	s_load_dwordx2 s[10:11], s[4:5], 0x28
	s_lshl_b32 s3, s8, 3
	s_waitcnt lgkmcnt(0)
	s_load_dword s7, s[10:11], 0x0
	s_waitcnt lgkmcnt(0)
	s_cmp_gt_u32 s3, s7
	s_cbranch_scc1 .LBB194_26
; %bb.2:
	v_add_u32_e32 v24, s3, v1
	v_mov_b32_e32 v25, 0
	v_lshlrev_b64 v[2:3], 2, v[24:25]
	v_mov_b32_e32 v4, s1
	v_add_co_u32_e32 v2, vcc, s0, v2
	v_addc_co_u32_e32 v3, vcc, v4, v3, vcc
	global_load_dword v26, v[2:3], off
	s_load_dwordx8 s[8:15], s[4:5], 0x30
	s_load_dwordx2 s[20:21], s[4:5], 0x10
	s_waitcnt lgkmcnt(0)
	s_lshl_b32 s15, s6, 7
	v_mov_b32_e32 v125, v25
	v_mov_b32_e32 v126, v25
	s_cmpk_lt_i32 s9, 0x100
	v_mov_b32_e32 v85, v25
	s_cbranch_scc1 .LBB194_17
; %bb.3:
	s_ashr_i32 s0, s9, 31
	s_lshr_b32 s0, s0, 24
	s_add_i32 s0, s9, s0
	s_ashr_i32 s24, s0, 8
	s_ashr_i32 s0, s12, 31
	s_lshr_b32 s0, s0, 27
	s_add_i32 s0, s12, s0
	s_ashr_i32 s12, s0, 5
	s_not_b32 s0, s15
	v_lshlrev_b32_e32 v4, 1, v0
	v_and_b32_e32 v5, 7, v0
	s_mul_i32 s8, s2, s8
	s_add_i32 s2, s10, s0
	v_and_or_b32 v4, v4, 48, v5
	v_min_i32_e32 v5, s2, v1
	v_lshlrev_b32_e32 v4, 2, v4
	s_movk_i32 s3, 0x104
	v_mul_lo_u32 v48, v5, s24
	v_mad_u64_u32 v[5:6], s[0:1], v5, s3, v[4:5]
	v_add_u32_e32 v6, 8, v1
	v_min_i32_e32 v6, s2, v6
	v_mul_lo_u32 v53, v6, s24
	v_mad_u64_u32 v[6:7], s[0:1], v6, s3, v[4:5]
	v_add_u32_e32 v7, 16, v1
	v_min_i32_e32 v7, s2, v7
	;; [unrolled: 4-line block ×15, first 2 shown]
	v_mul_lo_u32 v112, v20, s24
	v_mad_u64_u32 v[20:21], s[0:1], v20, s3, v[4:5]
	v_lshl_add_u32 v4, v1, 5, v0
	v_and_b32_e32 v4, 0x7f, v4
	v_min_i32_e32 v4, s2, v4
	v_ashrrev_i32_e32 v21, 31, v4
	v_lshrrev_b32_e32 v21, 27, v21
	v_add_u32_e32 v21, v4, v21
	v_ashrrev_i32_e32 v21, 5, v21
	v_mul_lo_u32 v23, v4, s24
	v_lshlrev_b32_e32 v21, 2, v21
	v_lshlrev_b32_e32 v4, 2, v4
	s_mov_b32 s3, 0x8e40
	v_lshrrev_b32_e32 v25, 2, v0
	v_add3_u32 v29, v21, v4, s3
	v_and_b32_e32 v21, 3, v0
	v_and_b32_e32 v27, 6, v25
	v_lshl_add_u32 v4, v1, 3, v25
	v_add_u32_e32 v25, 0xfe, v21
	v_and_b32_e32 v25, 0xff, v25
	v_cmp_gt_u32_e32 vcc, 2, v21
	v_cndmask_b32_e32 v25, v25, v21, vcc
	v_cmp_ne_u32_e32 vcc, 0, v21
	v_and_b32_e32 v32, 0x7f, v4
	v_addc_co_u32_e32 v116, vcc, 0, v25, vcc
	v_lshlrev_b32_e32 v31, 1, v25
	v_min_i32_e32 v25, s2, v32
	v_xor_b32_e32 v32, 64, v32
	v_min_i32_e32 v32, s2, v32
	v_ashrrev_i32_e32 v33, 31, v32
	v_ashrrev_i32_e32 v4, 31, v25
	v_lshrrev_b32_e32 v33, 29, v33
	s_load_dwordx4 s[16:19], s[4:5], 0x0
	v_lshrrev_b32_e32 v4, 29, v4
	v_add_u32_e32 v33, v32, v33
	s_abs_i32 s5, s14
	v_add_u32_e32 v4, v25, v4
	v_ashrrev_i32_e32 v33, 3, v33
	v_cvt_f32_u32_e32 v42, s5
	v_cmp_lt_u32_e32 vcc, 1, v21
	v_ashrrev_i32_e32 v4, 3, v4
	v_lshlrev_b32_e32 v21, 2, v21
	s_mov_b32 s0, 0x8200
	v_lshlrev_b32_e32 v33, 2, v33
	v_lshlrev_b32_e32 v4, 2, v4
	v_add3_u32 v123, v33, v21, s0
	v_mov_b32_e32 v33, 0x8a40
	v_lshlrev_b32_e32 v22, 2, v0
	v_add3_u32 v4, v4, v21, s0
	v_and_b32_e32 v21, 31, v0
	v_lshl_add_u32 v33, v1, 7, v33
	v_lshrrev_b32_e32 v36, 3, v0
	v_lshrrev_b32_e32 v24, 5, v0
	v_lshl_add_u32 v34, v21, 2, v33
	v_lshlrev_b32_e32 v35, 4, v1
	v_add_u32_e32 v1, v36, v22
	v_mov_b32_e32 v21, 0x8200
	v_rcp_iflag_f32_e32 v43, v42
	v_lshl_add_u32 v37, v1, 2, v21
	v_lshlrev_b32_e32 v1, 2, v24
	v_add3_u32 v39, v22, v1, s3
	v_add_u32_e32 v1, 32, v0
	v_lshrrev_b32_e32 v40, 3, v1
	v_lshl_add_u32 v1, v1, 2, v40
	v_mul_f32_e32 v43, 0x4f7ffffe, v43
	v_lshl_add_u32 v41, v1, 2, v21
	v_and_b32_e32 v1, 60, v40
	v_cvt_u32_f32_e32 v45, v43
	v_add3_u32 v42, v22, v1, s3
	v_add_u32_e32 v1, 64, v0
	v_lshrrev_b32_e32 v44, 3, v1
	v_lshl_add_u32 v1, v1, 2, v44
	s_sub_i32 s2, 0, s5
	v_lshl_add_u32 v43, v1, 2, v21
	v_mul_lo_u32 v1, s2, v45
	s_waitcnt vmcnt(0)
	v_sub_u32_e32 v49, 0, v26
	v_max_i32_e32 v49, v26, v49
	v_add_u32_e32 v46, 0x60, v0
	v_mul_hi_u32 v1, v45, v1
	v_lshrrev_b32_e32 v47, 3, v46
	v_and_b32_e32 v44, 60, v44
	v_and_b32_e32 v2, 0x7c, v22
	v_add_u32_e32 v1, v45, v1
	v_mul_hi_u32 v1, v49, v1
	v_lshl_add_u32 v45, v46, 2, v47
	v_lshl_add_u32 v45, v45, 2, v21
	v_and_b32_e32 v21, 60, v47
	v_mul_lo_u32 v47, v1, s5
	v_and_b32_e32 v3, 28, v22
	v_and_b32_e32 v30, 4, v22
	v_mul_lo_u32 v117, v32, s24
	v_lshlrev_b32_e32 v124, 4, v32
	v_add_u32_e32 v32, 0x9050, v22
	v_add3_u32 v44, v22, v44, s3
	v_add3_u32 v46, v22, v21, s3
	v_sub_u32_e32 v22, v49, v47
	v_add_u32_e32 v47, 1, v1
	v_cmp_le_u32_e64 s[2:3], s5, v22
	v_cndmask_b32_e64 v1, v1, v47, s[2:3]
	v_subrev_u32_e32 v47, s5, v22
	v_cndmask_b32_e64 v22, v22, v47, s[2:3]
	v_xor_b32_e32 v21, s14, v26
	v_add_u32_e32 v47, 1, v1
	v_cmp_le_u32_e64 s[2:3], s5, v22
	s_mul_i32 s4, s24, s15
	v_ashrrev_i32_e32 v21, 31, v21
	v_cndmask_b32_e64 v1, v1, v47, s[2:3]
	v_xor_b32_e32 v1, v1, v21
	s_mul_i32 s22, s4, 0xb0
	v_sub_u32_e32 v1, v1, v21
	s_mul_hi_i32 s23, s4, 0xb0
	v_mov_b32_e32 v21, s22
	s_movk_i32 s10, 0xb0
	v_mov_b32_e32 v22, s23
	v_mad_u64_u32 v[108:109], s[4:5], v24, s10, v[21:22]
	s_waitcnt lgkmcnt(0)
	v_mov_b32_e32 v47, s19
	v_add_co_u32_e64 v21, s[4:5], s18, v3
	v_addc_co_u32_e64 v22, s[4:5], 0, v47, s[4:5]
	v_mad_i64_i32 v[51:52], s[4:5], v48, s10, v[108:109]
	v_cmp_gt_i32_e64 s[2:3], s11, v1
	v_mul_lo_u32 v47, v1, s12
	v_add_co_u32_e64 v1, s[4:5], v51, v3
	v_addc_co_u32_e64 v24, s[4:5], 0, v52, s[4:5]
	v_mov_b32_e32 v49, s17
	v_add_co_u32_e64 v1, s[4:5], s16, v1
	v_addc_co_u32_e64 v24, s[4:5], v49, v24, s[4:5]
	v_add_co_u32_e64 v49, s[4:5], 16, v1
	v_addc_co_u32_e64 v50, s[4:5], 0, v24, s[4:5]
	v_add_co_u32_e64 v1, s[4:5], v51, v2
	v_addc_co_u32_e64 v24, s[4:5], 0, v52, s[4:5]
	v_mov_b32_e32 v51, s17
	v_add_co_u32_e64 v1, s[4:5], s16, v1
	v_addc_co_u32_e64 v24, s[4:5], v51, v24, s[4:5]
	v_mad_i64_i32 v[55:56], s[4:5], v53, s10, v[108:109]
	v_add_co_u32_e64 v51, s[4:5], 48, v1
	v_addc_co_u32_e64 v52, s[4:5], 0, v24, s[4:5]
	v_add_co_u32_e64 v1, s[4:5], v55, v3
	v_addc_co_u32_e64 v24, s[4:5], 0, v56, s[4:5]
	v_mov_b32_e32 v53, s17
	v_add_co_u32_e64 v1, s[4:5], s16, v1
	v_addc_co_u32_e64 v24, s[4:5], v53, v24, s[4:5]
	v_add_co_u32_e64 v53, s[4:5], 16, v1
	v_addc_co_u32_e64 v54, s[4:5], 0, v24, s[4:5]
	v_add_co_u32_e64 v1, s[4:5], v55, v2
	v_addc_co_u32_e64 v24, s[4:5], 0, v56, s[4:5]
	v_mov_b32_e32 v55, s17
	v_add_co_u32_e64 v1, s[4:5], s16, v1
	v_addc_co_u32_e64 v24, s[4:5], v55, v24, s[4:5]
	v_mad_i64_i32 v[59:60], s[4:5], v57, s10, v[108:109]
	v_add_co_u32_e64 v55, s[4:5], 48, v1
	v_addc_co_u32_e64 v56, s[4:5], 0, v24, s[4:5]
	;; [unrolled: 15-line block ×15, first 2 shown]
	v_add_co_u32_e64 v1, s[4:5], v112, v3
	v_addc_co_u32_e64 v3, s[4:5], 0, v113, s[4:5]
	v_mov_b32_e32 v24, s17
	v_add_co_u32_e64 v1, s[4:5], s16, v1
	v_addc_co_u32_e64 v3, s[4:5], v24, v3, s[4:5]
	v_add_co_u32_e64 v110, s[4:5], 16, v1
	v_addc_co_u32_e64 v111, s[4:5], 0, v3, s[4:5]
	;; [unrolled: 2-line block ×3, first 2 shown]
	v_mov_b32_e32 v3, s17
	v_add_co_u32_e64 v1, s[4:5], s16, v1
	v_addc_co_u32_e64 v2, s[4:5], v3, v2, s[4:5]
	v_mul_lo_u32 v114, v25, s24
	v_cmp_gt_u32_e64 s[0:1], 4, v0
	v_add_co_u32_e64 v112, s[4:5], 48, v1
	s_ashr_i32 s25, s8, 31
	s_and_b64 s[6:7], s[0:1], s[2:3]
	v_addc_co_u32_e64 v113, s[4:5], 0, v2, s[4:5]
	s_add_u32 s4, s16, s22
	s_addc_u32 s5, s17, s23
	v_mov_b32_e32 v1, s4
	v_mov_b32_e32 v2, s5
	v_mad_i64_i32 v[114:115], s[4:5], v114, s10, 0
	v_mad_i64_i32 v[23:24], s[4:5], v23, s10, v[1:2]
	v_cndmask_b32_e64 v3, 0, 1, vcc
	v_add_co_u32_e64 v2, s[4:5], s22, v114
	v_lshlrev_b32_e32 v3, 2, v3
	v_mov_b32_e32 v1, s23
	v_or_b32_e32 v114, v2, v3
	v_cndmask_b32_e32 v30, 0, v30, vcc
	v_addc_co_u32_e64 v1, s[4:5], v1, v115, s[4:5]
	v_mov_b32_e32 v115, s17
	v_add_co_u32_e32 v114, vcc, s16, v114
	v_addc_co_u32_e32 v115, vcc, v115, v1, vcc
	v_add_co_u32_e32 v114, vcc, 4, v114
	v_addc_co_u32_e32 v115, vcc, 0, v115, vcc
	v_lshlrev_b32_e32 v120, 2, v116
	v_add_co_u32_e32 v2, vcc, v2, v120
	v_addc_co_u32_e32 v1, vcc, 0, v1, vcc
	v_mov_b32_e32 v116, s17
	v_add_co_u32_e32 v118, vcc, s16, v2
	v_addc_co_u32_e32 v119, vcc, v116, v1, vcc
	v_mad_i64_i32 v[1:2], s[4:5], v117, s10, 0
	v_add_co_u32_e32 v116, vcc, 4, v118
	v_addc_co_u32_e32 v117, vcc, 0, v119, vcc
	v_mov_b32_e32 v118, s23
	v_add_co_u32_e32 v1, vcc, s22, v1
	v_addc_co_u32_e32 v2, vcc, v118, v2, vcc
	v_or_b32_e32 v3, v1, v3
	v_mov_b32_e32 v118, s17
	v_add_co_u32_e32 v3, vcc, s16, v3
	v_addc_co_u32_e32 v119, vcc, v118, v2, vcc
	v_add_co_u32_e32 v118, vcc, 4, v3
	v_addc_co_u32_e32 v119, vcc, 0, v119, vcc
	;; [unrolled: 2-line block ×3, first 2 shown]
	v_mov_b32_e32 v3, s17
	v_add_co_u32_e32 v1, vcc, s16, v1
	v_addc_co_u32_e32 v2, vcc, v3, v2, vcc
	v_lshlrev_b32_e32 v25, 4, v25
	v_add_co_u32_e32 v120, vcc, 4, v1
	v_mov_b32_e32 v85, 0
	v_or_b32_e32 v28, 1, v27
	v_mul_u32_u24_e32 v38, 0x104, v0
	v_ashrrev_i32_e32 v48, 31, v47
	v_addc_co_u32_e32 v121, vcc, 0, v2, vcc
	s_movk_i32 s10, 0x80
	s_mov_b32 s16, 0x10101010
	s_mov_b32 s17, 0x30303030
	v_add_u32_e32 v122, v4, v25
	v_add_u32_e32 v123, v123, v124
	v_mov_b32_e32 v124, v0
	v_mov_b32_e32 v126, 0
	v_mov_b32_e32 v125, 0
	v_mov_b32_e32 v25, 0
	s_branch .LBB194_6
.LBB194_4:                              ;   in Loop: Header=BB194_6 Depth=1
	s_or_b64 exec, exec, s[4:5]
	s_waitcnt lgkmcnt(0)
	s_barrier
	ds_read_b128 v[128:131], v33
	ds_read_b128 v[132:135], v33 offset:16
	ds_read2_b32 v[144:145], v38 offset0:32 offset1:33
	ds_read_b128 v[136:139], v33 offset:32
	ds_read_b128 v[140:143], v33 offset:48
	ds_read_b32 v127, v39
	ds_read_b128 v[1:4], v35 offset:36944
	ds_read2_b32 v[146:147], v38 offset0:34 offset1:35
	s_waitcnt lgkmcnt(5)
	v_dot4_i32_i8 v144, v144, v128, 0
	v_dot4_i32_i8 v152, v145, v129, v144
	ds_read2_b32 v[144:145], v38 offset0:36 offset1:37
	ds_read2_b32 v[148:149], v38 offset0:38 offset1:39
	;; [unrolled: 1-line block ×3, first 2 shown]
	v_add_u32_e32 v156, 0x2110, v38
	s_waitcnt lgkmcnt(3)
	v_dot4_i32_i8 v146, v146, v130, v152
	v_dot4_i32_i8 v152, v147, v131, v146
	s_waitcnt lgkmcnt(2)
	v_dot4_i32_i8 v144, v144, v132, v152
	v_dot4_i32_i8 v144, v145, v133, v144
	;; [unrolled: 3-line block ×3, first 2 shown]
	ds_read2_b32 v[144:145], v38 offset0:42 offset1:43
	s_waitcnt lgkmcnt(1)
	v_dot4_i32_i8 v148, v150, v136, 0
	ds_read2_b32 v[146:147], v37 offset0:1 offset1:3
	v_dot4_i32_i8 v154, v151, v137, v148
	ds_read2_b32 v[148:149], v38 offset0:44 offset1:45
	ds_read2_b32 v[150:151], v38 offset0:46 offset1:47
	;; [unrolled: 1-line block ×3, first 2 shown]
	s_waitcnt lgkmcnt(4)
	v_dot4_i32_i8 v144, v144, v138, v154
	v_dot4_i32_i8 v144, v145, v139, v144
	s_waitcnt lgkmcnt(2)
	v_dot4_i32_i8 v144, v148, v140, v144
	v_dot4_i32_i8 v144, v149, v141, v144
	;; [unrolled: 3-line block ×3, first 2 shown]
	v_add_u32_e32 v144, 0x2100, v38
	ds_read2_b32 v[144:145], v144 offset1:1
	ds_read2_b32 v[148:149], v38 offset0:58 offset1:59
	ds_read2_b32 v[150:151], v38 offset0:60 offset1:61
	ds_read2_b32 v[154:155], v38 offset0:62 offset1:63
	ds_read_b32 v171, v42 offset:128
	ds_read_b32 v172, v44 offset:256
	;; [unrolled: 1-line block ×3, first 2 shown]
	s_waitcnt lgkmcnt(6)
	v_dot4_i32_i8 v144, v144, v128, 0
	v_dot4_i32_i8 v162, v145, v129, v144
	v_add_u32_e32 v144, 0x2108, v38
	ds_read2_b32 v[144:145], v144 offset1:1
	v_add_u32_e32 v158, 0x2118, v38
	v_add_u32_e32 v160, 0x2120, v38
	ds_read2_b32 v[156:157], v156 offset1:1
	ds_read2_b32 v[158:159], v158 offset1:1
	;; [unrolled: 1-line block ×3, first 2 shown]
	v_cvt_f32_ubyte0_e32 v167, v147
	s_waitcnt lgkmcnt(3)
	v_dot4_i32_i8 v144, v144, v130, v162
	v_dot4_i32_i8 v162, v145, v131, v144
	s_waitcnt lgkmcnt(2)
	v_dot4_i32_i8 v156, v156, v132, v162
	v_dot4_i32_i8 v156, v157, v133, v156
	s_waitcnt lgkmcnt(1)
	v_dot4_i32_i8 v156, v158, v134, v156
	v_dot4_i32_i8 v174, v159, v135, v156
	s_waitcnt lgkmcnt(0)
	v_dot4_i32_i8 v156, v160, v136, 0
	v_dot4_i32_i8 v164, v161, v137, v156
	v_add_u32_e32 v156, 0x2128, v38
	ds_read2_b32 v[156:157], v156 offset1:1
	v_add_u32_e32 v158, 0x2130, v38
	v_add_u32_e32 v160, 0x2138, v38
	;; [unrolled: 1-line block ×3, first 2 shown]
	ds_read2_b32 v[144:145], v41 offset0:1 offset1:3
	ds_read2_b32 v[158:159], v158 offset1:1
	ds_read2_b32 v[160:161], v160 offset1:1
	ds_read2_b32 v[162:163], v162 offset1:1
	s_waitcnt lgkmcnt(4)
	v_dot4_i32_i8 v156, v156, v138, v164
	v_dot4_i32_i8 v156, v157, v139, v156
	s_waitcnt lgkmcnt(2)
	v_dot4_i32_i8 v156, v158, v140, v156
	v_dot4_i32_i8 v156, v159, v141, v156
	;; [unrolled: 3-line block ×4, first 2 shown]
	v_add_u32_e32 v156, 0x4188, v38
	ds_read2_b32 v[156:157], v156 offset1:1
	v_add_u32_e32 v158, 0x4190, v38
	v_add_u32_e32 v160, 0x4198, v38
	;; [unrolled: 1-line block ×3, first 2 shown]
	ds_read2_b32 v[158:159], v158 offset1:1
	ds_read2_b32 v[160:161], v160 offset1:1
	;; [unrolled: 1-line block ×3, first 2 shown]
	s_waitcnt lgkmcnt(3)
	v_dot4_i32_i8 v156, v156, v130, v164
	v_dot4_i32_i8 v164, v157, v131, v156
	s_waitcnt lgkmcnt(2)
	v_dot4_i32_i8 v158, v158, v132, v164
	v_dot4_i32_i8 v158, v159, v133, v158
	;; [unrolled: 3-line block ×4, first 2 shown]
	v_add_u32_e32 v158, 0x41a8, v38
	v_add_u32_e32 v160, 0x41b0, v38
	;; [unrolled: 1-line block ×4, first 2 shown]
	ds_read2_b32 v[156:157], v43 offset0:1 offset1:3
	ds_read2_b32 v[158:159], v158 offset1:1
	ds_read2_b32 v[160:161], v160 offset1:1
	;; [unrolled: 1-line block ×4, first 2 shown]
	v_cvt_f32_ubyte1_e32 v169, v147
	v_cvt_f32_f16_sdwa v170, v127 dst_sel:DWORD dst_unused:UNUSED_PAD src0_sel:WORD_1
	v_cvt_f32_ubyte0_e32 v175, v145
	s_waitcnt lgkmcnt(3)
	v_dot4_i32_i8 v158, v158, v138, v181
	s_waitcnt lgkmcnt(0)
	v_dot4_i32_i8 v128, v164, v128, 0
	v_dot4_i32_i8 v158, v159, v139, v158
	;; [unrolled: 1-line block ×3, first 2 shown]
	v_add_u32_e32 v128, 0x6208, v38
	v_dot4_i32_i8 v158, v160, v140, v158
	ds_read2_b32 v[128:129], v128 offset1:1
	v_dot4_i32_i8 v158, v161, v141, v158
	v_dot4_i32_i8 v158, v162, v142, v158
	;; [unrolled: 1-line block ×3, first 2 shown]
	v_add_u32_e32 v158, 0x6210, v38
	v_add_u32_e32 v160, 0x6218, v38
	;; [unrolled: 1-line block ×3, first 2 shown]
	ds_read2_b32 v[158:159], v158 offset1:1
	ds_read2_b32 v[160:161], v160 offset1:1
	;; [unrolled: 1-line block ×3, first 2 shown]
	s_waitcnt lgkmcnt(3)
	v_dot4_i32_i8 v128, v128, v130, v164
	v_dot4_i32_i8 v128, v129, v131, v128
	s_waitcnt lgkmcnt(2)
	v_dot4_i32_i8 v128, v158, v132, v128
	v_dot4_i32_i8 v128, v159, v133, v128
	;; [unrolled: 3-line block ×4, first 2 shown]
	v_add_u32_e32 v128, 0x6228, v38
	ds_read2_b32 v[128:129], v128 offset1:1
	v_add_u32_e32 v130, 0x6230, v38
	v_add_u32_e32 v132, 0x6238, v38
	ds_read2_b32 v[164:165], v45 offset0:1 offset1:3
	v_add_u32_e32 v137, 0x2140, v38
	ds_read2_b32 v[130:131], v130 offset1:1
	ds_read2_b32 v[132:133], v132 offset1:1
	;; [unrolled: 1-line block ×3, first 2 shown]
	s_waitcnt lgkmcnt(4)
	v_dot4_i32_i8 v128, v128, v138, v136
	v_dot4_i32_i8 v128, v129, v139, v128
	v_and_b32_e32 v129, 0xff, v146
	s_waitcnt lgkmcnt(2)
	v_dot4_i32_i8 v128, v130, v140, v128
	v_bfe_u32 v130, v146, 8, 8
	v_mul_lo_u32 v129, v166, v129
	v_mul_lo_u32 v130, v168, v130
	v_dot4_i32_i8 v128, v131, v141, v128
	v_fma_mix_f32 v131, v1, v167, 0 op_sel:[1,0,0] op_sel_hi:[1,0,0]
	v_cvt_f32_i32_e32 v129, v129
	v_cvt_f32_i32_e32 v130, v130
	s_waitcnt lgkmcnt(1)
	v_dot4_i32_i8 v128, v132, v142, v128
	v_bfe_u32 v132, v144, 8, 8
	v_fma_mix_f32 v129, v1, v129, 0 op_sel_hi:[1,0,0]
	v_fma_mix_f32 v129, v2, v130, v129 op_sel_hi:[1,0,0]
	v_fma_mix_f32 v130, v2, v169, v131 op_sel:[1,0,0] op_sel_hi:[1,0,0]
	v_and_b32_e32 v131, 0xff, v144
	v_mul_lo_u32 v131, v174, v131
	v_mul_lo_u32 v132, v176, v132
	v_mul_f32_e32 v130, v130, v170
	v_fma_mix_f32 v129, v129, v127, -v130 op_sel_hi:[0,1,0]
	v_add_f32_e32 v85, v85, v129
	v_cvt_f32_i32_e32 v129, v131
	v_cvt_f32_i32_e32 v130, v132
	v_cvt_f32_ubyte1_e32 v177, v145
	v_cvt_f32_f16_sdwa v178, v171 dst_sel:DWORD dst_unused:UNUSED_PAD src0_sel:WORD_1
	v_fma_mix_f32 v131, v1, v175, 0 op_sel:[1,0,0] op_sel_hi:[1,0,0]
	v_fma_mix_f32 v129, v1, v129, 0 op_sel_hi:[1,0,0]
	v_fma_mix_f32 v129, v2, v130, v129 op_sel_hi:[1,0,0]
	v_fma_mix_f32 v130, v2, v177, v131 op_sel:[1,0,0] op_sel_hi:[1,0,0]
	v_and_b32_e32 v131, 0xff, v156
	v_bfe_u32 v132, v156, 8, 8
	v_mul_lo_u32 v131, v179, v131
	v_mul_lo_u32 v132, v181, v132
	v_mul_f32_e32 v130, v130, v178
	v_fma_mix_f32 v129, v129, v171, -v130 op_sel_hi:[0,1,0]
	v_add_f32_e32 v166, v126, v129
	v_cvt_f32_i32_e32 v126, v131
	v_cvt_f32_i32_e32 v129, v132
	v_cvt_f32_f16_sdwa v183, v172 dst_sel:DWORD dst_unused:UNUSED_PAD src0_sel:WORD_1
	v_cvt_f32_ubyte0_e32 v180, v157
	v_cvt_f32_ubyte1_e32 v182, v157
	v_fma_mix_f32 v130, v1, v180, 0 op_sel:[1,0,0] op_sel_hi:[1,0,0]
	v_fma_mix_f32 v126, v1, v126, 0 op_sel_hi:[1,0,0]
	v_fma_mix_f32 v126, v2, v129, v126 op_sel_hi:[1,0,0]
	v_fma_mix_f32 v129, v2, v182, v130 op_sel:[1,0,0] op_sel_hi:[1,0,0]
	v_mul_f32_e32 v129, v129, v183
	v_and_b32_e32 v130, 0xff, v164
	v_dot4_i32_i8 v128, v133, v143, v128
	v_mul_lo_u32 v130, v134, v130
	v_fma_mix_f32 v126, v126, v172, -v129 op_sel_hi:[0,1,0]
	v_bfe_u32 v129, v164, 8, 8
	v_mul_lo_u32 v128, v128, v129
	v_cvt_f32_i32_e32 v129, v130
	v_add_f32_e32 v168, v125, v126
	v_cvt_f32_f16_sdwa v174, v173 dst_sel:DWORD dst_unused:UNUSED_PAD src0_sel:WORD_1
	v_cvt_f32_i32_e32 v125, v128
	v_cvt_f32_ubyte0_e32 v135, v165
	v_fma_mix_f32 v126, v1, v129, 0 op_sel_hi:[1,0,0]
	v_fma_mix_f32 v1, v1, v135, 0 op_sel:[1,0,0] op_sel_hi:[1,0,0]
	v_fma_mix_f32 v125, v2, v125, v126 op_sel_hi:[1,0,0]
	v_cvt_f32_ubyte1_e32 v126, v165
	v_fma_mix_f32 v1, v2, v126, v1 op_sel:[1,0,0] op_sel_hi:[1,0,0]
	v_mul_f32_e32 v1, v1, v174
	ds_read_b128 v[128:131], v33 offset:64
	v_fma_mix_f32 v1, v125, v173, -v1 op_sel_hi:[0,1,0]
	v_add_f32_e32 v25, v25, v1
	ds_read_b128 v[132:135], v33 offset:80
	ds_read_b128 v[136:139], v33 offset:96
	;; [unrolled: 1-line block ×3, first 2 shown]
	ds_read2_b32 v[1:2], v38 offset0:50 offset1:51
	s_waitcnt lgkmcnt(4)
	v_dot4_i32_i8 v125, v152, v128, 0
	v_dot4_i32_i8 v175, v153, v129, v125
	ds_read2_b32 v[125:126], v38 offset0:52 offset1:53
	ds_read2_b32 v[152:153], v38 offset0:54 offset1:55
	;; [unrolled: 1-line block ×3, first 2 shown]
	v_lshrrev_b32_e32 v162, 24, v146
	s_waitcnt lgkmcnt(3)
	v_dot4_i32_i8 v1, v1, v130, v175
	v_dot4_i32_i8 v1, v2, v131, v1
	s_waitcnt lgkmcnt(2)
	v_dot4_i32_i8 v1, v125, v132, v1
	v_dot4_i32_i8 v1, v126, v133, v1
	;; [unrolled: 3-line block ×4, first 2 shown]
	v_dot4_i32_i8 v1, v148, v138, v1
	v_dot4_i32_i8 v1, v149, v139, v1
	;; [unrolled: 1-line block ×8, first 2 shown]
	v_add_u32_e32 v1, 0x2148, v38
	ds_read2_b32 v[1:2], v1 offset1:1
	v_cvt_f32_ubyte2_e32 v153, v147
	v_cvt_f32_ubyte3_e32 v154, v147
	v_add_u32_e32 v125, 0x2150, v38
	v_add_u32_e32 v147, 0x2158, v38
	v_add_u32_e32 v149, 0x2160, v38
	ds_read2_b32 v[125:126], v125 offset1:1
	ds_read2_b32 v[147:148], v147 offset1:1
	ds_read2_b32 v[149:150], v149 offset1:1
	s_waitcnt lgkmcnt(3)
	v_dot4_i32_i8 v1, v1, v130, v155
	v_dot4_i32_i8 v1, v2, v131, v1
	s_waitcnt lgkmcnt(2)
	v_dot4_i32_i8 v1, v125, v132, v1
	v_dot4_i32_i8 v1, v126, v133, v1
	s_waitcnt lgkmcnt(1)
	v_dot4_i32_i8 v1, v147, v134, v1
	v_dot4_i32_i8 v155, v148, v135, v1
	s_waitcnt lgkmcnt(0)
	v_dot4_i32_i8 v1, v149, v136, 0
	v_dot4_i32_i8 v159, v150, v137, v1
	v_add_u32_e32 v1, 0x2168, v38
	ds_read2_b32 v[1:2], v1 offset1:1
	v_add_u32_e32 v125, 0x2170, v38
	v_add_u32_e32 v147, 0x2178, v38
	v_add_u32_e32 v149, 0x41c0, v38
	ds_read2_b32 v[125:126], v125 offset1:1
	ds_read2_b32 v[147:148], v147 offset1:1
	ds_read2_b32 v[149:150], v149 offset1:1
	s_waitcnt lgkmcnt(3)
	v_dot4_i32_i8 v1, v1, v138, v159
	v_dot4_i32_i8 v1, v2, v139, v1
	s_waitcnt lgkmcnt(2)
	v_dot4_i32_i8 v1, v125, v140, v1
	v_dot4_i32_i8 v1, v126, v141, v1
	s_waitcnt lgkmcnt(1)
	v_dot4_i32_i8 v1, v147, v142, v1
	v_dot4_i32_i8 v159, v148, v143, v1
	s_waitcnt lgkmcnt(0)
	v_dot4_i32_i8 v1, v149, v128, 0
	v_dot4_i32_i8 v160, v150, v129, v1
	v_add_u32_e32 v1, 0x41c8, v38
	ds_read2_b32 v[1:2], v1 offset1:1
	;; [unrolled: 20-line block ×5, first 2 shown]
	v_add_u32_e32 v125, 0x6270, v38
	ds_read2_b32 v[125:126], v125 offset1:1
	v_add_u32_e32 v128, 0x6278, v38
	ds_read2_b32 v[128:129], v128 offset1:1
	s_waitcnt lgkmcnt(2)
	v_dot4_i32_i8 v1, v1, v138, v132
	v_dot4_i32_i8 v1, v2, v139, v1
	v_bfe_u32 v2, v146, 16, 8
	v_mul_lo_u32 v2, v152, v2
	s_waitcnt lgkmcnt(1)
	v_dot4_i32_i8 v1, v125, v140, v1
	v_mul_lo_u32 v125, v151, v162
	v_dot4_i32_i8 v1, v126, v141, v1
	v_cvt_f32_i32_e32 v2, v2
	v_fma_mix_f32 v126, v3, v153, 0 op_sel:[1,0,0] op_sel_hi:[1,0,0]
	v_cvt_f32_i32_e32 v125, v125
	v_lshrrev_b32_e32 v163, 24, v144
	v_fma_mix_f32 v2, v3, v2, 0 op_sel_hi:[1,0,0]
	s_waitcnt lgkmcnt(0)
	v_dot4_i32_i8 v1, v128, v142, v1
	v_fma_mix_f32 v2, v4, v125, v2 op_sel_hi:[1,0,0]
	v_fma_mix_f32 v125, v4, v154, v126 op_sel:[1,0,0] op_sel_hi:[1,0,0]
	v_bfe_u32 v126, v144, 16, 8
	v_mul_lo_u32 v126, v155, v126
	v_mul_lo_u32 v128, v159, v163
	v_mul_f32_e32 v125, v125, v170
	v_fma_mix_f32 v2, v2, v127, -v125 op_sel_hi:[0,1,0]
	v_cvt_f32_i32_e32 v125, v126
	v_cvt_f32_i32_e32 v126, v128
	v_lshrrev_b32_e32 v167, 24, v156
	v_cvt_f32_ubyte2_e32 v158, v145
	v_fma_mix_f32 v125, v3, v125, 0 op_sel_hi:[1,0,0]
	v_fma_mix_f32 v125, v4, v126, v125 op_sel_hi:[1,0,0]
	v_bfe_u32 v126, v156, 16, 8
	v_mul_lo_u32 v126, v160, v126
	v_cvt_f32_ubyte3_e32 v145, v145
	v_add_f32_e32 v85, v85, v2
	v_fma_mix_f32 v2, v3, v158, 0 op_sel:[1,0,0] op_sel_hi:[1,0,0]
	v_mul_lo_u32 v127, v175, v167
	v_fma_mix_f32 v2, v4, v145, v2 op_sel:[1,0,0] op_sel_hi:[1,0,0]
	v_mul_f32_e32 v2, v2, v178
	v_fma_mix_f32 v2, v125, v171, -v2 op_sel_hi:[0,1,0]
	v_cvt_f32_i32_e32 v125, v126
	v_cvt_f32_i32_e32 v127, v127
	v_lshrrev_b32_e32 v169, 24, v164
	v_dot4_i32_i8 v1, v129, v143, v1
	v_fma_mix_f32 v125, v3, v125, 0 op_sel_hi:[1,0,0]
	v_fma_mix_f32 v125, v4, v127, v125 op_sel_hi:[1,0,0]
	v_bfe_u32 v127, v164, 16, 8
	v_mul_lo_u32 v127, v130, v127
	v_mul_lo_u32 v1, v1, v169
	v_cvt_f32_ubyte2_e32 v161, v157
	v_cvt_f32_ubyte3_e32 v157, v157
	v_add_f32_e32 v126, v166, v2
	v_fma_mix_f32 v2, v3, v161, 0 op_sel:[1,0,0] op_sel_hi:[1,0,0]
	v_cvt_f32_i32_e32 v127, v127
	v_fma_mix_f32 v2, v4, v157, v2 op_sel:[1,0,0] op_sel_hi:[1,0,0]
	v_cvt_f32_i32_e32 v1, v1
	v_mul_f32_e32 v2, v2, v183
	v_fma_mix_f32 v2, v125, v172, -v2 op_sel_hi:[0,1,0]
	v_cvt_f32_ubyte2_e32 v131, v165
	v_add_f32_e32 v125, v168, v2
	v_fma_mix_f32 v2, v3, v127, 0 op_sel_hi:[1,0,0]
	v_fma_mix_f32 v3, v3, v131, 0 op_sel:[1,0,0] op_sel_hi:[1,0,0]
	v_fma_mix_f32 v1, v4, v1, v2 op_sel_hi:[1,0,0]
	v_cvt_f32_ubyte3_e32 v2, v165
	v_fma_mix_f32 v2, v4, v2, v3 op_sel:[1,0,0] op_sel_hi:[1,0,0]
	v_mul_f32_e32 v2, v2, v174
	v_fma_mix_f32 v1, v1, v173, -v2 op_sel_hi:[0,1,0]
	v_add_f32_e32 v25, v25, v1
	s_barrier
.LBB194_5:                              ;   in Loop: Header=BB194_6 Depth=1
	v_add_co_u32_e32 v49, vcc, 0xb0, v49
	v_addc_co_u32_e32 v50, vcc, 0, v50, vcc
	v_add_co_u32_e32 v51, vcc, 0xb0, v51
	v_addc_co_u32_e32 v52, vcc, 0, v52, vcc
	;; [unrolled: 2-line block ×36, first 2 shown]
	s_add_i32 s24, s24, -1
	s_addk_i32 s10, 0x100
	v_add_co_u32_e32 v120, vcc, 0xb0, v120
	v_add_u32_e32 v40, 8, v40
	v_add_u32_e32 v36, 8, v36
	;; [unrolled: 1-line block ×3, first 2 shown]
	s_cmp_eq_u32 s24, 0
	v_addc_co_u32_e32 v121, vcc, 0, v121, vcc
	s_cbranch_scc1 .LBB194_17
.LBB194_6:                              ; =>This Inner Loop Header: Depth=1
	v_mov_b32_e32 v127, s25
	v_add_co_u32_e32 v1, vcc, s8, v51
	v_addc_co_u32_e32 v2, vcc, v52, v127, vcc
	global_load_dword v128, v[1:2], off
	v_add_co_u32_e32 v1, vcc, s8, v49
	v_addc_co_u32_e32 v2, vcc, v50, v127, vcc
	global_load_dword v129, v[1:2], off
	v_add_co_u32_e32 v1, vcc, s8, v55
	v_addc_co_u32_e32 v2, vcc, v56, v127, vcc
	v_add_co_u32_e32 v3, vcc, s8, v53
	v_addc_co_u32_e32 v4, vcc, v54, v127, vcc
	global_load_dword v130, v[1:2], off
	v_add_co_u32_e32 v1, vcc, s8, v59
	v_addc_co_u32_e32 v2, vcc, v60, v127, vcc
	global_load_dword v131, v[3:4], off
	;; [unrolled: 3-line block ×13, first 2 shown]
	s_add_i32 s4, s10, 0xffffff80
	global_load_dword v3, v[3:4], off
	s_cmp_lt_i32 s4, s9
	s_waitcnt vmcnt(15)
	v_lshrrev_b32_e32 v1, 4, v128
	v_and_b32_e32 v144, 0xf0f0f0f, v1
	v_add_co_u32_e32 v1, vcc, s8, v83
	v_addc_co_u32_e32 v2, vcc, v84, v127, vcc
	global_load_dword v4, v[1:2], off
	v_add_co_u32_e32 v1, vcc, s8, v81
	v_addc_co_u32_e32 v2, vcc, v82, v127, vcc
	global_load_dword v1, v[1:2], off
	v_and_b32_e32 v143, 0xf0f0f0f, v128
	s_waitcnt vmcnt(16)
	v_ashrrev_i32_e32 v128, v27, v129
	v_lshlrev_b32_e32 v2, 4, v128
	v_ashrrev_i32_e32 v128, v28, v129
	v_lshlrev_b32_e32 v128, 4, v128
	v_and_or_b32 v2, v2, s16, v143
	v_and_or_b32 v128, v128, s16, v144
	ds_write2_b32 v5, v2, v128 offset1:8
	s_waitcnt vmcnt(15)
	v_and_b32_e32 v2, 0xf0f0f0f, v130
	v_lshrrev_b32_e32 v128, 4, v130
	s_waitcnt vmcnt(14)
	v_ashrrev_i32_e32 v129, v27, v131
	v_ashrrev_i32_e32 v130, v28, v131
	v_and_b32_e32 v128, 0xf0f0f0f, v128
	v_lshlrev_b32_e32 v129, 4, v129
	v_lshlrev_b32_e32 v130, 4, v130
	v_and_or_b32 v2, v129, s16, v2
	v_and_or_b32 v128, v130, s16, v128
	ds_write2_b32 v6, v2, v128 offset1:8
	s_waitcnt vmcnt(13)
	v_lshrrev_b32_e32 v128, 4, v132
	s_waitcnt vmcnt(12)
	v_ashrrev_i32_e32 v129, v27, v133
	v_ashrrev_i32_e32 v130, v28, v133
	v_and_b32_e32 v2, 0xf0f0f0f, v132
	v_and_b32_e32 v128, 0xf0f0f0f, v128
	v_lshlrev_b32_e32 v129, 4, v129
	v_lshlrev_b32_e32 v130, 4, v130
	v_and_or_b32 v2, v129, s16, v2
	v_and_or_b32 v128, v130, s16, v128
	ds_write2_b32 v7, v2, v128 offset1:8
	s_waitcnt vmcnt(11)
	v_lshrrev_b32_e32 v128, 4, v134
	s_waitcnt vmcnt(10)
	v_ashrrev_i32_e32 v129, v27, v135
	v_ashrrev_i32_e32 v130, v28, v135
	v_and_b32_e32 v2, 0xf0f0f0f, v134
	;; [unrolled: 12-line block ×6, first 2 shown]
	v_and_b32_e32 v128, 0xf0f0f0f, v128
	v_lshlrev_b32_e32 v129, 4, v129
	v_lshlrev_b32_e32 v3, 4, v3
	v_and_or_b32 v2, v129, s16, v2
	v_and_or_b32 v3, v3, s16, v128
	ds_write2_b32 v12, v2, v3 offset1:8
	s_waitcnt vmcnt(1)
	v_and_b32_e32 v2, 0xf0f0f0f, v4
	v_lshrrev_b32_e32 v3, 4, v4
	s_waitcnt vmcnt(0)
	v_ashrrev_i32_e32 v4, v27, v1
	v_ashrrev_i32_e32 v1, v28, v1
	v_and_b32_e32 v3, 0xf0f0f0f, v3
	v_lshlrev_b32_e32 v1, 4, v1
	v_lshlrev_b32_e32 v4, 4, v4
	v_and_or_b32 v3, v1, s16, v3
	v_add_co_u32_e32 v1, vcc, s8, v88
	v_and_or_b32 v4, v4, s16, v2
	v_addc_co_u32_e32 v2, vcc, v89, v127, vcc
	global_load_dword v128, v[1:2], off
	v_add_co_u32_e32 v1, vcc, s8, v86
	v_addc_co_u32_e32 v2, vcc, v87, v127, vcc
	global_load_dword v129, v[1:2], off
	v_add_co_u32_e32 v1, vcc, s8, v92
	;; [unrolled: 3-line block ×18, first 2 shown]
	v_addc_co_u32_e32 v2, vcc, v119, v127, vcc
	global_load_dword v1, v[1:2], off
	ds_write2_b32 v13, v4, v3 offset1:8
	s_waitcnt vmcnt(18)
	v_lshrrev_b32_e32 v3, 4, v128
	s_waitcnt vmcnt(17)
	v_ashrrev_i32_e32 v4, v27, v129
	v_ashrrev_i32_e32 v127, v28, v129
	v_and_b32_e32 v2, 0xf0f0f0f, v128
	v_and_b32_e32 v3, 0xf0f0f0f, v3
	v_lshlrev_b32_e32 v4, 4, v4
	v_lshlrev_b32_e32 v127, 4, v127
	v_and_or_b32 v2, v4, s16, v2
	v_and_or_b32 v3, v127, s16, v3
	ds_write2_b32 v14, v2, v3 offset1:8
	s_waitcnt vmcnt(16)
	v_lshrrev_b32_e32 v3, 4, v130
	s_waitcnt vmcnt(15)
	v_ashrrev_i32_e32 v4, v27, v131
	v_ashrrev_i32_e32 v127, v28, v131
	v_and_b32_e32 v2, 0xf0f0f0f, v130
	v_and_b32_e32 v3, 0xf0f0f0f, v3
	v_lshlrev_b32_e32 v4, 4, v4
	v_lshlrev_b32_e32 v127, 4, v127
	v_and_or_b32 v2, v4, s16, v2
	v_and_or_b32 v3, v127, s16, v3
	;; [unrolled: 12-line block ×7, first 2 shown]
	ds_write2_b32 v20, v2, v3 offset1:8
	s_waitcnt vmcnt(4)
	ds_write_b32 v29, v142
	s_waitcnt vmcnt(3)
	v_ashrrev_i32_e32 v2, v30, v143
	v_and_b32_e32 v2, 0xf0f0f0f, v2
	s_waitcnt vmcnt(2)
	v_ashrrev_i32_e32 v3, v31, v144
	v_and_or_b32 v2, v3, s17, v2
	ds_write_b32 v122, v2
	s_waitcnt vmcnt(1)
	v_ashrrev_i32_e32 v2, v30, v145
	v_and_b32_e32 v2, 0xf0f0f0f, v2
	s_waitcnt vmcnt(0)
	v_ashrrev_i32_e32 v1, v31, v1
	v_and_or_b32 v1, v1, s17, v2
	ds_write_b32 v123, v1
	s_cbranch_scc0 .LBB194_5
; %bb.7:                                ;   in Loop: Header=BB194_6 Depth=1
	v_cmp_gt_i32_e32 vcc, s12, v36
	s_and_b64 s[22:23], s[2:3], vcc
	s_and_saveexec_b64 s[4:5], s[22:23]
	s_cbranch_execz .LBB194_9
; %bb.8:                                ;   in Loop: Header=BB194_6 Depth=1
	v_add_u32_e32 v1, v47, v36
	v_mad_i64_i32 v[1:2], s[22:23], v1, 36, v[21:22]
	global_load_dword v1, v[1:2], off offset:4
	s_waitcnt vmcnt(0)
	ds_write_b32 v34, v1
.LBB194_9:                              ;   in Loop: Header=BB194_6 Depth=1
	s_or_b64 exec, exec, s[4:5]
	v_cmp_gt_i32_e32 vcc, s12, v124
	s_and_b64 s[22:23], s[6:7], vcc
	s_and_saveexec_b64 s[4:5], s[22:23]
	s_cbranch_execz .LBB194_11
; %bb.10:                               ;   in Loop: Header=BB194_6 Depth=1
	v_add_u32_e32 v1, v47, v124
	v_mad_i64_i32 v[1:2], s[22:23], v1, 36, s[18:19]
	global_load_dword v1, v[1:2], off
	v_add_u32_e32 v2, v32, v35
	s_waitcnt vmcnt(0)
	ds_write_b32 v2, v1
.LBB194_11:                             ;   in Loop: Header=BB194_6 Depth=1
	s_or_b64 exec, exec, s[4:5]
	s_waitcnt lgkmcnt(0)
	s_barrier
	ds_read_b128 v[128:131], v33
	ds_read_b128 v[132:135], v33 offset:16
	ds_read2_b32 v[144:145], v38 offset1:1
	ds_read_b128 v[136:139], v33 offset:32
	ds_read_b128 v[140:143], v33 offset:48
	ds_read_b32 v127, v39
	ds_read_b128 v[1:4], v35 offset:36944
	ds_read2_b32 v[146:147], v38 offset0:2 offset1:3
	s_waitcnt lgkmcnt(5)
	v_dot4_i32_i8 v144, v144, v128, 0
	v_dot4_i32_i8 v152, v145, v129, v144
	ds_read2_b32 v[144:145], v38 offset0:4 offset1:5
	ds_read2_b32 v[148:149], v38 offset0:6 offset1:7
	;; [unrolled: 1-line block ×3, first 2 shown]
	v_add_u32_e32 v156, 0x2090, v38
	s_waitcnt lgkmcnt(3)
	v_dot4_i32_i8 v146, v146, v130, v152
	v_dot4_i32_i8 v152, v147, v131, v146
	s_waitcnt lgkmcnt(2)
	v_dot4_i32_i8 v144, v144, v132, v152
	v_dot4_i32_i8 v144, v145, v133, v144
	;; [unrolled: 3-line block ×3, first 2 shown]
	ds_read2_b32 v[144:145], v38 offset0:10 offset1:11
	s_waitcnt lgkmcnt(1)
	v_dot4_i32_i8 v148, v150, v136, 0
	ds_read2_b32 v[146:147], v37 offset1:2
	v_dot4_i32_i8 v154, v151, v137, v148
	ds_read2_b32 v[148:149], v38 offset0:12 offset1:13
	ds_read2_b32 v[150:151], v38 offset0:14 offset1:15
	;; [unrolled: 1-line block ×3, first 2 shown]
	s_waitcnt lgkmcnt(4)
	v_dot4_i32_i8 v144, v144, v138, v154
	v_dot4_i32_i8 v144, v145, v139, v144
	s_waitcnt lgkmcnt(2)
	v_dot4_i32_i8 v144, v148, v140, v144
	v_dot4_i32_i8 v144, v149, v141, v144
	;; [unrolled: 3-line block ×3, first 2 shown]
	v_add_u32_e32 v144, 0x2080, v38
	ds_read2_b32 v[144:145], v144 offset1:1
	ds_read2_b32 v[148:149], v38 offset0:26 offset1:27
	ds_read2_b32 v[150:151], v38 offset0:28 offset1:29
	;; [unrolled: 1-line block ×3, first 2 shown]
	ds_read_b32 v171, v42 offset:128
	ds_read_b32 v172, v44 offset:256
	ds_read_b32 v173, v46 offset:384
	s_waitcnt lgkmcnt(6)
	v_dot4_i32_i8 v144, v144, v128, 0
	v_dot4_i32_i8 v162, v145, v129, v144
	v_add_u32_e32 v144, 0x2088, v38
	ds_read2_b32 v[144:145], v144 offset1:1
	v_add_u32_e32 v158, 0x2098, v38
	v_add_u32_e32 v160, 0x20a0, v38
	ds_read2_b32 v[156:157], v156 offset1:1
	ds_read2_b32 v[158:159], v158 offset1:1
	;; [unrolled: 1-line block ×3, first 2 shown]
	v_cvt_f32_ubyte0_e32 v167, v147
	s_waitcnt lgkmcnt(3)
	v_dot4_i32_i8 v144, v144, v130, v162
	v_dot4_i32_i8 v162, v145, v131, v144
	s_waitcnt lgkmcnt(2)
	v_dot4_i32_i8 v156, v156, v132, v162
	v_dot4_i32_i8 v156, v157, v133, v156
	;; [unrolled: 3-line block ×4, first 2 shown]
	v_add_u32_e32 v156, 0x20a8, v38
	ds_read2_b32 v[156:157], v156 offset1:1
	v_add_u32_e32 v158, 0x20b0, v38
	v_add_u32_e32 v160, 0x20b8, v38
	;; [unrolled: 1-line block ×3, first 2 shown]
	ds_read2_b32 v[144:145], v41 offset1:2
	ds_read2_b32 v[158:159], v158 offset1:1
	;; [unrolled: 1-line block ×4, first 2 shown]
	s_waitcnt lgkmcnt(4)
	v_dot4_i32_i8 v156, v156, v138, v164
	v_dot4_i32_i8 v156, v157, v139, v156
	s_waitcnt lgkmcnt(2)
	v_dot4_i32_i8 v156, v158, v140, v156
	v_dot4_i32_i8 v156, v159, v141, v156
	s_waitcnt lgkmcnt(1)
	v_dot4_i32_i8 v156, v160, v142, v156
	v_dot4_i32_i8 v176, v161, v143, v156
	s_waitcnt lgkmcnt(0)
	v_dot4_i32_i8 v156, v162, v128, 0
	v_dot4_i32_i8 v164, v163, v129, v156
	v_add_u32_e32 v156, 0x4108, v38
	ds_read2_b32 v[156:157], v156 offset1:1
	v_add_u32_e32 v158, 0x4110, v38
	v_add_u32_e32 v160, 0x4118, v38
	;; [unrolled: 1-line block ×3, first 2 shown]
	ds_read2_b32 v[158:159], v158 offset1:1
	ds_read2_b32 v[160:161], v160 offset1:1
	;; [unrolled: 1-line block ×3, first 2 shown]
	s_waitcnt lgkmcnt(3)
	v_dot4_i32_i8 v156, v156, v130, v164
	v_dot4_i32_i8 v164, v157, v131, v156
	s_waitcnt lgkmcnt(2)
	v_dot4_i32_i8 v158, v158, v132, v164
	v_dot4_i32_i8 v158, v159, v133, v158
	s_waitcnt lgkmcnt(1)
	v_dot4_i32_i8 v158, v160, v134, v158
	v_dot4_i32_i8 v179, v161, v135, v158
	s_waitcnt lgkmcnt(0)
	v_dot4_i32_i8 v158, v162, v136, 0
	v_dot4_i32_i8 v181, v163, v137, v158
	v_add_u32_e32 v158, 0x4128, v38
	v_add_u32_e32 v160, 0x4130, v38
	v_add_u32_e32 v162, 0x4138, v38
	v_add_u32_e32 v164, 0x6180, v38
	ds_read2_b32 v[156:157], v43 offset1:2
	ds_read2_b32 v[158:159], v158 offset1:1
	;; [unrolled: 1-line block ×5, first 2 shown]
	v_cvt_f32_ubyte1_e32 v169, v147
	v_cvt_f32_f16_sdwa v170, v127 dst_sel:DWORD dst_unused:UNUSED_PAD src0_sel:WORD_1
	v_cvt_f32_ubyte0_e32 v175, v145
	s_waitcnt lgkmcnt(3)
	v_dot4_i32_i8 v158, v158, v138, v181
	s_waitcnt lgkmcnt(0)
	v_dot4_i32_i8 v128, v164, v128, 0
	v_dot4_i32_i8 v158, v159, v139, v158
	;; [unrolled: 1-line block ×3, first 2 shown]
	v_add_u32_e32 v128, 0x6188, v38
	v_dot4_i32_i8 v158, v160, v140, v158
	ds_read2_b32 v[128:129], v128 offset1:1
	v_dot4_i32_i8 v158, v161, v141, v158
	v_dot4_i32_i8 v158, v162, v142, v158
	;; [unrolled: 1-line block ×3, first 2 shown]
	v_add_u32_e32 v158, 0x6190, v38
	v_add_u32_e32 v160, 0x6198, v38
	;; [unrolled: 1-line block ×3, first 2 shown]
	ds_read2_b32 v[158:159], v158 offset1:1
	ds_read2_b32 v[160:161], v160 offset1:1
	ds_read2_b32 v[162:163], v162 offset1:1
	s_waitcnt lgkmcnt(3)
	v_dot4_i32_i8 v128, v128, v130, v164
	v_dot4_i32_i8 v128, v129, v131, v128
	s_waitcnt lgkmcnt(2)
	v_dot4_i32_i8 v128, v158, v132, v128
	v_dot4_i32_i8 v128, v159, v133, v128
	;; [unrolled: 3-line block ×4, first 2 shown]
	v_add_u32_e32 v128, 0x61a8, v38
	ds_read2_b32 v[128:129], v128 offset1:1
	v_add_u32_e32 v130, 0x61b0, v38
	v_add_u32_e32 v132, 0x61b8, v38
	ds_read2_b32 v[164:165], v45 offset1:2
	v_add_u32_e32 v137, 0x20c0, v38
	ds_read2_b32 v[130:131], v130 offset1:1
	ds_read2_b32 v[132:133], v132 offset1:1
	;; [unrolled: 1-line block ×3, first 2 shown]
	s_waitcnt lgkmcnt(4)
	v_dot4_i32_i8 v128, v128, v138, v136
	v_dot4_i32_i8 v128, v129, v139, v128
	v_and_b32_e32 v129, 0xff, v146
	s_waitcnt lgkmcnt(2)
	v_dot4_i32_i8 v128, v130, v140, v128
	v_bfe_u32 v130, v146, 8, 8
	v_mul_lo_u32 v129, v166, v129
	v_mul_lo_u32 v130, v168, v130
	v_dot4_i32_i8 v128, v131, v141, v128
	v_fma_mix_f32 v131, v1, v167, 0 op_sel:[1,0,0] op_sel_hi:[1,0,0]
	v_cvt_f32_i32_e32 v129, v129
	v_cvt_f32_i32_e32 v130, v130
	s_waitcnt lgkmcnt(1)
	v_dot4_i32_i8 v128, v132, v142, v128
	v_bfe_u32 v132, v144, 8, 8
	v_fma_mix_f32 v129, v1, v129, 0 op_sel_hi:[1,0,0]
	v_fma_mix_f32 v129, v2, v130, v129 op_sel_hi:[1,0,0]
	v_fma_mix_f32 v130, v2, v169, v131 op_sel:[1,0,0] op_sel_hi:[1,0,0]
	v_and_b32_e32 v131, 0xff, v144
	v_mul_lo_u32 v131, v174, v131
	v_mul_lo_u32 v132, v176, v132
	v_mul_f32_e32 v130, v130, v170
	v_fma_mix_f32 v129, v129, v127, -v130 op_sel_hi:[0,1,0]
	v_add_f32_e32 v85, v85, v129
	v_cvt_f32_i32_e32 v129, v131
	v_cvt_f32_i32_e32 v130, v132
	v_cvt_f32_ubyte1_e32 v177, v145
	v_cvt_f32_f16_sdwa v178, v171 dst_sel:DWORD dst_unused:UNUSED_PAD src0_sel:WORD_1
	v_fma_mix_f32 v131, v1, v175, 0 op_sel:[1,0,0] op_sel_hi:[1,0,0]
	v_fma_mix_f32 v129, v1, v129, 0 op_sel_hi:[1,0,0]
	v_fma_mix_f32 v129, v2, v130, v129 op_sel_hi:[1,0,0]
	v_fma_mix_f32 v130, v2, v177, v131 op_sel:[1,0,0] op_sel_hi:[1,0,0]
	v_and_b32_e32 v131, 0xff, v156
	v_bfe_u32 v132, v156, 8, 8
	v_mul_lo_u32 v131, v179, v131
	v_mul_lo_u32 v132, v181, v132
	v_mul_f32_e32 v130, v130, v178
	v_fma_mix_f32 v129, v129, v171, -v130 op_sel_hi:[0,1,0]
	v_add_f32_e32 v166, v126, v129
	v_cvt_f32_i32_e32 v126, v131
	v_cvt_f32_i32_e32 v129, v132
	v_cvt_f32_f16_sdwa v183, v172 dst_sel:DWORD dst_unused:UNUSED_PAD src0_sel:WORD_1
	v_cvt_f32_ubyte0_e32 v180, v157
	v_cvt_f32_ubyte1_e32 v182, v157
	v_fma_mix_f32 v130, v1, v180, 0 op_sel:[1,0,0] op_sel_hi:[1,0,0]
	v_fma_mix_f32 v126, v1, v126, 0 op_sel_hi:[1,0,0]
	v_fma_mix_f32 v126, v2, v129, v126 op_sel_hi:[1,0,0]
	v_fma_mix_f32 v129, v2, v182, v130 op_sel:[1,0,0] op_sel_hi:[1,0,0]
	v_mul_f32_e32 v129, v129, v183
	v_and_b32_e32 v130, 0xff, v164
	v_dot4_i32_i8 v128, v133, v143, v128
	v_mul_lo_u32 v130, v134, v130
	v_fma_mix_f32 v126, v126, v172, -v129 op_sel_hi:[0,1,0]
	v_bfe_u32 v129, v164, 8, 8
	v_mul_lo_u32 v128, v128, v129
	v_cvt_f32_i32_e32 v129, v130
	v_add_f32_e32 v168, v125, v126
	v_cvt_f32_f16_sdwa v174, v173 dst_sel:DWORD dst_unused:UNUSED_PAD src0_sel:WORD_1
	v_cvt_f32_i32_e32 v125, v128
	v_cvt_f32_ubyte0_e32 v135, v165
	v_fma_mix_f32 v126, v1, v129, 0 op_sel_hi:[1,0,0]
	v_fma_mix_f32 v1, v1, v135, 0 op_sel:[1,0,0] op_sel_hi:[1,0,0]
	v_fma_mix_f32 v125, v2, v125, v126 op_sel_hi:[1,0,0]
	v_cvt_f32_ubyte1_e32 v126, v165
	v_fma_mix_f32 v1, v2, v126, v1 op_sel:[1,0,0] op_sel_hi:[1,0,0]
	v_mul_f32_e32 v1, v1, v174
	ds_read_b128 v[128:131], v33 offset:64
	v_fma_mix_f32 v1, v125, v173, -v1 op_sel_hi:[0,1,0]
	v_add_f32_e32 v25, v25, v1
	ds_read_b128 v[132:135], v33 offset:80
	ds_read_b128 v[136:139], v33 offset:96
	;; [unrolled: 1-line block ×3, first 2 shown]
	ds_read2_b32 v[1:2], v38 offset0:18 offset1:19
	s_waitcnt lgkmcnt(4)
	v_dot4_i32_i8 v125, v152, v128, 0
	v_dot4_i32_i8 v175, v153, v129, v125
	ds_read2_b32 v[125:126], v38 offset0:20 offset1:21
	ds_read2_b32 v[152:153], v38 offset0:22 offset1:23
	;; [unrolled: 1-line block ×3, first 2 shown]
	v_lshrrev_b32_e32 v162, 24, v146
	s_waitcnt lgkmcnt(3)
	v_dot4_i32_i8 v1, v1, v130, v175
	v_dot4_i32_i8 v1, v2, v131, v1
	s_waitcnt lgkmcnt(2)
	v_dot4_i32_i8 v1, v125, v132, v1
	v_dot4_i32_i8 v1, v126, v133, v1
	;; [unrolled: 3-line block ×4, first 2 shown]
	v_dot4_i32_i8 v1, v148, v138, v1
	v_dot4_i32_i8 v1, v149, v139, v1
	;; [unrolled: 1-line block ×8, first 2 shown]
	v_add_u32_e32 v1, 0x20c8, v38
	ds_read2_b32 v[1:2], v1 offset1:1
	v_cvt_f32_ubyte2_e32 v153, v147
	v_cvt_f32_ubyte3_e32 v154, v147
	v_add_u32_e32 v125, 0x20d0, v38
	v_add_u32_e32 v147, 0x20d8, v38
	v_add_u32_e32 v149, 0x20e0, v38
	ds_read2_b32 v[125:126], v125 offset1:1
	ds_read2_b32 v[147:148], v147 offset1:1
	ds_read2_b32 v[149:150], v149 offset1:1
	s_waitcnt lgkmcnt(3)
	v_dot4_i32_i8 v1, v1, v130, v155
	v_dot4_i32_i8 v1, v2, v131, v1
	s_waitcnt lgkmcnt(2)
	v_dot4_i32_i8 v1, v125, v132, v1
	v_dot4_i32_i8 v1, v126, v133, v1
	s_waitcnt lgkmcnt(1)
	v_dot4_i32_i8 v1, v147, v134, v1
	v_dot4_i32_i8 v155, v148, v135, v1
	s_waitcnt lgkmcnt(0)
	v_dot4_i32_i8 v1, v149, v136, 0
	v_dot4_i32_i8 v159, v150, v137, v1
	v_add_u32_e32 v1, 0x20e8, v38
	ds_read2_b32 v[1:2], v1 offset1:1
	v_add_u32_e32 v125, 0x20f0, v38
	v_add_u32_e32 v147, 0x20f8, v38
	v_add_u32_e32 v149, 0x4140, v38
	ds_read2_b32 v[125:126], v125 offset1:1
	ds_read2_b32 v[147:148], v147 offset1:1
	ds_read2_b32 v[149:150], v149 offset1:1
	s_waitcnt lgkmcnt(3)
	v_dot4_i32_i8 v1, v1, v138, v159
	v_dot4_i32_i8 v1, v2, v139, v1
	s_waitcnt lgkmcnt(2)
	v_dot4_i32_i8 v1, v125, v140, v1
	v_dot4_i32_i8 v1, v126, v141, v1
	s_waitcnt lgkmcnt(1)
	v_dot4_i32_i8 v1, v147, v142, v1
	v_dot4_i32_i8 v159, v148, v143, v1
	s_waitcnt lgkmcnt(0)
	v_dot4_i32_i8 v1, v149, v128, 0
	v_dot4_i32_i8 v160, v150, v129, v1
	v_add_u32_e32 v1, 0x4148, v38
	ds_read2_b32 v[1:2], v1 offset1:1
	;; [unrolled: 20-line block ×5, first 2 shown]
	v_add_u32_e32 v125, 0x61f0, v38
	ds_read2_b32 v[125:126], v125 offset1:1
	v_add_u32_e32 v128, 0x61f8, v38
	ds_read2_b32 v[128:129], v128 offset1:1
	s_waitcnt lgkmcnt(2)
	v_dot4_i32_i8 v1, v1, v138, v132
	v_dot4_i32_i8 v1, v2, v139, v1
	v_bfe_u32 v2, v146, 16, 8
	v_mul_lo_u32 v2, v152, v2
	s_waitcnt lgkmcnt(1)
	v_dot4_i32_i8 v1, v125, v140, v1
	v_mul_lo_u32 v125, v151, v162
	v_dot4_i32_i8 v1, v126, v141, v1
	v_cvt_f32_i32_e32 v2, v2
	v_fma_mix_f32 v126, v3, v153, 0 op_sel:[1,0,0] op_sel_hi:[1,0,0]
	v_cvt_f32_i32_e32 v125, v125
	v_lshrrev_b32_e32 v163, 24, v144
	v_fma_mix_f32 v2, v3, v2, 0 op_sel_hi:[1,0,0]
	s_waitcnt lgkmcnt(0)
	v_dot4_i32_i8 v1, v128, v142, v1
	v_fma_mix_f32 v2, v4, v125, v2 op_sel_hi:[1,0,0]
	v_fma_mix_f32 v125, v4, v154, v126 op_sel:[1,0,0] op_sel_hi:[1,0,0]
	v_bfe_u32 v126, v144, 16, 8
	v_mul_lo_u32 v126, v155, v126
	v_mul_lo_u32 v128, v159, v163
	v_mul_f32_e32 v125, v125, v170
	v_fma_mix_f32 v2, v2, v127, -v125 op_sel_hi:[0,1,0]
	v_cvt_f32_i32_e32 v125, v126
	v_cvt_f32_i32_e32 v126, v128
	v_lshrrev_b32_e32 v167, 24, v156
	v_cvt_f32_ubyte2_e32 v158, v145
	v_fma_mix_f32 v125, v3, v125, 0 op_sel_hi:[1,0,0]
	v_fma_mix_f32 v125, v4, v126, v125 op_sel_hi:[1,0,0]
	v_bfe_u32 v126, v156, 16, 8
	v_mul_lo_u32 v126, v160, v126
	v_cvt_f32_ubyte3_e32 v145, v145
	v_add_f32_e32 v85, v85, v2
	v_fma_mix_f32 v2, v3, v158, 0 op_sel:[1,0,0] op_sel_hi:[1,0,0]
	v_mul_lo_u32 v127, v175, v167
	v_fma_mix_f32 v2, v4, v145, v2 op_sel:[1,0,0] op_sel_hi:[1,0,0]
	v_mul_f32_e32 v2, v2, v178
	v_fma_mix_f32 v2, v125, v171, -v2 op_sel_hi:[0,1,0]
	v_cvt_f32_i32_e32 v125, v126
	v_cvt_f32_i32_e32 v127, v127
	v_lshrrev_b32_e32 v169, 24, v164
	v_dot4_i32_i8 v1, v129, v143, v1
	v_fma_mix_f32 v125, v3, v125, 0 op_sel_hi:[1,0,0]
	v_fma_mix_f32 v125, v4, v127, v125 op_sel_hi:[1,0,0]
	v_bfe_u32 v127, v164, 16, 8
	v_mul_lo_u32 v127, v130, v127
	v_mul_lo_u32 v1, v1, v169
	v_cvt_f32_ubyte2_e32 v161, v157
	v_cvt_f32_ubyte3_e32 v157, v157
	v_add_f32_e32 v126, v166, v2
	v_fma_mix_f32 v2, v3, v161, 0 op_sel:[1,0,0] op_sel_hi:[1,0,0]
	v_cvt_f32_i32_e32 v127, v127
	v_fma_mix_f32 v2, v4, v157, v2 op_sel:[1,0,0] op_sel_hi:[1,0,0]
	v_cvt_f32_i32_e32 v1, v1
	v_mul_f32_e32 v2, v2, v183
	v_fma_mix_f32 v2, v125, v172, -v2 op_sel_hi:[0,1,0]
	v_cvt_f32_ubyte2_e32 v131, v165
	v_add_f32_e32 v125, v168, v2
	v_fma_mix_f32 v2, v3, v127, 0 op_sel_hi:[1,0,0]
	v_fma_mix_f32 v3, v3, v131, 0 op_sel:[1,0,0] op_sel_hi:[1,0,0]
	v_fma_mix_f32 v1, v4, v1, v2 op_sel_hi:[1,0,0]
	v_cvt_f32_ubyte3_e32 v2, v165
	v_fma_mix_f32 v2, v4, v2, v3 op_sel:[1,0,0] op_sel_hi:[1,0,0]
	v_mul_f32_e32 v2, v2, v174
	v_fma_mix_f32 v1, v1, v173, -v2 op_sel_hi:[0,1,0]
	v_add_f32_e32 v25, v25, v1
	s_cmp_ge_i32 s10, s9
	s_barrier
	s_cbranch_scc1 .LBB194_5
; %bb.12:                               ;   in Loop: Header=BB194_6 Depth=1
	v_cmp_gt_i32_e32 vcc, s12, v40
	s_and_b64 s[22:23], s[2:3], vcc
	s_and_saveexec_b64 s[4:5], s[22:23]
	s_cbranch_execz .LBB194_14
; %bb.13:                               ;   in Loop: Header=BB194_6 Depth=1
	v_add_u32_e32 v1, v47, v40
	v_mad_i64_i32 v[1:2], s[22:23], v1, 36, v[21:22]
	global_load_dword v1, v[1:2], off offset:4
	s_waitcnt vmcnt(0)
	ds_write_b32 v34, v1
.LBB194_14:                             ;   in Loop: Header=BB194_6 Depth=1
	s_or_b64 exec, exec, s[4:5]
	s_and_saveexec_b64 s[4:5], s[0:1]
	s_cbranch_execz .LBB194_4
; %bb.15:                               ;   in Loop: Header=BB194_6 Depth=1
	v_add_u32_e32 v1, 4, v124
	v_cmp_gt_i32_e32 vcc, s12, v1
	s_and_b64 s[22:23], s[2:3], vcc
	s_and_b64 exec, exec, s[22:23]
	s_cbranch_execz .LBB194_4
; %bb.16:                               ;   in Loop: Header=BB194_6 Depth=1
	v_ashrrev_i32_e32 v1, 31, v124
	v_add_co_u32_e32 v2, vcc, v47, v124
	v_addc_co_u32_e32 v3, vcc, v48, v1, vcc
	v_mad_u64_u32 v[1:2], s[22:23], v2, 36, s[18:19]
	v_mad_i32_i24 v2, v3, 36, v2
	global_load_dword v1, v[1:2], off offset:144
	v_add_u32_e32 v2, v32, v35
	s_waitcnt vmcnt(0)
	ds_write_b32 v2, v1
	s_branch .LBB194_4
.LBB194_17:
	s_mul_i32 s0, s14, s11
	s_waitcnt vmcnt(0)
	v_cmp_gt_i32_e32 vcc, s0, v26
	s_and_saveexec_b64 s[0:1], vcc
	s_cbranch_execz .LBB194_26
; %bb.18:
	v_mul_lo_u32 v1, v26, s13
	v_add_u32_e32 v0, s15, v0
	v_cmp_gt_u32_e32 vcc, s13, v0
	s_and_saveexec_b64 s[0:1], vcc
	s_cbranch_execz .LBB194_20
; %bb.19:
	v_add_u32_e32 v2, v1, v0
	v_mov_b32_e32 v3, 0
	v_lshlrev_b64 v[2:3], 2, v[2:3]
	v_mov_b32_e32 v4, s21
	v_add_co_u32_e32 v2, vcc, s20, v2
	v_addc_co_u32_e32 v3, vcc, v4, v3, vcc
	global_store_dword v[2:3], v85, off
.LBB194_20:
	s_or_b64 exec, exec, s[0:1]
	v_add_u32_e32 v2, 32, v0
	v_cmp_gt_u32_e32 vcc, s13, v2
	s_and_saveexec_b64 s[0:1], vcc
	s_cbranch_execz .LBB194_22
; %bb.21:
	v_add_u32_e32 v2, v1, v2
	v_mov_b32_e32 v3, 0
	v_lshlrev_b64 v[2:3], 2, v[2:3]
	v_mov_b32_e32 v4, s21
	v_add_co_u32_e32 v2, vcc, s20, v2
	v_addc_co_u32_e32 v3, vcc, v4, v3, vcc
	global_store_dword v[2:3], v126, off
.LBB194_22:
	s_or_b64 exec, exec, s[0:1]
	;; [unrolled: 14-line block ×3, first 2 shown]
	v_add_u32_e32 v0, 0x60, v0
	v_cmp_gt_u32_e32 vcc, s13, v0
	s_and_b64 exec, exec, vcc
	s_cbranch_execz .LBB194_26
; %bb.25:
	v_add_u32_e32 v0, v1, v0
	v_mov_b32_e32 v1, 0
	v_lshlrev_b64 v[0:1], 2, v[0:1]
	v_mov_b32_e32 v2, s21
	v_add_co_u32_e32 v0, vcc, s20, v0
	v_addc_co_u32_e32 v1, vcc, v2, v1, vcc
	global_store_dword v[0:1], v25, off
.LBB194_26:
	s_endpgm
	.section	.rodata,"a",@progbits
	.p2align	6, 0x0
	.amdhsa_kernel _ZL8moe_q5_KIfLb1EEvPKvS1_PT_PKiS5_S5_iiiiiii
		.amdhsa_group_segment_fixed_size 37072
		.amdhsa_private_segment_fixed_size 0
		.amdhsa_kernarg_size 76
		.amdhsa_user_sgpr_count 6
		.amdhsa_user_sgpr_private_segment_buffer 1
		.amdhsa_user_sgpr_dispatch_ptr 0
		.amdhsa_user_sgpr_queue_ptr 0
		.amdhsa_user_sgpr_kernarg_segment_ptr 1
		.amdhsa_user_sgpr_dispatch_id 0
		.amdhsa_user_sgpr_flat_scratch_init 0
		.amdhsa_user_sgpr_private_segment_size 0
		.amdhsa_uses_dynamic_stack 0
		.amdhsa_system_sgpr_private_segment_wavefront_offset 0
		.amdhsa_system_sgpr_workgroup_id_x 1
		.amdhsa_system_sgpr_workgroup_id_y 1
		.amdhsa_system_sgpr_workgroup_id_z 0
		.amdhsa_system_sgpr_workgroup_info 0
		.amdhsa_system_vgpr_workitem_id 1
		.amdhsa_next_free_vgpr 184
		.amdhsa_next_free_sgpr 98
		.amdhsa_reserve_vcc 1
		.amdhsa_reserve_flat_scratch 0
		.amdhsa_float_round_mode_32 0
		.amdhsa_float_round_mode_16_64 0
		.amdhsa_float_denorm_mode_32 3
		.amdhsa_float_denorm_mode_16_64 3
		.amdhsa_dx10_clamp 1
		.amdhsa_ieee_mode 1
		.amdhsa_fp16_overflow 0
		.amdhsa_exception_fp_ieee_invalid_op 0
		.amdhsa_exception_fp_denorm_src 0
		.amdhsa_exception_fp_ieee_div_zero 0
		.amdhsa_exception_fp_ieee_overflow 0
		.amdhsa_exception_fp_ieee_underflow 0
		.amdhsa_exception_fp_ieee_inexact 0
		.amdhsa_exception_int_div_zero 0
	.end_amdhsa_kernel
	.section	.text._ZL8moe_q5_KIfLb1EEvPKvS1_PT_PKiS5_S5_iiiiiii,"axG",@progbits,_ZL8moe_q5_KIfLb1EEvPKvS1_PT_PKiS5_S5_iiiiiii,comdat
.Lfunc_end194:
	.size	_ZL8moe_q5_KIfLb1EEvPKvS1_PT_PKiS5_S5_iiiiiii, .Lfunc_end194-_ZL8moe_q5_KIfLb1EEvPKvS1_PT_PKiS5_S5_iiiiiii
                                        ; -- End function
	.set _ZL8moe_q5_KIfLb1EEvPKvS1_PT_PKiS5_S5_iiiiiii.num_vgpr, 184
	.set _ZL8moe_q5_KIfLb1EEvPKvS1_PT_PKiS5_S5_iiiiiii.num_agpr, 0
	.set _ZL8moe_q5_KIfLb1EEvPKvS1_PT_PKiS5_S5_iiiiiii.numbered_sgpr, 26
	.set _ZL8moe_q5_KIfLb1EEvPKvS1_PT_PKiS5_S5_iiiiiii.num_named_barrier, 0
	.set _ZL8moe_q5_KIfLb1EEvPKvS1_PT_PKiS5_S5_iiiiiii.private_seg_size, 0
	.set _ZL8moe_q5_KIfLb1EEvPKvS1_PT_PKiS5_S5_iiiiiii.uses_vcc, 1
	.set _ZL8moe_q5_KIfLb1EEvPKvS1_PT_PKiS5_S5_iiiiiii.uses_flat_scratch, 0
	.set _ZL8moe_q5_KIfLb1EEvPKvS1_PT_PKiS5_S5_iiiiiii.has_dyn_sized_stack, 0
	.set _ZL8moe_q5_KIfLb1EEvPKvS1_PT_PKiS5_S5_iiiiiii.has_recursion, 0
	.set _ZL8moe_q5_KIfLb1EEvPKvS1_PT_PKiS5_S5_iiiiiii.has_indirect_call, 0
	.section	.AMDGPU.csdata,"",@progbits
; Kernel info:
; codeLenInByte = 12348
; TotalNumSgprs: 30
; NumVgprs: 184
; ScratchSize: 0
; MemoryBound: 0
; FloatMode: 240
; IeeeMode: 1
; LDSByteSize: 37072 bytes/workgroup (compile time only)
; SGPRBlocks: 12
; VGPRBlocks: 45
; NumSGPRsForWavesPerEU: 102
; NumVGPRsForWavesPerEU: 184
; Occupancy: 1
; WaveLimiterHint : 1
; COMPUTE_PGM_RSRC2:SCRATCH_EN: 0
; COMPUTE_PGM_RSRC2:USER_SGPR: 6
; COMPUTE_PGM_RSRC2:TRAP_HANDLER: 0
; COMPUTE_PGM_RSRC2:TGID_X_EN: 1
; COMPUTE_PGM_RSRC2:TGID_Y_EN: 1
; COMPUTE_PGM_RSRC2:TGID_Z_EN: 0
; COMPUTE_PGM_RSRC2:TIDIG_COMP_CNT: 1
	.section	.text._ZL8moe_q6_KIfLb0EEvPKvS1_PT_PKiS5_S5_iiiiiii,"axG",@progbits,_ZL8moe_q6_KIfLb0EEvPKvS1_PT_PKiS5_S5_iiiiiii,comdat
	.globl	_ZL8moe_q6_KIfLb0EEvPKvS1_PT_PKiS5_S5_iiiiiii ; -- Begin function _ZL8moe_q6_KIfLb0EEvPKvS1_PT_PKiS5_S5_iiiiiii
	.p2align	8
	.type	_ZL8moe_q6_KIfLb0EEvPKvS1_PT_PKiS5_S5_iiiiiii,@function
_ZL8moe_q6_KIfLb0EEvPKvS1_PT_PKiS5_S5_iiiiiii: ; @_ZL8moe_q6_KIfLb0EEvPKvS1_PT_PKiS5_S5_iiiiiii
; %bb.0:
	s_load_dwordx4 s[0:3], s[4:5], 0x18
	s_mov_b32 s8, s7
	s_mov_b32 s9, 0
	s_lshl_b64 s[10:11], s[8:9], 2
	s_waitcnt lgkmcnt(0)
	s_add_u32 s2, s2, s10
	s_addc_u32 s3, s3, s11
	s_load_dword s2, s[2:3], 0x0
	s_waitcnt lgkmcnt(0)
	s_cmpk_gt_u32 s2, 0xff
	s_cbranch_scc1 .LBB195_26
; %bb.1:
	s_load_dwordx2 s[10:11], s[4:5], 0x28
	s_lshl_b32 s3, s8, 3
	s_waitcnt lgkmcnt(0)
	s_load_dword s7, s[10:11], 0x0
	s_waitcnt lgkmcnt(0)
	s_cmp_gt_u32 s3, s7
	s_cbranch_scc1 .LBB195_26
; %bb.2:
	v_add_u32_e32 v3, s3, v1
	v_mov_b32_e32 v4, 0
	v_lshlrev_b64 v[2:3], 2, v[3:4]
	v_mov_b32_e32 v5, s1
	v_add_co_u32_e32 v2, vcc, s0, v2
	v_addc_co_u32_e32 v3, vcc, v5, v3, vcc
	global_load_dword v5, v[2:3], off
	s_load_dwordx2 s[14:15], s[4:5], 0x30
	s_load_dwordx2 s[12:13], s[4:5], 0x10
	s_load_dwordx4 s[8:11], s[4:5], 0x3c
	s_lshl_b32 s20, s6, 7
	v_mov_b32_e32 v99, v4
	s_waitcnt lgkmcnt(0)
	s_cmpk_lt_i32 s15, 0x100
	v_mov_b32_e32 v103, v4
	v_mov_b32_e32 v6, v4
	s_cbranch_scc1 .LBB195_17
; %bb.3:
	s_abs_i32 s17, s11
	v_cvt_f32_u32_e32 v30, s17
	v_add_u32_e32 v31, 64, v0
	s_ashr_i32 s0, s15, 31
	v_lshrrev_b32_e32 v32, 3, v31
	v_rcp_iflag_f32_e32 v30, v30
	s_lshr_b32 s0, s0, 24
	s_mov_b32 s3, 0x8200
	v_lshlrev_b32_e32 v33, 2, v32
	v_mul_f32_e32 v30, 0x4f7ffffe, v30
	v_cvt_u32_f32_e32 v34, v30
	v_lshlrev_b32_e32 v31, 4, v31
	s_sub_i32 s18, 0, s17
	s_add_i32 s0, s15, s0
	v_add3_u32 v30, v31, v33, s3
	v_and_b32_e32 v31, 60, v32
	v_mul_lo_u32 v32, s18, v34
	s_ashr_i32 s21, s0, 8
	s_ashr_i32 s0, s9, 31
	v_and_b32_e32 v2, 31, v0
	s_lshr_b32 s0, s0, 27
	v_add_u16_e32 v7, -16, v2
	v_cmp_gt_u32_e32 vcc, 16, v2
	s_add_i32 s0, s9, s0
	v_lshlrev_b32_e32 v3, 1, v2
	v_lshlrev_b32_e32 v99, 2, v2
	v_cndmask_b32_e32 v2, v7, v2, vcc
	s_ashr_i32 s9, s0, 5
	v_cmp_lt_u16_e64 s[0:1], 7, v2
	v_add_u32_e32 v2, 0xe0, v3
	v_mul_hi_u32 v32, v34, v32
	v_cndmask_b32_e32 v2, v2, v3, vcc
	v_and_b32_e32 v2, 0xfe, v2
	v_sub_u32_e32 v2, v3, v2
	v_and_b32_e32 v3, 15, v0
	v_mul_u32_u24_e32 v8, 0x41, v1
	s_waitcnt vmcnt(0)
	v_sub_u32_e32 v39, 0, v5
	v_cndmask_b32_e64 v7, 0, 2, s[0:1]
	v_lshlrev_b32_e32 v2, 2, v2
	v_lshlrev_b32_e32 v3, 2, v3
	;; [unrolled: 1-line block ×3, first 2 shown]
	s_lshl_b32 s0, s21, 3
	v_max_i32_e32 v39, v5, v39
	v_add_u32_e32 v32, v34, v32
	v_add3_u32 v8, v2, v3, v8
	v_mov_b32_e32 v2, s0
	v_mul_hi_u32 v34, v39, v32
	v_mad_i32_i24 v40, s21, v1, v2
	v_lshl_add_u32 v2, v1, 5, v0
	v_and_b32_e32 v3, 0x7f, v2
	v_lshrrev_b32_e32 v2, 3, v2
	v_add_u32_e32 v33, 0x60, v0
	s_mul_i32 s14, s2, s14
	v_mul_i32_i24_e32 v101, s21, v3
	v_and_b32_e32 v2, 12, v2
	v_lshlrev_b32_e32 v3, 2, v3
	s_mov_b32 s2, 0x8e40
	v_lshrrev_b32_e32 v35, 3, v33
	v_add3_u32 v16, v3, v2, s2
	v_lshlrev_b32_e32 v2, 3, v1
	v_lshrrev_b32_e32 v3, 2, v0
	v_lshlrev_b32_e32 v36, 2, v35
	v_lshlrev_b32_e32 v32, 4, v33
	v_and_b32_e32 v33, 60, v35
	v_mul_lo_u32 v35, v34, s17
	v_add_u32_e32 v17, v3, v2
	v_and_b32_e32 v18, 3, v0
	v_add_u16_e32 v2, v3, v2
	v_lshlrev_b32_e32 v107, 2, v18
	v_and_b32_e32 v18, 0x7f, v17
	v_lshrrev_b16_e32 v2, 1, v2
	v_lshl_or_b32 v17, v18, 4, v107
	v_and_b32_e32 v2, 60, v2
	v_add3_u32 v17, v17, v2, s3
	v_xor_b32_e32 v2, 64, v18
	v_add_u32_e32 v28, 32, v0
	v_sub_u32_e32 v35, v39, v35
	v_mul_i32_i24_e32 v104, s21, v2
	v_lshl_or_b32 v3, v2, 4, v107
	v_lshrrev_b32_e32 v2, 1, v2
	v_lshrrev_b32_e32 v27, 3, v28
	v_add3_u32 v32, v32, v36, s3
	v_add_u32_e32 v36, 1, v34
	v_cmp_le_u32_e32 vcc, s17, v35
	s_load_dwordx4 s[4:7], s[4:5], 0x0
	v_lshrrev_b32_e32 v4, 5, v0
	v_and_b32_e32 v2, 60, v2
	v_lshlrev_b32_e32 v29, 2, v27
	v_lshlrev_b32_e32 v28, 4, v28
	v_cndmask_b32_e32 v34, v34, v36, vcc
	v_subrev_u32_e32 v36, s17, v35
	v_mul_i32_i24_e32 v102, s21, v18
	v_add3_u32 v18, v3, v2, s3
	v_lshlrev_b32_e32 v2, 2, v0
	v_lshlrev_b32_e32 v26, 2, v4
	v_add3_u32 v28, v28, v29, s3
	v_and_b32_e32 v29, 60, v27
	v_cndmask_b32_e32 v35, v35, v36, vcc
	v_add_u32_e32 v19, 0x9050, v2
	v_and_b32_e32 v3, 28, v2
	v_add3_u32 v26, v2, v26, s2
	v_add3_u32 v29, v2, v29, s2
	;; [unrolled: 1-line block ×4, first 2 shown]
	v_xor_b32_e32 v2, s11, v5
	v_add_u32_e32 v36, 1, v34
	v_cmp_le_u32_e32 vcc, s17, v35
	v_ashrrev_i32_e32 v2, 31, v2
	v_cndmask_b32_e32 v34, v34, v36, vcc
	s_mul_i32 s16, s21, s20
	v_xor_b32_e32 v34, v34, v2
	v_sub_u32_e32 v34, v34, v2
	s_waitcnt lgkmcnt(0)
	v_mov_b32_e32 v35, s7
	v_add_co_u32_e32 v2, vcc, s6, v3
	s_mul_hi_i32 s19, s16, 0xd2
	v_addc_co_u32_e32 v3, vcc, 0, v35, vcc
	s_mul_i32 s18, s16, 0xd2
	v_mov_b32_e32 v36, s19
	s_movk_i32 s23, 0xd2
	v_mov_b32_e32 v35, s18
	v_mad_u64_u32 v[94:95], s[16:17], v4, s23, v[35:36]
	v_mul_i32_i24_e32 v38, s21, v1
	v_and_b32_e32 v37, 7, v0
	v_mad_u64_u32 v[38:39], s[26:27], v38, s23, v[94:95]
	v_lshlrev_b32_e32 v4, 1, v0
	v_lshlrev_b32_e32 v36, 2, v37
	v_and_or_b32 v4, v4, 32, v36
	v_add_co_u32_e32 v36, vcc, v38, v4
	v_addc_co_u32_e32 v37, vcc, 0, v39, vcc
	v_mov_b32_e32 v41, s5
	v_add_co_u32_e32 v36, vcc, s4, v36
	v_addc_co_u32_e32 v37, vcc, v41, v37, vcc
	s_movk_i32 s22, 0x80
	v_add_co_u32_e32 v36, vcc, s22, v36
	v_addc_co_u32_e32 v37, vcc, 0, v37, vcc
	v_add_co_u32_e32 v38, vcc, v38, v99
	v_mad_u64_u32 v[42:43], s[26:27], v40, s23, v[94:95]
	v_addc_co_u32_e32 v39, vcc, 0, v39, vcc
	v_add_co_u32_e32 v38, vcc, s4, v38
	v_addc_co_u32_e32 v39, vcc, v41, v39, vcc
	v_add_u32_e32 v44, s0, v40
	v_add_co_u32_e32 v40, vcc, v42, v4
	v_addc_co_u32_e32 v41, vcc, 0, v43, vcc
	v_mov_b32_e32 v45, s5
	v_add_co_u32_e32 v40, vcc, s4, v40
	v_addc_co_u32_e32 v41, vcc, v45, v41, vcc
	v_add_co_u32_e32 v40, vcc, s22, v40
	v_addc_co_u32_e32 v41, vcc, 0, v41, vcc
	v_add_co_u32_e32 v42, vcc, v42, v99
	v_mad_u64_u32 v[46:47], s[26:27], v44, s23, v[94:95]
	v_addc_co_u32_e32 v43, vcc, 0, v43, vcc
	v_add_co_u32_e32 v42, vcc, s4, v42
	v_addc_co_u32_e32 v43, vcc, v45, v43, vcc
	v_add_u32_e32 v48, s0, v44
	v_add_co_u32_e32 v44, vcc, v46, v4
	v_addc_co_u32_e32 v45, vcc, 0, v47, vcc
	v_mov_b32_e32 v49, s5
	v_add_co_u32_e32 v44, vcc, s4, v44
	v_addc_co_u32_e32 v45, vcc, v49, v45, vcc
	;; [unrolled: 13-line block ×13, first 2 shown]
	v_add_co_u32_e32 v88, vcc, s22, v88
	v_addc_co_u32_e32 v89, vcc, 0, v89, vcc
	v_add_co_u32_e32 v90, vcc, v90, v99
	v_mad_u64_u32 v[96:97], s[26:27], v92, s23, v[94:95]
	v_addc_co_u32_e32 v91, vcc, 0, v91, vcc
	v_add_co_u32_e32 v90, vcc, s4, v90
	v_addc_co_u32_e32 v91, vcc, v93, v91, vcc
	v_add_co_u32_e32 v92, vcc, v96, v4
	v_addc_co_u32_e32 v93, vcc, 0, v97, vcc
	v_mov_b32_e32 v98, s5
	v_add_co_u32_e32 v92, vcc, s4, v92
	v_addc_co_u32_e32 v93, vcc, v98, v93, vcc
	v_add_co_u32_e32 v92, vcc, s22, v92
	v_addc_co_u32_e32 v93, vcc, 0, v93, vcc
	v_add_co_u32_e32 v96, vcc, v96, v99
	s_mul_i32 s25, s21, 0x78
	v_mov_b32_e32 v20, 0x8a40
	v_addc_co_u32_e32 v100, vcc, 0, v97, vcc
	v_mov_b32_e32 v97, s25
	v_lshl_add_u32 v20, v1, 7, v20
	v_lshlrev_b32_e32 v22, 4, v1
	v_mad_i32_i24 v1, s21, v1, v97
	v_mad_u64_u32 v[97:98], s[26:27], v1, s23, v[94:95]
	v_mov_b32_e32 v103, s5
	v_add_co_u32_e32 v1, vcc, s4, v96
	v_addc_co_u32_e32 v94, vcc, v103, v100, vcc
	v_add_co_u32_e32 v4, vcc, v97, v4
	v_addc_co_u32_e32 v95, vcc, 0, v98, vcc
	v_mov_b32_e32 v96, s5
	v_add_co_u32_e32 v4, vcc, s4, v4
	v_lshrrev_b32_e32 v23, 3, v0
	v_addc_co_u32_e32 v96, vcc, v96, v95, vcc
	v_lshlrev_b32_e32 v24, 2, v23
	v_lshlrev_b32_e32 v25, 4, v0
	v_add_co_u32_e32 v95, vcc, s22, v4
	v_cmp_gt_u32_e64 s[0:1], 4, v0
	v_add3_u32 v24, v25, v24, s3
	v_cmp_gt_i32_e64 s[2:3], s8, v34
	v_addc_co_u32_e32 v96, vcc, 0, v96, vcc
	s_ashr_i32 s24, s14, 31
	s_and_b64 s[16:17], s[0:1], s[2:3]
	v_add_co_u32_e32 v4, vcc, v97, v99
	v_addc_co_u32_e32 v98, vcc, 0, v98, vcc
	s_add_u32 s26, s4, s18
	v_add_u32_e32 v21, v20, v99
	v_mov_b32_e32 v99, s5
	v_add_co_u32_e32 v97, vcc, s4, v4
	s_addc_u32 s27, s5, s19
	v_addc_co_u32_e32 v98, vcc, v99, v98, vcc
	v_mov_b32_e32 v100, s27
	v_mov_b32_e32 v99, s26
	v_mad_u64_u32 v[100:101], s[26:27], v101, s23, v[99:100]
	v_mad_u64_u32 v[102:103], s[26:27], v102, s23, 0
	s_movk_i32 s25, 0xd0
	v_add_co_u32_e32 v100, vcc, s25, v100
	v_addc_co_u32_e32 v101, vcc, 0, v101, vcc
	v_mov_b32_e32 v4, s19
	v_add_co_u32_e32 v99, vcc, s18, v102
	v_addc_co_u32_e32 v4, vcc, v4, v103, vcc
	v_add_co_u32_e32 v99, vcc, v99, v107
	v_addc_co_u32_e32 v4, vcc, 0, v4, vcc
	v_mov_b32_e32 v102, s5
	v_add_co_u32_e32 v99, vcc, s4, v99
	v_mad_u64_u32 v[105:106], s[26:27], v104, s23, 0
	v_addc_co_u32_e32 v4, vcc, v102, v4, vcc
	s_movk_i32 s25, 0xc0
	v_add_co_u32_e32 v102, vcc, s25, v99
	v_addc_co_u32_e32 v104, vcc, 0, v4, vcc
	v_mov_b32_e32 v4, s19
	v_add_co_u32_e32 v99, vcc, s18, v105
	v_addc_co_u32_e32 v4, vcc, v4, v106, vcc
	v_add_co_u32_e32 v99, vcc, v99, v107
	v_mul_lo_u32 v34, v34, s9
	v_addc_co_u32_e32 v4, vcc, 0, v4, vcc
	v_mov_b32_e32 v103, s5
	v_add_co_u32_e32 v99, vcc, s4, v99
	v_addc_co_u32_e32 v4, vcc, v103, v4, vcc
	v_add_u32_e32 v9, 0x30c0, v8
	v_add_co_u32_e32 v105, vcc, s25, v99
	v_mov_b32_e32 v6, 0
	v_add_u32_e32 v10, 0x5140, v8
	v_add_u32_e32 v11, 0x5960, v8
	;; [unrolled: 1-line block ×6, first 2 shown]
	v_mul_u32_u24_e32 v25, 0x104, v0
	v_ashrrev_i32_e32 v35, 31, v34
	v_addc_co_u32_e32 v106, vcc, 0, v4, vcc
	s_mov_b32 s18, 0x30303030
	s_movk_i32 s19, 0x3f00
	s_movk_i32 s23, 0xe000
	v_mov_b32_e32 v107, s24
	v_mov_b32_e32 v108, 8
	v_add_u32_e32 v109, 0x800, v8
	v_add_u32_e32 v110, 0x1000, v8
	;; [unrolled: 1-line block ×8, first 2 shown]
	v_mov_b32_e32 v117, v0
	v_mov_b32_e32 v103, 0
	;; [unrolled: 1-line block ×4, first 2 shown]
	s_branch .LBB195_6
.LBB195_4:                              ;   in Loop: Header=BB195_6 Depth=1
	s_or_b64 exec, exec, s[4:5]
	s_waitcnt lgkmcnt(0)
	s_barrier
	ds_read_b128 v[120:123], v20
	ds_read_b128 v[124:127], v20 offset:16
	ds_read_b128 v[128:131], v20 offset:32
	;; [unrolled: 1-line block ×3, first 2 shown]
	ds_read_b32 v119, v26
	ds_read2_b32 v[136:137], v25 offset0:44 offset1:45
	ds_read2_b32 v[138:139], v25 offset0:38 offset1:39
	ds_read2_b32 v[140:141], v25 offset0:36 offset1:37
	ds_read2_b32 v[142:143], v25 offset0:34 offset1:35
	ds_read2_b32 v[144:145], v25 offset0:32 offset1:33
	ds_read2_b32 v[146:147], v25 offset0:46 offset1:47
	ds_read2_b32 v[148:149], v25 offset0:42 offset1:43
	ds_read2_b32 v[150:151], v25 offset0:40 offset1:41
	s_waitcnt lgkmcnt(7)
	v_dot4_i32_i8 v118, v136, v132, 0
	v_dot4_i32_i8 v118, v137, v133, v118
	s_waitcnt lgkmcnt(2)
	v_dot4_i32_i8 v118, v146, v134, v118
	v_dot4_i32_i8 v160, v147, v135, v118
	s_waitcnt lgkmcnt(0)
	v_dot4_i32_i8 v118, v150, v128, 0
	v_dot4_i32_i8 v118, v151, v129, v118
	v_dot4_i32_i8 v118, v148, v130, v118
	v_dot4_i32_i8 v161, v149, v131, v118
	;; [unrolled: 1-line block ×10, first 2 shown]
	v_add_u32_e32 v118, 0x2118, v25
	ds_read2_b32 v[136:137], v118 offset1:1
	v_add_u32_e32 v118, 0x2110, v25
	v_add_u32_e32 v140, 0x2108, v25
	;; [unrolled: 1-line block ×4, first 2 shown]
	ds_read2_b32 v[138:139], v118 offset1:1
	ds_read2_b32 v[140:141], v140 offset1:1
	;; [unrolled: 1-line block ×4, first 2 shown]
	v_add_u32_e32 v118, 0x2130, v25
	ds_read2_b32 v[146:147], v118 offset1:1
	v_add_u32_e32 v118, 0x2128, v25
	v_add_u32_e32 v150, 0x2120, v25
	;; [unrolled: 1-line block ×3, first 2 shown]
	ds_read2_b32 v[148:149], v118 offset1:1
	ds_read2_b32 v[150:151], v150 offset1:1
	;; [unrolled: 1-line block ×3, first 2 shown]
	s_waitcnt lgkmcnt(3)
	v_dot4_i32_i8 v118, v146, v132, 0
	v_dot4_i32_i8 v118, v147, v133, v118
	;; [unrolled: 1-line block ×4, first 2 shown]
	s_waitcnt lgkmcnt(1)
	v_dot4_i32_i8 v118, v150, v128, 0
	v_dot4_i32_i8 v118, v151, v129, v118
	;; [unrolled: 1-line block ×12, first 2 shown]
	v_add_u32_e32 v136, 0x4190, v25
	v_add_u32_e32 v138, 0x4188, v25
	v_add_u32_e32 v140, 0x4180, v25
	v_add_u32_e32 v142, 0x41b8, v25
	v_add_u32_e32 v144, 0x41b0, v25
	ds_read_b32 v118, v33 offset:384
	ds_read2_b32 v[136:137], v136 offset1:1
	ds_read2_b32 v[138:139], v138 offset1:1
	;; [unrolled: 1-line block ×5, first 2 shown]
	v_add_u32_e32 v146, 0x41a8, v25
	v_add_u32_e32 v148, 0x41a0, v25
	;; [unrolled: 1-line block ×3, first 2 shown]
	ds_read2_b32 v[146:147], v146 offset1:1
	ds_read2_b32 v[148:149], v148 offset1:1
	;; [unrolled: 1-line block ×3, first 2 shown]
	s_waitcnt lgkmcnt(3)
	v_dot4_i32_i8 v144, v144, v132, 0
	v_dot4_i32_i8 v136, v136, v124, 0
	;; [unrolled: 1-line block ×7, first 2 shown]
	s_waitcnt lgkmcnt(1)
	v_dot4_i32_i8 v142, v148, v128, 0
	v_dot4_i32_i8 v170, v153, v127, v136
	;; [unrolled: 1-line block ×9, first 2 shown]
	v_add_u32_e32 v136, 0x6210, v25
	v_add_u32_e32 v138, 0x6208, v25
	;; [unrolled: 1-line block ×5, first 2 shown]
	ds_read2_b32 v[136:137], v136 offset1:1
	ds_read2_b32 v[138:139], v138 offset1:1
	;; [unrolled: 1-line block ×5, first 2 shown]
	v_add_u32_e32 v146, 0x6228, v25
	v_add_u32_e32 v148, 0x6220, v25
	;; [unrolled: 1-line block ×3, first 2 shown]
	ds_read2_b32 v[146:147], v146 offset1:1
	ds_read2_b32 v[148:149], v148 offset1:1
	ds_read2_b32 v[152:153], v152 offset1:1
	s_waitcnt lgkmcnt(3)
	v_dot4_i32_i8 v132, v144, v132, 0
	v_dot4_i32_i8 v124, v136, v124, 0
	;; [unrolled: 1-line block ×3, first 2 shown]
	s_waitcnt lgkmcnt(1)
	v_dot4_i32_i8 v128, v148, v128, 0
	v_dot4_i32_i8 v132, v145, v133, v132
	;; [unrolled: 1-line block ×13, first 2 shown]
	ds_read_b128 v[120:123], v20 offset:80
	ds_read_b128 v[124:127], v20 offset:64
	;; [unrolled: 1-line block ×4, first 2 shown]
	ds_read2_b32 v[136:137], v25 offset0:62 offset1:63
	ds_read2_b32 v[138:139], v25 offset0:60 offset1:61
	;; [unrolled: 1-line block ×7, first 2 shown]
	s_waitcnt lgkmcnt(5)
	v_dot4_i32_i8 v138, v138, v128, 0
	v_dot4_i32_i8 v138, v139, v129, v138
	v_dot4_i32_i8 v136, v136, v130, v138
	v_dot4_i32_i8 v176, v137, v131, v136
	s_waitcnt lgkmcnt(3)
	v_dot4_i32_i8 v136, v142, v120, 0
	v_dot4_i32_i8 v136, v143, v121, v136
	;; [unrolled: 1-line block ×4, first 2 shown]
	s_waitcnt lgkmcnt(1)
	v_dot4_i32_i8 v136, v146, v124, 0
	v_dot4_i32_i8 v136, v147, v125, v136
	;; [unrolled: 1-line block ×3, first 2 shown]
	v_add_u32_e32 v140, 0x6250, v25
	v_add_u32_e32 v142, 0x6248, v25
	;; [unrolled: 1-line block ×5, first 2 shown]
	v_dot4_i32_i8 v178, v145, v127, v136
	ds_read_b128 v[136:139], v22 offset:36944
	ds_read2_b32 v[140:141], v140 offset1:1
	ds_read2_b32 v[142:143], v142 offset1:1
	;; [unrolled: 1-line block ×5, first 2 shown]
	v_add_u32_e32 v154, 0x6268, v25
	v_add_u32_e32 v156, 0x6260, v25
	;; [unrolled: 1-line block ×3, first 2 shown]
	ds_read2_b32 v[154:155], v154 offset1:1
	ds_read2_b32 v[156:157], v156 offset1:1
	;; [unrolled: 1-line block ×3, first 2 shown]
	s_waitcnt lgkmcnt(3)
	v_dot4_i32_i8 v150, v150, v128, 0
	v_dot4_i32_i8 v150, v151, v129, v150
	;; [unrolled: 1-line block ×4, first 2 shown]
	s_waitcnt lgkmcnt(1)
	v_dot4_i32_i8 v146, v156, v132, 0
	v_dot4_i32_i8 v151, v157, v133, v146
	ds_read_b32 v179, v31 offset:256
	ds_read2_b32 v[146:147], v32 offset0:2 offset1:3
	v_dot4_i32_i8 v140, v140, v120, 0
	v_dot4_i32_i8 v140, v141, v121, v140
	;; [unrolled: 1-line block ×4, first 2 shown]
	s_waitcnt lgkmcnt(0)
	v_bfe_i32 v141, v146, 8, 8
	v_bfe_i32 v152, v147, 8, 8
	v_mul_lo_u32 v140, v140, v152
	v_mul_lo_u32 v141, v174, v141
	v_dot4_i32_i8 v144, v144, v124, 0
	v_dot4_i32_i8 v144, v145, v125, v144
	;; [unrolled: 1-line block ×4, first 2 shown]
	v_bfe_i32 v143, v147, 0, 8
	v_mad_u64_u32 v[142:143], s[4:5], v142, v143, v[140:141]
	v_bfe_i32 v144, v146, 0, 8
	v_add_u32_e32 v156, 0x2160, v25
	v_mad_u64_u32 v[140:141], s[4:5], v175, v144, v[141:142]
	v_dot4_i32_i8 v141, v154, v134, v151
	v_dot4_i32_i8 v143, v155, v135, v141
	v_cvt_f32_i32_e32 v151, v140
	v_ashrrev_i32_e32 v140, 24, v147
	v_ashrrev_i32_e32 v141, 24, v146
	v_mul_lo_u32 v140, v150, v140
	v_mul_lo_u32 v141, v172, v141
	v_cvt_f32_i32_e32 v145, v142
	v_bfe_i32 v142, v147, 16, 8
	v_bfe_i32 v144, v146, 16, 8
	v_mad_u64_u32 v[142:143], s[4:5], v143, v142, v[140:141]
	v_fma_f32 v146, v136, v151, 0
	v_fma_f32 v172, v138, v145, 0
	v_mad_u64_u32 v[140:141], s[4:5], v173, v144, v[141:142]
	ds_read2_b32 v[143:144], v24 offset0:2 offset1:3
	v_cvt_f32_i32_e32 v142, v142
	v_cvt_f32_i32_e32 v147, v140
	ds_read2_b32 v[140:141], v25 offset0:56 offset1:57
	v_add_u32_e32 v150, 0x2178, v25
	v_fmac_f32_e32 v172, v139, v142
	v_fmac_f32_e32 v146, v137, v147
	s_waitcnt lgkmcnt(1)
	v_bfe_i32 v142, v143, 0, 8
	s_waitcnt lgkmcnt(0)
	v_dot4_i32_i8 v140, v140, v132, 0
	v_dot4_i32_i8 v140, v141, v133, v140
	v_bfe_i32 v141, v143, 8, 8
	v_mul_lo_u32 v141, v162, v141
	v_dot4_i32_i8 v140, v148, v134, v140
	v_dot4_i32_i8 v147, v149, v135, v140
	v_bfe_i32 v140, v144, 8, 8
	v_mul_lo_u32 v140, v177, v140
	v_mad_u64_u32 v[141:142], s[4:5], v163, v142, v[141:142]
	v_bfe_i32 v145, v144, 0, 8
	v_fmac_f32_e32 v4, v118, v146
	v_mad_u64_u32 v[145:146], s[4:5], v178, v145, v[140:141]
	v_ashrrev_i32_e32 v140, 24, v144
	v_mul_lo_u32 v140, v176, v140
	v_bfe_i32 v148, v144, 16, 8
	v_ashrrev_i32_e32 v142, 24, v143
	v_bfe_i32 v146, v143, 16, 8
	v_mul_lo_u32 v142, v160, v142
	v_mad_u64_u32 v[143:144], s[4:5], v147, v148, v[140:141]
	v_cvt_f32_i32_e32 v140, v141
	v_cvt_f32_i32_e32 v141, v145
	v_mad_u64_u32 v[146:147], s[4:5], v161, v146, v[142:143]
	v_cvt_f32_i32_e32 v142, v143
	v_fma_f32 v144, v136, v140, 0
	v_cvt_f32_i32_e32 v143, v146
	v_fma_f32 v145, v138, v141, 0
	v_fmac_f32_e32 v145, v139, v142
	v_add_u32_e32 v146, 0x2148, v25
	v_fmac_f32_e32 v144, v137, v143
	v_fmac_f32_e32 v6, v119, v144
	;; [unrolled: 1-line block ×3, first 2 shown]
	v_add_u32_e32 v119, 0x2150, v25
	v_add_u32_e32 v148, 0x2140, v25
	ds_read_b32 v162, v29 offset:128
	ds_read2_b32 v[140:141], v30 offset0:2 offset1:3
	ds_read2_b32 v[142:143], v28 offset0:2 offset1:3
	ds_read2_b32 v[144:145], v119 offset1:1
	ds_read2_b32 v[146:147], v146 offset1:1
	;; [unrolled: 1-line block ×4, first 2 shown]
	v_add_u32_e32 v119, 0x2170, v25
	ds_read2_b32 v[152:153], v119 offset1:1
	v_add_u32_e32 v119, 0x2168, v25
	v_add_u32_e32 v160, 0x41d8, v25
	ds_read2_b32 v[154:155], v119 offset1:1
	ds_read2_b32 v[156:157], v156 offset1:1
	;; [unrolled: 1-line block ×3, first 2 shown]
	v_fmac_f32_e32 v4, v118, v172
	s_waitcnt lgkmcnt(3)
	v_dot4_i32_i8 v119, v152, v128, 0
	v_dot4_i32_i8 v119, v153, v129, v119
	;; [unrolled: 1-line block ×4, first 2 shown]
	s_waitcnt lgkmcnt(1)
	v_dot4_i32_i8 v119, v156, v132, 0
	v_dot4_i32_i8 v119, v157, v133, v119
	;; [unrolled: 1-line block ×11, first 2 shown]
	v_bfe_i32 v144, v142, 8, 8
	v_dot4_i32_i8 v119, v159, v123, v119
	v_bfe_i32 v145, v143, 8, 8
	v_mul_lo_u32 v144, v166, v144
	v_mul_lo_u32 v119, v119, v145
	v_bfe_i32 v145, v142, 0, 8
	v_bfe_i32 v147, v143, 0, 8
	v_mad_u64_u32 v[144:145], s[4:5], v167, v145, v[144:145]
	v_bfe_i32 v148, v142, 16, 8
	v_ashrrev_i32_e32 v142, 24, v142
	v_mad_u64_u32 v[145:146], s[4:5], v146, v147, v[119:120]
	v_ashrrev_i32_e32 v119, 24, v143
	v_mul_lo_u32 v142, v164, v142
	v_mul_lo_u32 v119, v150, v119
	v_bfe_i32 v146, v143, 16, 8
	v_add_u32_e32 v154, 0x41e0, v25
	v_mad_u64_u32 v[142:143], s[4:5], v165, v148, v[142:143]
	v_mad_u64_u32 v[146:147], s[4:5], v151, v146, v[119:120]
	v_cvt_f32_i32_e32 v119, v144
	v_cvt_f32_i32_e32 v143, v145
	;; [unrolled: 1-line block ×4, first 2 shown]
	v_fma_f32 v119, v136, v119, 0
	v_fma_f32 v143, v138, v143, 0
	v_fmac_f32_e32 v119, v137, v142
	v_fmac_f32_e32 v143, v139, v144
	;; [unrolled: 1-line block ×3, first 2 shown]
	v_add_u32_e32 v119, 0x41d0, v25
	v_add_u32_e32 v144, 0x41c8, v25
	;; [unrolled: 1-line block ×4, first 2 shown]
	v_fmac_f32_e32 v103, v162, v143
	ds_read2_b32 v[142:143], v119 offset1:1
	ds_read2_b32 v[144:145], v144 offset1:1
	;; [unrolled: 1-line block ×4, first 2 shown]
	v_add_u32_e32 v119, 0x41f0, v25
	ds_read2_b32 v[150:151], v119 offset1:1
	v_add_u32_e32 v119, 0x41e8, v25
	ds_read2_b32 v[152:153], v119 offset1:1
	ds_read2_b32 v[154:155], v154 offset1:1
	s_waitcnt lgkmcnt(0)
	s_barrier
	v_dot4_i32_i8 v119, v150, v128, 0
	v_dot4_i32_i8 v119, v151, v129, v119
	;; [unrolled: 1-line block ×15, first 2 shown]
	v_bfe_i32 v120, v140, 8, 8
	v_mul_lo_u32 v120, v170, v120
	v_dot4_i32_i8 v119, v161, v123, v119
	v_bfe_i32 v121, v141, 8, 8
	v_mul_lo_u32 v119, v119, v121
	v_bfe_i32 v121, v140, 0, 8
	v_mad_u64_u32 v[120:121], s[4:5], v171, v121, v[120:121]
	v_bfe_i32 v123, v141, 0, 8
	v_bfe_i32 v125, v140, 16, 8
	v_mad_u64_u32 v[121:122], s[4:5], v122, v123, v[119:120]
	v_ashrrev_i32_e32 v119, 24, v141
	v_mul_lo_u32 v119, v128, v119
	v_bfe_i32 v123, v141, 16, 8
	v_ashrrev_i32_e32 v122, 24, v140
	v_mul_lo_u32 v122, v168, v122
	v_mad_u64_u32 v[123:124], s[4:5], v129, v123, v[119:120]
	v_cvt_f32_i32_e32 v119, v120
	v_cvt_f32_i32_e32 v120, v121
	v_mad_u64_u32 v[124:125], s[4:5], v169, v125, v[122:123]
	v_cvt_f32_i32_e32 v121, v123
	v_fma_f32 v119, v136, v119, 0
	v_cvt_f32_i32_e32 v122, v124
	v_fma_f32 v120, v138, v120, 0
	v_fmac_f32_e32 v120, v139, v121
	v_fmac_f32_e32 v119, v137, v122
	;; [unrolled: 1-line block ×4, first 2 shown]
.LBB195_5:                              ;   in Loop: Header=BB195_6 Depth=1
	v_add_co_u32_e32 v36, vcc, 0xd2, v36
	v_addc_co_u32_e32 v37, vcc, 0, v37, vcc
	v_add_co_u32_e32 v38, vcc, 0xd2, v38
	v_addc_co_u32_e32 v39, vcc, 0, v39, vcc
	;; [unrolled: 2-line block ×34, first 2 shown]
	s_add_i32 s21, s21, -1
	s_addk_i32 s22, 0x100
	v_add_co_u32_e32 v105, vcc, 0xd2, v105
	v_add_u32_e32 v27, 8, v27
	v_add_u32_e32 v23, 8, v23
	;; [unrolled: 1-line block ×3, first 2 shown]
	s_cmp_eq_u32 s21, 0
	v_addc_co_u32_e32 v106, vcc, 0, v106, vcc
	s_cbranch_scc1 .LBB195_17
.LBB195_6:                              ; =>This Inner Loop Header: Depth=1
	v_add_co_u32_e32 v118, vcc, s14, v38
	v_addc_co_u32_e32 v119, vcc, v39, v107, vcc
	global_load_dword v122, v[118:119], off
	v_add_co_u32_e32 v118, vcc, s14, v36
	v_addc_co_u32_e32 v119, vcc, v37, v107, vcc
	global_load_dword v123, v[118:119], off
	;; [unrolled: 3-line block ×4, first 2 shown]
	v_add_co_u32_e32 v118, vcc, s14, v46
	v_addc_co_u32_e32 v119, vcc, v47, v107, vcc
	v_add_co_u32_e32 v120, vcc, s14, v44
	v_addc_co_u32_e32 v121, vcc, v45, v107, vcc
	global_load_dword v127, v[120:121], off
	global_load_dword v126, v[118:119], off
	v_add_co_u32_e32 v118, vcc, s14, v50
	v_addc_co_u32_e32 v119, vcc, v51, v107, vcc
	v_add_co_u32_e32 v120, vcc, s14, v48
	v_addc_co_u32_e32 v121, vcc, v49, v107, vcc
	global_load_dword v128, v[118:119], off
	s_nop 0
	global_load_dword v120, v[120:121], off
	s_add_i32 s4, s22, 0xffffff80
	s_cmp_lt_i32 s4, s15
	s_waitcnt vmcnt(7)
	v_lshrrev_b32_e32 v119, 4, v122
	v_and_b32_e32 v118, 0xf0f0f0f, v122
	v_and_b32_e32 v119, 0xf0f0f0f, v119
	s_waitcnt vmcnt(6)
	v_ashrrev_i32_e32 v121, v7, v123
	v_and_or_b32 v119, v121, s18, v119
	v_lshlrev_b16_e32 v130, 8, v119
	v_and_b32_sdwa v131, v119, s19 dst_sel:DWORD dst_unused:UNUSED_PAD src0_sel:WORD_1 src1_sel:DWORD
	v_add_u16_e32 v130, 0xe000, v130
	s_waitcnt vmcnt(5)
	v_and_b32_e32 v122, 0xf0f0f0f, v124
	v_lshrrev_b32_e32 v123, 4, v124
	v_and_b32_e32 v123, 0xf0f0f0f, v123
	s_waitcnt vmcnt(4)
	v_ashrrev_i32_e32 v124, v7, v125
	v_lshlrev_b32_e32 v125, 4, v121
	v_lshlrev_b32_e32 v129, 4, v124
	v_and_or_b32 v118, v125, s18, v118
	v_and_or_b32 v121, v129, s18, v122
	;; [unrolled: 1-line block ×3, first 2 shown]
	v_and_b32_e32 v123, 0x3f00, v118
	v_lshlrev_b16_e32 v124, 8, v118
	v_and_b32_sdwa v125, v118, s19 dst_sel:DWORD dst_unused:UNUSED_PAD src0_sel:WORD_1 src1_sel:DWORD
	v_lshlrev_b16_sdwa v118, v108, v118 dst_sel:DWORD dst_unused:UNUSED_PAD src0_sel:DWORD src1_sel:WORD_1
	v_and_b32_e32 v129, 0x3f00, v119
	v_lshlrev_b16_sdwa v119, v108, v119 dst_sel:DWORD dst_unused:UNUSED_PAD src0_sel:DWORD src1_sel:WORD_1
	v_add_u16_e32 v124, 0xe000, v124
	v_add_u16_e32 v118, 0xe000, v118
	;; [unrolled: 1-line block ×3, first 2 shown]
	v_or_b32_sdwa v123, v123, v124 dst_sel:DWORD dst_unused:UNUSED_PAD src0_sel:DWORD src1_sel:BYTE_1
	v_or_b32_sdwa v118, v125, v118 dst_sel:DWORD dst_unused:UNUSED_PAD src0_sel:DWORD src1_sel:BYTE_1
	;; [unrolled: 1-line block ×4, first 2 shown]
	v_add_u16_e32 v123, 0xe000, v123
	v_add_u16_sdwa v118, v118, s23 dst_sel:WORD_1 dst_unused:UNUSED_PAD src0_sel:DWORD src1_sel:DWORD
	v_add_u16_e32 v124, 0xe000, v124
	v_add_u16_sdwa v119, v119, s23 dst_sel:WORD_1 dst_unused:UNUSED_PAD src0_sel:DWORD src1_sel:DWORD
	v_lshlrev_b16_e32 v136, 8, v122
	v_or_b32_e32 v118, v123, v118
	v_or_b32_e32 v119, v124, v119
	v_and_b32_e32 v132, 0x3f00, v121
	v_lshlrev_b16_e32 v133, 8, v121
	v_and_b32_sdwa v134, v121, s19 dst_sel:DWORD dst_unused:UNUSED_PAD src0_sel:WORD_1 src1_sel:DWORD
	v_lshlrev_b16_sdwa v121, v108, v121 dst_sel:DWORD dst_unused:UNUSED_PAD src0_sel:DWORD src1_sel:WORD_1
	v_and_b32_e32 v135, 0x3f00, v122
	ds_write2_b32 v8, v118, v119 offset1:16
	v_add_u16_e32 v118, 0xe000, v136
	v_add_u16_e32 v133, 0xe000, v133
	v_add_u16_e32 v121, 0xe000, v121
	v_or_b32_sdwa v118, v135, v118 dst_sel:DWORD dst_unused:UNUSED_PAD src0_sel:DWORD src1_sel:BYTE_1
	v_or_b32_sdwa v125, v132, v133 dst_sel:DWORD dst_unused:UNUSED_PAD src0_sel:DWORD src1_sel:BYTE_1
	;; [unrolled: 1-line block ×3, first 2 shown]
	v_add_u16_e32 v123, 0xe000, v118
	v_add_co_u32_e32 v118, vcc, s14, v54
	v_add_u16_e32 v125, 0xe000, v125
	v_add_u16_sdwa v121, v121, s23 dst_sel:WORD_1 dst_unused:UNUSED_PAD src0_sel:DWORD src1_sel:DWORD
	v_addc_co_u32_e32 v119, vcc, v55, v107, vcc
	v_or_b32_e32 v121, v125, v121
	global_load_dword v125, v[118:119], off
	v_add_co_u32_e32 v118, vcc, s14, v52
	v_addc_co_u32_e32 v119, vcc, v53, v107, vcc
	global_load_dword v129, v[118:119], off
	v_lshlrev_b16_sdwa v118, v108, v122 dst_sel:DWORD dst_unused:UNUSED_PAD src0_sel:DWORD src1_sel:WORD_1
	v_and_b32_sdwa v124, v122, s19 dst_sel:DWORD dst_unused:UNUSED_PAD src0_sel:WORD_1 src1_sel:DWORD
	v_add_u16_e32 v118, 0xe000, v118
	v_or_b32_sdwa v118, v124, v118 dst_sel:DWORD dst_unused:UNUSED_PAD src0_sel:DWORD src1_sel:BYTE_1
	v_add_u16_sdwa v118, v118, s23 dst_sel:WORD_1 dst_unused:UNUSED_PAD src0_sel:DWORD src1_sel:DWORD
	v_or_b32_e32 v118, v123, v118
	ds_write2_b32 v109, v121, v118 offset0:8 offset1:24
	s_waitcnt vmcnt(5)
	v_ashrrev_i32_e32 v121, v7, v127
	s_waitcnt vmcnt(4)
	v_and_b32_e32 v118, 0xf0f0f0f, v126
	v_lshlrev_b32_e32 v122, 4, v121
	v_and_or_b32 v118, v122, s18, v118
	v_lshlrev_b16_e32 v123, 8, v118
	v_and_b32_e32 v122, 0x3f00, v118
	v_add_u16_e32 v123, 0xe000, v123
	v_or_b32_sdwa v122, v122, v123 dst_sel:DWORD dst_unused:UNUSED_PAD src0_sel:DWORD src1_sel:BYTE_1
	v_and_b32_sdwa v123, v118, s19 dst_sel:DWORD dst_unused:UNUSED_PAD src0_sel:WORD_1 src1_sel:DWORD
	v_lshlrev_b16_sdwa v118, v108, v118 dst_sel:DWORD dst_unused:UNUSED_PAD src0_sel:DWORD src1_sel:WORD_1
	v_lshrrev_b32_e32 v119, 4, v126
	v_add_u16_e32 v118, 0xe000, v118
	v_and_b32_e32 v119, 0xf0f0f0f, v119
	v_or_b32_sdwa v118, v123, v118 dst_sel:DWORD dst_unused:UNUSED_PAD src0_sel:DWORD src1_sel:BYTE_1
	v_add_u16_e32 v122, 0xe000, v122
	v_add_u16_sdwa v118, v118, s23 dst_sel:WORD_1 dst_unused:UNUSED_PAD src0_sel:DWORD src1_sel:DWORD
	v_and_or_b32 v119, v121, s18, v119
	v_or_b32_e32 v118, v122, v118
	v_lshlrev_b16_e32 v122, 8, v119
	v_and_b32_e32 v121, 0x3f00, v119
	v_add_u16_e32 v122, 0xe000, v122
	v_or_b32_sdwa v121, v121, v122 dst_sel:DWORD dst_unused:UNUSED_PAD src0_sel:DWORD src1_sel:BYTE_1
	v_and_b32_sdwa v122, v119, s19 dst_sel:DWORD dst_unused:UNUSED_PAD src0_sel:WORD_1 src1_sel:DWORD
	v_lshlrev_b16_sdwa v119, v108, v119 dst_sel:DWORD dst_unused:UNUSED_PAD src0_sel:DWORD src1_sel:WORD_1
	v_add_u16_e32 v119, 0xe000, v119
	v_or_b32_sdwa v119, v122, v119 dst_sel:DWORD dst_unused:UNUSED_PAD src0_sel:DWORD src1_sel:BYTE_1
	v_add_u16_e32 v121, 0xe000, v121
	v_add_u16_sdwa v119, v119, s23 dst_sel:WORD_1 dst_unused:UNUSED_PAD src0_sel:DWORD src1_sel:DWORD
	v_or_b32_e32 v119, v121, v119
	ds_write2_b32 v110, v118, v119 offset0:16 offset1:32
	s_waitcnt vmcnt(3)
	v_lshrrev_b32_e32 v118, 4, v128
	v_and_b32_e32 v122, 0xf0f0f0f, v118
	v_add_co_u32_e32 v118, vcc, s14, v58
	v_addc_co_u32_e32 v119, vcc, v59, v107, vcc
	global_load_dword v123, v[118:119], off
	v_add_co_u32_e32 v118, vcc, s14, v56
	v_addc_co_u32_e32 v119, vcc, v57, v107, vcc
	global_load_dword v124, v[118:119], off
	s_waitcnt vmcnt(4)
	v_ashrrev_i32_e32 v120, v7, v120
	v_and_b32_e32 v121, 0xf0f0f0f, v128
	v_lshlrev_b32_e32 v118, 4, v120
	v_and_or_b32 v118, v118, s18, v121
	v_lshlrev_b16_e32 v121, 8, v118
	v_and_b32_e32 v119, 0x3f00, v118
	v_add_u16_e32 v121, 0xe000, v121
	v_or_b32_sdwa v119, v119, v121 dst_sel:DWORD dst_unused:UNUSED_PAD src0_sel:DWORD src1_sel:BYTE_1
	v_and_b32_sdwa v121, v118, s19 dst_sel:DWORD dst_unused:UNUSED_PAD src0_sel:WORD_1 src1_sel:DWORD
	v_lshlrev_b16_sdwa v118, v108, v118 dst_sel:DWORD dst_unused:UNUSED_PAD src0_sel:DWORD src1_sel:WORD_1
	v_add_u16_e32 v118, 0xe000, v118
	v_or_b32_sdwa v118, v121, v118 dst_sel:DWORD dst_unused:UNUSED_PAD src0_sel:DWORD src1_sel:BYTE_1
	v_add_u16_e32 v119, 0xe000, v119
	v_add_u16_sdwa v118, v118, s23 dst_sel:WORD_1 dst_unused:UNUSED_PAD src0_sel:DWORD src1_sel:DWORD
	v_or_b32_e32 v118, v119, v118
	v_and_or_b32 v119, v120, s18, v122
	v_lshlrev_b16_e32 v121, 8, v119
	v_and_b32_e32 v120, 0x3f00, v119
	v_add_u16_e32 v121, 0xe000, v121
	v_or_b32_sdwa v120, v120, v121 dst_sel:DWORD dst_unused:UNUSED_PAD src0_sel:DWORD src1_sel:BYTE_1
	v_and_b32_sdwa v121, v119, s19 dst_sel:DWORD dst_unused:UNUSED_PAD src0_sel:WORD_1 src1_sel:DWORD
	v_lshlrev_b16_sdwa v119, v108, v119 dst_sel:DWORD dst_unused:UNUSED_PAD src0_sel:DWORD src1_sel:WORD_1
	v_add_u16_e32 v119, 0xe000, v119
	v_or_b32_sdwa v119, v121, v119 dst_sel:DWORD dst_unused:UNUSED_PAD src0_sel:DWORD src1_sel:BYTE_1
	v_add_u16_e32 v120, 0xe000, v120
	v_add_u16_sdwa v119, v119, s23 dst_sel:WORD_1 dst_unused:UNUSED_PAD src0_sel:DWORD src1_sel:DWORD
	v_or_b32_e32 v119, v120, v119
	ds_write2_b32 v111, v118, v119 offset0:24 offset1:40
	s_waitcnt vmcnt(3)
	v_lshrrev_b32_e32 v118, 4, v125
	v_and_b32_e32 v121, 0xf0f0f0f, v118
	v_add_co_u32_e32 v118, vcc, s14, v62
	v_addc_co_u32_e32 v119, vcc, v63, v107, vcc
	v_and_b32_e32 v120, 0xf0f0f0f, v125
	global_load_dword v125, v[118:119], off
	v_add_co_u32_e32 v118, vcc, s14, v60
	v_addc_co_u32_e32 v119, vcc, v61, v107, vcc
	global_load_dword v126, v[118:119], off
	s_waitcnt vmcnt(4)
	v_ashrrev_i32_e32 v122, v7, v129
	v_lshlrev_b32_e32 v118, 4, v122
	v_and_or_b32 v118, v118, s18, v120
	v_lshlrev_b16_e32 v120, 8, v118
	v_and_b32_e32 v119, 0x3f00, v118
	v_add_u16_e32 v120, 0xe000, v120
	v_or_b32_sdwa v119, v119, v120 dst_sel:DWORD dst_unused:UNUSED_PAD src0_sel:DWORD src1_sel:BYTE_1
	v_and_b32_sdwa v120, v118, s19 dst_sel:DWORD dst_unused:UNUSED_PAD src0_sel:WORD_1 src1_sel:DWORD
	v_lshlrev_b16_sdwa v118, v108, v118 dst_sel:DWORD dst_unused:UNUSED_PAD src0_sel:DWORD src1_sel:WORD_1
	v_add_u16_e32 v118, 0xe000, v118
	v_or_b32_sdwa v118, v120, v118 dst_sel:DWORD dst_unused:UNUSED_PAD src0_sel:DWORD src1_sel:BYTE_1
	v_add_u16_e32 v119, 0xe000, v119
	v_add_u16_sdwa v118, v118, s23 dst_sel:WORD_1 dst_unused:UNUSED_PAD src0_sel:DWORD src1_sel:DWORD
	v_and_or_b32 v121, v122, s18, v121
	v_or_b32_e32 v120, v119, v118
	v_lshlrev_b16_e32 v119, 8, v121
	v_and_b32_e32 v118, 0x3f00, v121
	v_add_u16_e32 v119, 0xe000, v119
	v_or_b32_sdwa v118, v118, v119 dst_sel:DWORD dst_unused:UNUSED_PAD src0_sel:DWORD src1_sel:BYTE_1
	v_add_u16_e32 v122, 0xe000, v118
	v_add_co_u32_e32 v118, vcc, s14, v66
	v_addc_co_u32_e32 v119, vcc, v67, v107, vcc
	global_load_dword v128, v[118:119], off
	v_add_co_u32_e32 v118, vcc, s14, v64
	v_addc_co_u32_e32 v119, vcc, v65, v107, vcc
	global_load_dword v129, v[118:119], off
	v_lshlrev_b16_sdwa v118, v108, v121 dst_sel:DWORD dst_unused:UNUSED_PAD src0_sel:DWORD src1_sel:WORD_1
	v_and_b32_sdwa v127, v121, s19 dst_sel:DWORD dst_unused:UNUSED_PAD src0_sel:WORD_1 src1_sel:DWORD
	v_add_u16_e32 v118, 0xe000, v118
	v_or_b32_sdwa v118, v127, v118 dst_sel:DWORD dst_unused:UNUSED_PAD src0_sel:DWORD src1_sel:BYTE_1
	v_add_u16_sdwa v118, v118, s23 dst_sel:WORD_1 dst_unused:UNUSED_PAD src0_sel:DWORD src1_sel:DWORD
	v_or_b32_e32 v118, v122, v118
	ds_write2_b32 v112, v120, v118 offset0:32 offset1:48
	s_waitcnt vmcnt(5)
	v_and_b32_e32 v118, 0xf0f0f0f, v123
	s_waitcnt vmcnt(4)
	v_ashrrev_i32_e32 v120, v7, v124
	v_lshlrev_b32_e32 v121, 4, v120
	v_and_or_b32 v118, v121, s18, v118
	v_lshlrev_b16_e32 v122, 8, v118
	v_and_b32_e32 v121, 0x3f00, v118
	v_add_u16_e32 v122, 0xe000, v122
	v_lshrrev_b32_e32 v119, 4, v123
	v_or_b32_sdwa v121, v121, v122 dst_sel:DWORD dst_unused:UNUSED_PAD src0_sel:DWORD src1_sel:BYTE_1
	v_and_b32_sdwa v122, v118, s19 dst_sel:DWORD dst_unused:UNUSED_PAD src0_sel:WORD_1 src1_sel:DWORD
	v_lshlrev_b16_sdwa v118, v108, v118 dst_sel:DWORD dst_unused:UNUSED_PAD src0_sel:DWORD src1_sel:WORD_1
	v_and_b32_e32 v119, 0xf0f0f0f, v119
	v_add_u16_e32 v118, 0xe000, v118
	v_or_b32_sdwa v118, v122, v118 dst_sel:DWORD dst_unused:UNUSED_PAD src0_sel:DWORD src1_sel:BYTE_1
	v_and_or_b32 v120, v120, s18, v119
	v_add_u16_e32 v121, 0xe000, v121
	v_add_u16_sdwa v118, v118, s23 dst_sel:WORD_1 dst_unused:UNUSED_PAD src0_sel:DWORD src1_sel:DWORD
	v_lshlrev_b16_e32 v119, 8, v120
	v_or_b32_e32 v121, v121, v118
	v_and_b32_e32 v118, 0x3f00, v120
	v_add_u16_e32 v119, 0xe000, v119
	v_or_b32_sdwa v118, v118, v119 dst_sel:DWORD dst_unused:UNUSED_PAD src0_sel:DWORD src1_sel:BYTE_1
	v_add_u16_e32 v122, 0xe000, v118
	v_add_co_u32_e32 v118, vcc, s14, v70
	v_addc_co_u32_e32 v119, vcc, v71, v107, vcc
	global_load_dword v124, v[118:119], off
	v_add_co_u32_e32 v118, vcc, s14, v68
	v_addc_co_u32_e32 v119, vcc, v69, v107, vcc
	global_load_dword v127, v[118:119], off
	v_lshlrev_b16_sdwa v118, v108, v120 dst_sel:DWORD dst_unused:UNUSED_PAD src0_sel:DWORD src1_sel:WORD_1
	v_and_b32_sdwa v123, v120, s19 dst_sel:DWORD dst_unused:UNUSED_PAD src0_sel:WORD_1 src1_sel:DWORD
	v_add_u16_e32 v118, 0xe000, v118
	v_or_b32_sdwa v118, v123, v118 dst_sel:DWORD dst_unused:UNUSED_PAD src0_sel:DWORD src1_sel:BYTE_1
	v_add_u16_sdwa v118, v118, s23 dst_sel:WORD_1 dst_unused:UNUSED_PAD src0_sel:DWORD src1_sel:DWORD
	v_or_b32_e32 v118, v122, v118
	ds_write2_b32 v113, v121, v118 offset0:40 offset1:56
	s_waitcnt vmcnt(5)
	v_and_b32_e32 v118, 0xf0f0f0f, v125
	v_lshrrev_b32_e32 v119, 4, v125
	s_waitcnt vmcnt(4)
	v_ashrrev_i32_e32 v120, v7, v126
	v_lshlrev_b32_e32 v121, 4, v120
	v_and_or_b32 v118, v121, s18, v118
	v_lshlrev_b16_e32 v122, 8, v118
	v_and_b32_e32 v121, 0x3f00, v118
	v_add_u16_e32 v122, 0xe000, v122
	v_or_b32_sdwa v121, v121, v122 dst_sel:DWORD dst_unused:UNUSED_PAD src0_sel:DWORD src1_sel:BYTE_1
	v_and_b32_sdwa v122, v118, s19 dst_sel:DWORD dst_unused:UNUSED_PAD src0_sel:WORD_1 src1_sel:DWORD
	v_lshlrev_b16_sdwa v118, v108, v118 dst_sel:DWORD dst_unused:UNUSED_PAD src0_sel:DWORD src1_sel:WORD_1
	v_add_u16_e32 v118, 0xe000, v118
	v_and_b32_e32 v119, 0xf0f0f0f, v119
	v_or_b32_sdwa v118, v122, v118 dst_sel:DWORD dst_unused:UNUSED_PAD src0_sel:DWORD src1_sel:BYTE_1
	v_add_u16_e32 v121, 0xe000, v121
	v_add_u16_sdwa v118, v118, s23 dst_sel:WORD_1 dst_unused:UNUSED_PAD src0_sel:DWORD src1_sel:DWORD
	v_and_or_b32 v119, v120, s18, v119
	v_or_b32_e32 v118, v121, v118
	v_lshlrev_b16_e32 v121, 8, v119
	v_and_b32_e32 v120, 0x3f00, v119
	v_add_u16_e32 v121, 0xe000, v121
	v_or_b32_sdwa v120, v120, v121 dst_sel:DWORD dst_unused:UNUSED_PAD src0_sel:DWORD src1_sel:BYTE_1
	v_and_b32_sdwa v121, v119, s19 dst_sel:DWORD dst_unused:UNUSED_PAD src0_sel:WORD_1 src1_sel:DWORD
	v_lshlrev_b16_sdwa v119, v108, v119 dst_sel:DWORD dst_unused:UNUSED_PAD src0_sel:DWORD src1_sel:WORD_1
	v_add_u16_e32 v119, 0xe000, v119
	v_or_b32_sdwa v119, v121, v119 dst_sel:DWORD dst_unused:UNUSED_PAD src0_sel:DWORD src1_sel:BYTE_1
	v_add_u16_e32 v120, 0xe000, v120
	v_add_u16_sdwa v119, v119, s23 dst_sel:WORD_1 dst_unused:UNUSED_PAD src0_sel:DWORD src1_sel:DWORD
	v_or_b32_e32 v119, v120, v119
	ds_write2_b32 v9, v118, v119 offset1:16
	s_waitcnt vmcnt(3)
	v_lshrrev_b32_e32 v118, 4, v128
	v_and_b32_e32 v121, 0xf0f0f0f, v118
	v_add_co_u32_e32 v118, vcc, s14, v74
	v_addc_co_u32_e32 v119, vcc, v75, v107, vcc
	global_load_dword v123, v[118:119], off
	v_add_co_u32_e32 v118, vcc, s14, v72
	s_waitcnt vmcnt(3)
	v_ashrrev_i32_e32 v122, v7, v129
	v_addc_co_u32_e32 v119, vcc, v73, v107, vcc
	v_and_b32_e32 v120, 0xf0f0f0f, v128
	global_load_dword v125, v[118:119], off
	v_lshlrev_b32_e32 v118, 4, v122
	v_and_or_b32 v118, v118, s18, v120
	v_lshlrev_b16_e32 v120, 8, v118
	v_and_b32_e32 v119, 0x3f00, v118
	v_add_u16_e32 v120, 0xe000, v120
	v_or_b32_sdwa v119, v119, v120 dst_sel:DWORD dst_unused:UNUSED_PAD src0_sel:DWORD src1_sel:BYTE_1
	v_and_b32_sdwa v120, v118, s19 dst_sel:DWORD dst_unused:UNUSED_PAD src0_sel:WORD_1 src1_sel:DWORD
	v_lshlrev_b16_sdwa v118, v108, v118 dst_sel:DWORD dst_unused:UNUSED_PAD src0_sel:DWORD src1_sel:WORD_1
	v_add_u16_e32 v118, 0xe000, v118
	v_or_b32_sdwa v118, v120, v118 dst_sel:DWORD dst_unused:UNUSED_PAD src0_sel:DWORD src1_sel:BYTE_1
	v_add_u16_e32 v119, 0xe000, v119
	v_add_u16_sdwa v118, v118, s23 dst_sel:WORD_1 dst_unused:UNUSED_PAD src0_sel:DWORD src1_sel:DWORD
	v_or_b32_e32 v118, v119, v118
	v_and_or_b32 v119, v122, s18, v121
	v_lshlrev_b16_e32 v121, 8, v119
	v_and_b32_e32 v120, 0x3f00, v119
	v_add_u16_e32 v121, 0xe000, v121
	v_or_b32_sdwa v120, v120, v121 dst_sel:DWORD dst_unused:UNUSED_PAD src0_sel:DWORD src1_sel:BYTE_1
	v_and_b32_sdwa v121, v119, s19 dst_sel:DWORD dst_unused:UNUSED_PAD src0_sel:WORD_1 src1_sel:DWORD
	v_lshlrev_b16_sdwa v119, v108, v119 dst_sel:DWORD dst_unused:UNUSED_PAD src0_sel:DWORD src1_sel:WORD_1
	v_add_u16_e32 v119, 0xe000, v119
	v_or_b32_sdwa v119, v121, v119 dst_sel:DWORD dst_unused:UNUSED_PAD src0_sel:DWORD src1_sel:BYTE_1
	v_add_u16_e32 v120, 0xe000, v120
	v_add_u16_sdwa v119, v119, s23 dst_sel:WORD_1 dst_unused:UNUSED_PAD src0_sel:DWORD src1_sel:DWORD
	v_or_b32_e32 v119, v120, v119
	ds_write2_b32 v114, v118, v119 offset0:8 offset1:24
	s_waitcnt vmcnt(3)
	v_lshrrev_b32_e32 v118, 4, v124
	v_and_b32_e32 v121, 0xf0f0f0f, v118
	v_add_co_u32_e32 v118, vcc, s14, v78
	v_addc_co_u32_e32 v119, vcc, v79, v107, vcc
	v_and_b32_e32 v120, 0xf0f0f0f, v124
	global_load_dword v124, v[118:119], off
	v_add_co_u32_e32 v118, vcc, s14, v76
	v_addc_co_u32_e32 v119, vcc, v77, v107, vcc
	global_load_dword v126, v[118:119], off
	s_waitcnt vmcnt(4)
	v_ashrrev_i32_e32 v122, v7, v127
	v_lshlrev_b32_e32 v118, 4, v122
	v_and_or_b32 v118, v118, s18, v120
	v_lshlrev_b16_e32 v120, 8, v118
	v_and_b32_e32 v119, 0x3f00, v118
	v_add_u16_e32 v120, 0xe000, v120
	v_or_b32_sdwa v119, v119, v120 dst_sel:DWORD dst_unused:UNUSED_PAD src0_sel:DWORD src1_sel:BYTE_1
	v_and_b32_sdwa v120, v118, s19 dst_sel:DWORD dst_unused:UNUSED_PAD src0_sel:WORD_1 src1_sel:DWORD
	v_lshlrev_b16_sdwa v118, v108, v118 dst_sel:DWORD dst_unused:UNUSED_PAD src0_sel:DWORD src1_sel:WORD_1
	v_add_u16_e32 v118, 0xe000, v118
	v_or_b32_sdwa v118, v120, v118 dst_sel:DWORD dst_unused:UNUSED_PAD src0_sel:DWORD src1_sel:BYTE_1
	v_add_u16_e32 v119, 0xe000, v119
	v_add_u16_sdwa v118, v118, s23 dst_sel:WORD_1 dst_unused:UNUSED_PAD src0_sel:DWORD src1_sel:DWORD
	v_and_or_b32 v121, v122, s18, v121
	v_or_b32_e32 v120, v119, v118
	v_lshlrev_b16_e32 v119, 8, v121
	v_and_b32_e32 v118, 0x3f00, v121
	v_add_u16_e32 v119, 0xe000, v119
	v_or_b32_sdwa v118, v118, v119 dst_sel:DWORD dst_unused:UNUSED_PAD src0_sel:DWORD src1_sel:BYTE_1
	v_add_u16_e32 v122, 0xe000, v118
	v_add_co_u32_e32 v118, vcc, s14, v82
	v_addc_co_u32_e32 v119, vcc, v83, v107, vcc
	global_load_dword v128, v[118:119], off
	v_add_co_u32_e32 v118, vcc, s14, v80
	v_addc_co_u32_e32 v119, vcc, v81, v107, vcc
	global_load_dword v129, v[118:119], off
	v_lshlrev_b16_sdwa v118, v108, v121 dst_sel:DWORD dst_unused:UNUSED_PAD src0_sel:DWORD src1_sel:WORD_1
	v_and_b32_sdwa v127, v121, s19 dst_sel:DWORD dst_unused:UNUSED_PAD src0_sel:WORD_1 src1_sel:DWORD
	v_add_u16_e32 v118, 0xe000, v118
	v_or_b32_sdwa v118, v127, v118 dst_sel:DWORD dst_unused:UNUSED_PAD src0_sel:DWORD src1_sel:BYTE_1
	v_add_u16_sdwa v118, v118, s23 dst_sel:WORD_1 dst_unused:UNUSED_PAD src0_sel:DWORD src1_sel:DWORD
	v_or_b32_e32 v118, v122, v118
	ds_write2_b32 v115, v120, v118 offset0:16 offset1:32
	s_waitcnt vmcnt(5)
	v_and_b32_e32 v118, 0xf0f0f0f, v123
	v_lshrrev_b32_e32 v119, 4, v123
	v_and_b32_e32 v119, 0xf0f0f0f, v119
	s_waitcnt vmcnt(4)
	v_ashrrev_i32_e32 v120, v7, v125
	v_lshlrev_b32_e32 v121, 4, v120
	v_and_or_b32 v118, v121, s18, v118
	v_lshlrev_b16_e32 v122, 8, v118
	v_and_b32_e32 v121, 0x3f00, v118
	v_add_u16_e32 v122, 0xe000, v122
	v_or_b32_sdwa v121, v121, v122 dst_sel:DWORD dst_unused:UNUSED_PAD src0_sel:DWORD src1_sel:BYTE_1
	v_and_b32_sdwa v122, v118, s19 dst_sel:DWORD dst_unused:UNUSED_PAD src0_sel:WORD_1 src1_sel:DWORD
	v_lshlrev_b16_sdwa v118, v108, v118 dst_sel:DWORD dst_unused:UNUSED_PAD src0_sel:DWORD src1_sel:WORD_1
	v_add_u16_e32 v118, 0xe000, v118
	v_or_b32_sdwa v118, v122, v118 dst_sel:DWORD dst_unused:UNUSED_PAD src0_sel:DWORD src1_sel:BYTE_1
	v_and_or_b32 v120, v120, s18, v119
	v_add_u16_e32 v121, 0xe000, v121
	v_add_u16_sdwa v118, v118, s23 dst_sel:WORD_1 dst_unused:UNUSED_PAD src0_sel:DWORD src1_sel:DWORD
	v_lshlrev_b16_e32 v119, 8, v120
	v_or_b32_e32 v121, v121, v118
	v_and_b32_e32 v118, 0x3f00, v120
	v_add_u16_e32 v119, 0xe000, v119
	v_or_b32_sdwa v118, v118, v119 dst_sel:DWORD dst_unused:UNUSED_PAD src0_sel:DWORD src1_sel:BYTE_1
	v_add_u16_e32 v122, 0xe000, v118
	v_add_co_u32_e32 v118, vcc, s14, v86
	v_addc_co_u32_e32 v119, vcc, v87, v107, vcc
	global_load_dword v125, v[118:119], off
	v_add_co_u32_e32 v118, vcc, s14, v84
	v_addc_co_u32_e32 v119, vcc, v85, v107, vcc
	global_load_dword v127, v[118:119], off
	v_lshlrev_b16_sdwa v118, v108, v120 dst_sel:DWORD dst_unused:UNUSED_PAD src0_sel:DWORD src1_sel:WORD_1
	v_and_b32_sdwa v123, v120, s19 dst_sel:DWORD dst_unused:UNUSED_PAD src0_sel:WORD_1 src1_sel:DWORD
	v_add_u16_e32 v118, 0xe000, v118
	v_or_b32_sdwa v118, v123, v118 dst_sel:DWORD dst_unused:UNUSED_PAD src0_sel:DWORD src1_sel:BYTE_1
	v_add_u16_sdwa v118, v118, s23 dst_sel:WORD_1 dst_unused:UNUSED_PAD src0_sel:DWORD src1_sel:DWORD
	v_or_b32_e32 v118, v122, v118
	ds_write2_b32 v116, v121, v118 offset0:24 offset1:40
	s_waitcnt vmcnt(5)
	v_and_b32_e32 v118, 0xf0f0f0f, v124
	v_lshrrev_b32_e32 v119, 4, v124
	s_waitcnt vmcnt(4)
	v_ashrrev_i32_e32 v120, v7, v126
	v_lshlrev_b32_e32 v121, 4, v120
	v_and_or_b32 v118, v121, s18, v118
	v_lshlrev_b16_e32 v122, 8, v118
	v_and_b32_e32 v121, 0x3f00, v118
	v_add_u16_e32 v122, 0xe000, v122
	v_or_b32_sdwa v121, v121, v122 dst_sel:DWORD dst_unused:UNUSED_PAD src0_sel:DWORD src1_sel:BYTE_1
	v_and_b32_sdwa v122, v118, s19 dst_sel:DWORD dst_unused:UNUSED_PAD src0_sel:WORD_1 src1_sel:DWORD
	v_lshlrev_b16_sdwa v118, v108, v118 dst_sel:DWORD dst_unused:UNUSED_PAD src0_sel:DWORD src1_sel:WORD_1
	v_add_u16_e32 v118, 0xe000, v118
	v_and_b32_e32 v119, 0xf0f0f0f, v119
	v_or_b32_sdwa v118, v122, v118 dst_sel:DWORD dst_unused:UNUSED_PAD src0_sel:DWORD src1_sel:BYTE_1
	v_add_u16_e32 v121, 0xe000, v121
	v_add_u16_sdwa v118, v118, s23 dst_sel:WORD_1 dst_unused:UNUSED_PAD src0_sel:DWORD src1_sel:DWORD
	v_and_or_b32 v119, v120, s18, v119
	v_or_b32_e32 v118, v121, v118
	v_lshlrev_b16_e32 v121, 8, v119
	v_and_b32_e32 v120, 0x3f00, v119
	v_add_u16_e32 v121, 0xe000, v121
	v_or_b32_sdwa v120, v120, v121 dst_sel:DWORD dst_unused:UNUSED_PAD src0_sel:DWORD src1_sel:BYTE_1
	v_and_b32_sdwa v121, v119, s19 dst_sel:DWORD dst_unused:UNUSED_PAD src0_sel:WORD_1 src1_sel:DWORD
	v_lshlrev_b16_sdwa v119, v108, v119 dst_sel:DWORD dst_unused:UNUSED_PAD src0_sel:DWORD src1_sel:WORD_1
	v_add_u16_e32 v119, 0xe000, v119
	v_or_b32_sdwa v119, v121, v119 dst_sel:DWORD dst_unused:UNUSED_PAD src0_sel:DWORD src1_sel:BYTE_1
	v_add_u16_e32 v120, 0xe000, v120
	v_add_u16_sdwa v119, v119, s23 dst_sel:WORD_1 dst_unused:UNUSED_PAD src0_sel:DWORD src1_sel:DWORD
	v_or_b32_e32 v119, v120, v119
	ds_write2_b32 v10, v118, v119 offset1:16
	s_waitcnt vmcnt(3)
	v_lshrrev_b32_e32 v118, 4, v128
	v_and_b32_e32 v121, 0xf0f0f0f, v118
	v_add_co_u32_e32 v118, vcc, s14, v90
	v_addc_co_u32_e32 v119, vcc, v91, v107, vcc
	global_load_dword v123, v[118:119], off
	v_add_co_u32_e32 v118, vcc, s14, v88
	v_addc_co_u32_e32 v119, vcc, v89, v107, vcc
	global_load_dword v124, v[118:119], off
	s_waitcnt vmcnt(4)
	v_ashrrev_i32_e32 v122, v7, v129
	v_and_b32_e32 v120, 0xf0f0f0f, v128
	v_lshlrev_b32_e32 v118, 4, v122
	v_and_or_b32 v118, v118, s18, v120
	v_lshlrev_b16_e32 v120, 8, v118
	v_and_b32_e32 v119, 0x3f00, v118
	v_add_u16_e32 v120, 0xe000, v120
	v_or_b32_sdwa v119, v119, v120 dst_sel:DWORD dst_unused:UNUSED_PAD src0_sel:DWORD src1_sel:BYTE_1
	v_and_b32_sdwa v120, v118, s19 dst_sel:DWORD dst_unused:UNUSED_PAD src0_sel:WORD_1 src1_sel:DWORD
	v_lshlrev_b16_sdwa v118, v108, v118 dst_sel:DWORD dst_unused:UNUSED_PAD src0_sel:DWORD src1_sel:WORD_1
	v_add_u16_e32 v118, 0xe000, v118
	v_or_b32_sdwa v118, v120, v118 dst_sel:DWORD dst_unused:UNUSED_PAD src0_sel:DWORD src1_sel:BYTE_1
	v_add_u16_e32 v119, 0xe000, v119
	v_add_u16_sdwa v118, v118, s23 dst_sel:WORD_1 dst_unused:UNUSED_PAD src0_sel:DWORD src1_sel:DWORD
	v_or_b32_e32 v118, v119, v118
	v_and_or_b32 v119, v122, s18, v121
	v_lshlrev_b16_e32 v121, 8, v119
	v_and_b32_e32 v120, 0x3f00, v119
	v_add_u16_e32 v121, 0xe000, v121
	v_or_b32_sdwa v120, v120, v121 dst_sel:DWORD dst_unused:UNUSED_PAD src0_sel:DWORD src1_sel:BYTE_1
	v_and_b32_sdwa v121, v119, s19 dst_sel:DWORD dst_unused:UNUSED_PAD src0_sel:WORD_1 src1_sel:DWORD
	v_lshlrev_b16_sdwa v119, v108, v119 dst_sel:DWORD dst_unused:UNUSED_PAD src0_sel:DWORD src1_sel:WORD_1
	v_add_u16_e32 v119, 0xe000, v119
	v_or_b32_sdwa v119, v121, v119 dst_sel:DWORD dst_unused:UNUSED_PAD src0_sel:DWORD src1_sel:BYTE_1
	v_add_u16_e32 v120, 0xe000, v120
	v_add_u16_sdwa v119, v119, s23 dst_sel:WORD_1 dst_unused:UNUSED_PAD src0_sel:DWORD src1_sel:DWORD
	v_or_b32_e32 v119, v120, v119
	ds_write2_b32 v11, v118, v119 offset1:16
	s_waitcnt vmcnt(3)
	v_lshrrev_b32_e32 v119, 4, v125
	v_and_b32_e32 v118, 0xf0f0f0f, v125
	s_waitcnt vmcnt(2)
	v_ashrrev_i32_e32 v121, v7, v127
	v_and_b32_e32 v120, 0xf0f0f0f, v119
	v_lshlrev_b32_e32 v119, 4, v121
	v_and_or_b32 v122, v119, s18, v118
	v_lshlrev_b16_e32 v118, 8, v122
	v_add_u16_e32 v126, 0xe000, v118
	v_add_co_u32_e32 v118, vcc, s14, v1
	v_addc_co_u32_e32 v119, vcc, v94, v107, vcc
	global_load_dword v127, v[118:119], off
	v_add_co_u32_e32 v118, vcc, s14, v92
	v_addc_co_u32_e32 v119, vcc, v93, v107, vcc
	global_load_dword v128, v[118:119], off
	v_and_b32_e32 v125, 0x3f00, v122
	v_and_b32_sdwa v119, v122, s19 dst_sel:DWORD dst_unused:UNUSED_PAD src0_sel:WORD_1 src1_sel:DWORD
	v_lshlrev_b16_sdwa v122, v108, v122 dst_sel:DWORD dst_unused:UNUSED_PAD src0_sel:DWORD src1_sel:WORD_1
	v_add_u16_e32 v122, 0xe000, v122
	v_or_b32_sdwa v118, v125, v126 dst_sel:DWORD dst_unused:UNUSED_PAD src0_sel:DWORD src1_sel:BYTE_1
	v_or_b32_sdwa v119, v119, v122 dst_sel:DWORD dst_unused:UNUSED_PAD src0_sel:DWORD src1_sel:BYTE_1
	v_add_u16_e32 v118, 0xe000, v118
	v_add_u16_sdwa v119, v119, s23 dst_sel:WORD_1 dst_unused:UNUSED_PAD src0_sel:DWORD src1_sel:DWORD
	v_or_b32_e32 v122, v118, v119
	v_and_or_b32 v118, v121, s18, v120
	v_lshlrev_b16_e32 v120, 8, v118
	v_and_b32_e32 v119, 0x3f00, v118
	v_add_u16_e32 v120, 0xe000, v120
	v_or_b32_sdwa v119, v119, v120 dst_sel:DWORD dst_unused:UNUSED_PAD src0_sel:DWORD src1_sel:BYTE_1
	v_and_b32_sdwa v120, v118, s19 dst_sel:DWORD dst_unused:UNUSED_PAD src0_sel:WORD_1 src1_sel:DWORD
	v_lshlrev_b16_sdwa v118, v108, v118 dst_sel:DWORD dst_unused:UNUSED_PAD src0_sel:DWORD src1_sel:WORD_1
	v_add_u16_e32 v118, 0xe000, v118
	v_or_b32_sdwa v118, v120, v118 dst_sel:DWORD dst_unused:UNUSED_PAD src0_sel:DWORD src1_sel:BYTE_1
	v_add_u16_e32 v119, 0xe000, v119
	v_add_u16_sdwa v118, v118, s23 dst_sel:WORD_1 dst_unused:UNUSED_PAD src0_sel:DWORD src1_sel:DWORD
	v_or_b32_e32 v120, v119, v118
	v_add_co_u32_e32 v118, vcc, s14, v97
	v_addc_co_u32_e32 v119, vcc, v98, v107, vcc
	global_load_dword v121, v[118:119], off
	v_add_co_u32_e32 v118, vcc, s14, v95
	v_addc_co_u32_e32 v119, vcc, v96, v107, vcc
	global_load_dword v125, v[118:119], off
	ds_write2_b32 v12, v122, v120 offset1:16
	s_waitcnt vmcnt(5)
	v_lshrrev_b32_e32 v119, 4, v123
	s_waitcnt vmcnt(4)
	v_ashrrev_i32_e32 v122, v7, v124
	v_and_b32_e32 v118, 0xf0f0f0f, v123
	v_and_b32_e32 v120, 0xf0f0f0f, v119
	v_lshlrev_b32_e32 v119, 4, v122
	v_and_or_b32 v118, v119, s18, v118
	v_lshlrev_b16_e32 v123, 8, v118
	v_and_b32_e32 v119, 0x3f00, v118
	v_add_u16_e32 v123, 0xe000, v123
	v_or_b32_sdwa v119, v119, v123 dst_sel:DWORD dst_unused:UNUSED_PAD src0_sel:DWORD src1_sel:BYTE_1
	v_add_u16_e32 v123, 0xe000, v119
	v_and_b32_sdwa v119, v118, s19 dst_sel:DWORD dst_unused:UNUSED_PAD src0_sel:WORD_1 src1_sel:DWORD
	v_lshlrev_b16_sdwa v118, v108, v118 dst_sel:DWORD dst_unused:UNUSED_PAD src0_sel:DWORD src1_sel:WORD_1
	v_add_u16_e32 v118, 0xe000, v118
	v_or_b32_sdwa v118, v119, v118 dst_sel:DWORD dst_unused:UNUSED_PAD src0_sel:DWORD src1_sel:BYTE_1
	v_add_u16_sdwa v124, v118, s23 dst_sel:WORD_1 dst_unused:UNUSED_PAD src0_sel:DWORD src1_sel:DWORD
	v_add_co_u32_e32 v118, vcc, s14, v100
	v_addc_co_u32_e32 v119, vcc, v101, v107, vcc
	global_load_ushort v126, v[118:119], off
	v_add_co_u32_e32 v118, vcc, s14, v102
	v_addc_co_u32_e32 v119, vcc, v104, v107, vcc
	global_load_dword v129, v[118:119], off
	v_add_co_u32_e32 v118, vcc, s14, v105
	v_addc_co_u32_e32 v119, vcc, v106, v107, vcc
	global_load_dword v118, v[118:119], off
	v_and_or_b32 v120, v122, s18, v120
	v_or_b32_e32 v119, v123, v124
	v_lshlrev_b16_e32 v123, 8, v120
	v_and_b32_e32 v122, 0x3f00, v120
	v_add_u16_e32 v123, 0xe000, v123
	v_or_b32_sdwa v122, v122, v123 dst_sel:DWORD dst_unused:UNUSED_PAD src0_sel:DWORD src1_sel:BYTE_1
	v_and_b32_sdwa v123, v120, s19 dst_sel:DWORD dst_unused:UNUSED_PAD src0_sel:WORD_1 src1_sel:DWORD
	v_lshlrev_b16_sdwa v120, v108, v120 dst_sel:DWORD dst_unused:UNUSED_PAD src0_sel:DWORD src1_sel:WORD_1
	v_add_u16_e32 v120, 0xe000, v120
	v_or_b32_sdwa v120, v123, v120 dst_sel:DWORD dst_unused:UNUSED_PAD src0_sel:DWORD src1_sel:BYTE_1
	v_add_u16_e32 v122, 0xe000, v122
	v_add_u16_sdwa v120, v120, s23 dst_sel:WORD_1 dst_unused:UNUSED_PAD src0_sel:DWORD src1_sel:DWORD
	v_or_b32_e32 v120, v122, v120
	ds_write2_b32 v13, v119, v120 offset1:16
	s_waitcnt vmcnt(6)
	v_and_b32_e32 v119, 0xf0f0f0f, v127
	v_lshrrev_b32_e32 v120, 4, v127
	s_waitcnt vmcnt(5)
	v_ashrrev_i32_e32 v122, v7, v128
	v_lshlrev_b32_e32 v123, 4, v122
	v_and_or_b32 v119, v123, s18, v119
	v_lshlrev_b16_e32 v124, 8, v119
	v_and_b32_e32 v123, 0x3f00, v119
	v_add_u16_e32 v124, 0xe000, v124
	v_or_b32_sdwa v123, v123, v124 dst_sel:DWORD dst_unused:UNUSED_PAD src0_sel:DWORD src1_sel:BYTE_1
	v_and_b32_sdwa v124, v119, s19 dst_sel:DWORD dst_unused:UNUSED_PAD src0_sel:WORD_1 src1_sel:DWORD
	v_lshlrev_b16_sdwa v119, v108, v119 dst_sel:DWORD dst_unused:UNUSED_PAD src0_sel:DWORD src1_sel:WORD_1
	v_add_u16_e32 v119, 0xe000, v119
	v_and_b32_e32 v120, 0xf0f0f0f, v120
	v_or_b32_sdwa v119, v124, v119 dst_sel:DWORD dst_unused:UNUSED_PAD src0_sel:DWORD src1_sel:BYTE_1
	v_add_u16_e32 v123, 0xe000, v123
	v_add_u16_sdwa v119, v119, s23 dst_sel:WORD_1 dst_unused:UNUSED_PAD src0_sel:DWORD src1_sel:DWORD
	v_and_or_b32 v120, v122, s18, v120
	v_or_b32_e32 v119, v123, v119
	v_lshlrev_b16_e32 v123, 8, v120
	v_and_b32_e32 v122, 0x3f00, v120
	v_add_u16_e32 v123, 0xe000, v123
	v_or_b32_sdwa v122, v122, v123 dst_sel:DWORD dst_unused:UNUSED_PAD src0_sel:DWORD src1_sel:BYTE_1
	v_and_b32_sdwa v123, v120, s19 dst_sel:DWORD dst_unused:UNUSED_PAD src0_sel:WORD_1 src1_sel:DWORD
	v_lshlrev_b16_sdwa v120, v108, v120 dst_sel:DWORD dst_unused:UNUSED_PAD src0_sel:DWORD src1_sel:WORD_1
	v_add_u16_e32 v120, 0xe000, v120
	v_or_b32_sdwa v120, v123, v120 dst_sel:DWORD dst_unused:UNUSED_PAD src0_sel:DWORD src1_sel:BYTE_1
	v_add_u16_e32 v122, 0xe000, v122
	v_add_u16_sdwa v120, v120, s23 dst_sel:WORD_1 dst_unused:UNUSED_PAD src0_sel:DWORD src1_sel:DWORD
	v_or_b32_e32 v120, v122, v120
	ds_write2_b32 v14, v119, v120 offset1:16
	s_waitcnt vmcnt(4)
	v_and_b32_e32 v119, 0xf0f0f0f, v121
	v_lshrrev_b32_e32 v120, 4, v121
	v_and_b32_e32 v120, 0xf0f0f0f, v120
	s_waitcnt vmcnt(3)
	v_ashrrev_i32_e32 v121, v7, v125
	v_lshlrev_b32_e32 v122, 4, v121
	v_and_or_b32 v119, v122, s18, v119
	v_lshlrev_b16_e32 v123, 8, v119
	v_and_b32_e32 v122, 0x3f00, v119
	v_add_u16_e32 v123, 0xe000, v123
	v_or_b32_sdwa v122, v122, v123 dst_sel:DWORD dst_unused:UNUSED_PAD src0_sel:DWORD src1_sel:BYTE_1
	v_and_b32_sdwa v123, v119, s19 dst_sel:DWORD dst_unused:UNUSED_PAD src0_sel:WORD_1 src1_sel:DWORD
	v_lshlrev_b16_sdwa v119, v108, v119 dst_sel:DWORD dst_unused:UNUSED_PAD src0_sel:DWORD src1_sel:WORD_1
	v_add_u16_e32 v119, 0xe000, v119
	v_or_b32_sdwa v119, v123, v119 dst_sel:DWORD dst_unused:UNUSED_PAD src0_sel:DWORD src1_sel:BYTE_1
	v_add_u16_e32 v122, 0xe000, v122
	v_add_u16_sdwa v119, v119, s23 dst_sel:WORD_1 dst_unused:UNUSED_PAD src0_sel:DWORD src1_sel:DWORD
	v_and_or_b32 v120, v121, s18, v120
	v_or_b32_e32 v119, v122, v119
	v_lshlrev_b16_e32 v122, 8, v120
	v_and_b32_e32 v121, 0x3f00, v120
	v_add_u16_e32 v122, 0xe000, v122
	v_or_b32_sdwa v121, v121, v122 dst_sel:DWORD dst_unused:UNUSED_PAD src0_sel:DWORD src1_sel:BYTE_1
	v_and_b32_sdwa v122, v120, s19 dst_sel:DWORD dst_unused:UNUSED_PAD src0_sel:WORD_1 src1_sel:DWORD
	v_lshlrev_b16_sdwa v120, v108, v120 dst_sel:DWORD dst_unused:UNUSED_PAD src0_sel:DWORD src1_sel:WORD_1
	v_add_u16_e32 v120, 0xe000, v120
	v_or_b32_sdwa v120, v122, v120 dst_sel:DWORD dst_unused:UNUSED_PAD src0_sel:DWORD src1_sel:BYTE_1
	s_waitcnt vmcnt(2)
	v_cvt_f32_f16_e32 v122, v126
	v_add_u16_e32 v121, 0xe000, v121
	v_add_u16_sdwa v120, v120, s23 dst_sel:WORD_1 dst_unused:UNUSED_PAD src0_sel:DWORD src1_sel:DWORD
	v_or_b32_e32 v120, v121, v120
	ds_write2_b32 v15, v119, v120 offset1:16
	ds_write_b32 v16, v122
	s_waitcnt vmcnt(1)
	ds_write_b32 v17, v129
	s_waitcnt vmcnt(0)
	ds_write_b32 v18, v118
	s_cbranch_scc0 .LBB195_5
; %bb.7:                                ;   in Loop: Header=BB195_6 Depth=1
	v_cmp_gt_i32_e32 vcc, s9, v23
	s_and_b64 s[24:25], s[2:3], vcc
	s_and_saveexec_b64 s[4:5], s[24:25]
	s_cbranch_execz .LBB195_9
; %bb.8:                                ;   in Loop: Header=BB195_6 Depth=1
	v_add_u32_e32 v118, v34, v23
	v_mad_i64_i32 v[118:119], s[24:25], v118, 36, v[2:3]
	global_load_dword v118, v[118:119], off offset:4
	s_waitcnt vmcnt(0)
	ds_write_b32 v21, v118
.LBB195_9:                              ;   in Loop: Header=BB195_6 Depth=1
	s_or_b64 exec, exec, s[4:5]
	v_cmp_gt_i32_e32 vcc, s9, v117
	s_and_b64 s[24:25], s[16:17], vcc
	s_and_saveexec_b64 s[4:5], s[24:25]
	s_cbranch_execz .LBB195_11
; %bb.10:                               ;   in Loop: Header=BB195_6 Depth=1
	v_add_u32_e32 v118, v34, v117
	v_mad_i64_i32 v[118:119], s[24:25], v118, 36, s[6:7]
	global_load_dword v118, v[118:119], off
	v_add_u32_e32 v119, v19, v22
	s_waitcnt vmcnt(0)
	v_cvt_f32_f16_e32 v118, v118
	ds_write_b32 v119, v118
.LBB195_11:                             ;   in Loop: Header=BB195_6 Depth=1
	s_or_b64 exec, exec, s[4:5]
	s_waitcnt lgkmcnt(0)
	s_barrier
	ds_read_b128 v[120:123], v20
	ds_read_b128 v[124:127], v20 offset:16
	ds_read_b128 v[128:131], v20 offset:32
	;; [unrolled: 1-line block ×3, first 2 shown]
	ds_read_b32 v119, v26
	ds_read2_b32 v[136:137], v25 offset0:12 offset1:13
	ds_read2_b32 v[138:139], v25 offset0:6 offset1:7
	;; [unrolled: 1-line block ×4, first 2 shown]
	ds_read2_b32 v[144:145], v25 offset1:1
	ds_read2_b32 v[146:147], v25 offset0:14 offset1:15
	ds_read2_b32 v[148:149], v25 offset0:10 offset1:11
	;; [unrolled: 1-line block ×3, first 2 shown]
	s_waitcnt lgkmcnt(7)
	v_dot4_i32_i8 v118, v136, v132, 0
	v_dot4_i32_i8 v118, v137, v133, v118
	s_waitcnt lgkmcnt(2)
	v_dot4_i32_i8 v118, v146, v134, v118
	v_dot4_i32_i8 v160, v147, v135, v118
	;; [unrolled: 3-line block ×3, first 2 shown]
	v_dot4_i32_i8 v118, v148, v130, v118
	v_dot4_i32_i8 v161, v149, v131, v118
	;; [unrolled: 1-line block ×10, first 2 shown]
	v_add_u32_e32 v118, 0x2098, v25
	ds_read2_b32 v[136:137], v118 offset1:1
	v_add_u32_e32 v118, 0x2090, v25
	v_add_u32_e32 v140, 0x2088, v25
	v_add_u32_e32 v142, 0x2080, v25
	v_add_u32_e32 v144, 0x20b8, v25
	ds_read2_b32 v[138:139], v118 offset1:1
	ds_read2_b32 v[140:141], v140 offset1:1
	;; [unrolled: 1-line block ×4, first 2 shown]
	v_add_u32_e32 v118, 0x20b0, v25
	ds_read2_b32 v[146:147], v118 offset1:1
	v_add_u32_e32 v118, 0x20a8, v25
	v_add_u32_e32 v150, 0x20a0, v25
	;; [unrolled: 1-line block ×3, first 2 shown]
	ds_read2_b32 v[148:149], v118 offset1:1
	ds_read2_b32 v[150:151], v150 offset1:1
	;; [unrolled: 1-line block ×3, first 2 shown]
	s_waitcnt lgkmcnt(3)
	v_dot4_i32_i8 v118, v146, v132, 0
	v_dot4_i32_i8 v118, v147, v133, v118
	;; [unrolled: 1-line block ×4, first 2 shown]
	s_waitcnt lgkmcnt(1)
	v_dot4_i32_i8 v118, v150, v128, 0
	v_dot4_i32_i8 v118, v151, v129, v118
	;; [unrolled: 1-line block ×12, first 2 shown]
	v_add_u32_e32 v136, 0x4110, v25
	v_add_u32_e32 v138, 0x4108, v25
	;; [unrolled: 1-line block ×5, first 2 shown]
	ds_read_b32 v118, v33 offset:384
	ds_read2_b32 v[136:137], v136 offset1:1
	ds_read2_b32 v[138:139], v138 offset1:1
	;; [unrolled: 1-line block ×5, first 2 shown]
	v_add_u32_e32 v146, 0x4128, v25
	v_add_u32_e32 v148, 0x4120, v25
	;; [unrolled: 1-line block ×3, first 2 shown]
	ds_read2_b32 v[146:147], v146 offset1:1
	ds_read2_b32 v[148:149], v148 offset1:1
	;; [unrolled: 1-line block ×3, first 2 shown]
	s_waitcnt lgkmcnt(3)
	v_dot4_i32_i8 v144, v144, v132, 0
	v_dot4_i32_i8 v136, v136, v124, 0
	;; [unrolled: 1-line block ×7, first 2 shown]
	s_waitcnt lgkmcnt(1)
	v_dot4_i32_i8 v142, v148, v128, 0
	v_dot4_i32_i8 v170, v153, v127, v136
	;; [unrolled: 1-line block ×9, first 2 shown]
	v_add_u32_e32 v136, 0x6190, v25
	v_add_u32_e32 v138, 0x6188, v25
	;; [unrolled: 1-line block ×5, first 2 shown]
	ds_read2_b32 v[136:137], v136 offset1:1
	ds_read2_b32 v[138:139], v138 offset1:1
	;; [unrolled: 1-line block ×5, first 2 shown]
	v_add_u32_e32 v146, 0x61a8, v25
	v_add_u32_e32 v148, 0x61a0, v25
	;; [unrolled: 1-line block ×3, first 2 shown]
	ds_read2_b32 v[146:147], v146 offset1:1
	ds_read2_b32 v[148:149], v148 offset1:1
	;; [unrolled: 1-line block ×3, first 2 shown]
	s_waitcnt lgkmcnt(3)
	v_dot4_i32_i8 v132, v144, v132, 0
	v_dot4_i32_i8 v124, v136, v124, 0
	;; [unrolled: 1-line block ×3, first 2 shown]
	s_waitcnt lgkmcnt(1)
	v_dot4_i32_i8 v128, v148, v128, 0
	v_dot4_i32_i8 v132, v145, v133, v132
	;; [unrolled: 1-line block ×13, first 2 shown]
	ds_read_b128 v[120:123], v20 offset:80
	ds_read_b128 v[124:127], v20 offset:64
	;; [unrolled: 1-line block ×4, first 2 shown]
	ds_read2_b32 v[136:137], v25 offset0:30 offset1:31
	ds_read2_b32 v[138:139], v25 offset0:28 offset1:29
	;; [unrolled: 1-line block ×7, first 2 shown]
	s_waitcnt lgkmcnt(5)
	v_dot4_i32_i8 v138, v138, v128, 0
	v_dot4_i32_i8 v138, v139, v129, v138
	;; [unrolled: 1-line block ×4, first 2 shown]
	s_waitcnt lgkmcnt(3)
	v_dot4_i32_i8 v136, v142, v120, 0
	v_dot4_i32_i8 v136, v143, v121, v136
	;; [unrolled: 1-line block ×4, first 2 shown]
	s_waitcnt lgkmcnt(1)
	v_dot4_i32_i8 v136, v146, v124, 0
	v_dot4_i32_i8 v136, v147, v125, v136
	;; [unrolled: 1-line block ×3, first 2 shown]
	v_add_u32_e32 v140, 0x61d0, v25
	v_add_u32_e32 v142, 0x61c8, v25
	;; [unrolled: 1-line block ×5, first 2 shown]
	v_dot4_i32_i8 v178, v145, v127, v136
	ds_read_b128 v[136:139], v22 offset:36944
	ds_read2_b32 v[140:141], v140 offset1:1
	ds_read2_b32 v[142:143], v142 offset1:1
	;; [unrolled: 1-line block ×5, first 2 shown]
	v_add_u32_e32 v154, 0x61e8, v25
	v_add_u32_e32 v156, 0x61e0, v25
	;; [unrolled: 1-line block ×3, first 2 shown]
	ds_read2_b32 v[154:155], v154 offset1:1
	ds_read2_b32 v[156:157], v156 offset1:1
	ds_read2_b32 v[158:159], v158 offset1:1
	s_waitcnt lgkmcnt(3)
	v_dot4_i32_i8 v150, v150, v128, 0
	v_dot4_i32_i8 v150, v151, v129, v150
	;; [unrolled: 1-line block ×4, first 2 shown]
	s_waitcnt lgkmcnt(1)
	v_dot4_i32_i8 v146, v156, v132, 0
	v_dot4_i32_i8 v151, v157, v133, v146
	ds_read_b32 v179, v31 offset:256
	ds_read2_b32 v[146:147], v32 offset1:1
	v_dot4_i32_i8 v140, v140, v120, 0
	v_dot4_i32_i8 v140, v141, v121, v140
	;; [unrolled: 1-line block ×4, first 2 shown]
	s_waitcnt lgkmcnt(0)
	v_bfe_i32 v141, v146, 8, 8
	v_bfe_i32 v152, v147, 8, 8
	v_mul_lo_u32 v140, v140, v152
	v_mul_lo_u32 v141, v174, v141
	v_dot4_i32_i8 v144, v144, v124, 0
	v_dot4_i32_i8 v144, v145, v125, v144
	;; [unrolled: 1-line block ×4, first 2 shown]
	v_bfe_i32 v143, v147, 0, 8
	v_mad_u64_u32 v[142:143], s[4:5], v142, v143, v[140:141]
	v_bfe_i32 v144, v146, 0, 8
	v_add_u32_e32 v156, 0x20e0, v25
	v_mad_u64_u32 v[140:141], s[4:5], v175, v144, v[141:142]
	v_dot4_i32_i8 v141, v154, v134, v151
	v_dot4_i32_i8 v143, v155, v135, v141
	v_cvt_f32_i32_e32 v151, v140
	v_ashrrev_i32_e32 v140, 24, v147
	v_ashrrev_i32_e32 v141, 24, v146
	v_mul_lo_u32 v140, v150, v140
	v_mul_lo_u32 v141, v172, v141
	v_cvt_f32_i32_e32 v145, v142
	v_bfe_i32 v142, v147, 16, 8
	v_bfe_i32 v144, v146, 16, 8
	v_mad_u64_u32 v[142:143], s[4:5], v143, v142, v[140:141]
	v_fma_f32 v146, v136, v151, 0
	v_fma_f32 v172, v138, v145, 0
	v_mad_u64_u32 v[140:141], s[4:5], v173, v144, v[141:142]
	ds_read2_b32 v[143:144], v24 offset1:1
	v_cvt_f32_i32_e32 v142, v142
	v_cvt_f32_i32_e32 v147, v140
	ds_read2_b32 v[140:141], v25 offset0:24 offset1:25
	v_add_u32_e32 v150, 0x20f8, v25
	v_fmac_f32_e32 v172, v139, v142
	v_fmac_f32_e32 v146, v137, v147
	s_waitcnt lgkmcnt(1)
	v_bfe_i32 v142, v143, 0, 8
	s_waitcnt lgkmcnt(0)
	v_dot4_i32_i8 v140, v140, v132, 0
	v_dot4_i32_i8 v140, v141, v133, v140
	v_bfe_i32 v141, v143, 8, 8
	v_mul_lo_u32 v141, v162, v141
	v_dot4_i32_i8 v140, v148, v134, v140
	v_dot4_i32_i8 v147, v149, v135, v140
	v_bfe_i32 v140, v144, 8, 8
	v_mul_lo_u32 v140, v177, v140
	v_mad_u64_u32 v[141:142], s[4:5], v163, v142, v[141:142]
	v_bfe_i32 v145, v144, 0, 8
	v_fmac_f32_e32 v4, v118, v146
	v_mad_u64_u32 v[145:146], s[4:5], v178, v145, v[140:141]
	v_ashrrev_i32_e32 v140, 24, v144
	v_mul_lo_u32 v140, v176, v140
	v_bfe_i32 v148, v144, 16, 8
	v_ashrrev_i32_e32 v142, 24, v143
	v_bfe_i32 v146, v143, 16, 8
	v_mul_lo_u32 v142, v160, v142
	v_mad_u64_u32 v[143:144], s[4:5], v147, v148, v[140:141]
	v_cvt_f32_i32_e32 v140, v141
	v_cvt_f32_i32_e32 v141, v145
	v_mad_u64_u32 v[146:147], s[4:5], v161, v146, v[142:143]
	v_cvt_f32_i32_e32 v142, v143
	v_fma_f32 v144, v136, v140, 0
	v_cvt_f32_i32_e32 v143, v146
	v_fma_f32 v145, v138, v141, 0
	v_fmac_f32_e32 v145, v139, v142
	v_add_u32_e32 v146, 0x20c8, v25
	v_fmac_f32_e32 v144, v137, v143
	v_fmac_f32_e32 v6, v119, v144
	;; [unrolled: 1-line block ×3, first 2 shown]
	v_add_u32_e32 v119, 0x20d0, v25
	v_add_u32_e32 v148, 0x20c0, v25
	ds_read_b32 v162, v29 offset:128
	ds_read2_b32 v[140:141], v30 offset1:1
	ds_read2_b32 v[142:143], v28 offset1:1
	;; [unrolled: 1-line block ×6, first 2 shown]
	v_add_u32_e32 v119, 0x20f0, v25
	ds_read2_b32 v[152:153], v119 offset1:1
	v_add_u32_e32 v119, 0x20e8, v25
	v_add_u32_e32 v160, 0x4158, v25
	ds_read2_b32 v[154:155], v119 offset1:1
	ds_read2_b32 v[156:157], v156 offset1:1
	;; [unrolled: 1-line block ×3, first 2 shown]
	v_fmac_f32_e32 v4, v118, v172
	s_waitcnt lgkmcnt(3)
	v_dot4_i32_i8 v119, v152, v128, 0
	v_dot4_i32_i8 v119, v153, v129, v119
	;; [unrolled: 1-line block ×4, first 2 shown]
	s_waitcnt lgkmcnt(1)
	v_dot4_i32_i8 v119, v156, v132, 0
	v_dot4_i32_i8 v119, v157, v133, v119
	;; [unrolled: 1-line block ×11, first 2 shown]
	v_bfe_i32 v144, v142, 8, 8
	v_dot4_i32_i8 v119, v159, v123, v119
	v_bfe_i32 v145, v143, 8, 8
	v_mul_lo_u32 v144, v166, v144
	v_mul_lo_u32 v119, v119, v145
	v_bfe_i32 v145, v142, 0, 8
	v_bfe_i32 v147, v143, 0, 8
	v_mad_u64_u32 v[144:145], s[4:5], v167, v145, v[144:145]
	v_bfe_i32 v148, v142, 16, 8
	v_ashrrev_i32_e32 v142, 24, v142
	v_mad_u64_u32 v[145:146], s[4:5], v146, v147, v[119:120]
	v_ashrrev_i32_e32 v119, 24, v143
	v_mul_lo_u32 v142, v164, v142
	v_mul_lo_u32 v119, v150, v119
	v_bfe_i32 v146, v143, 16, 8
	v_add_u32_e32 v154, 0x4160, v25
	v_mad_u64_u32 v[142:143], s[4:5], v165, v148, v[142:143]
	v_mad_u64_u32 v[146:147], s[4:5], v151, v146, v[119:120]
	v_cvt_f32_i32_e32 v119, v144
	v_cvt_f32_i32_e32 v143, v145
	;; [unrolled: 1-line block ×4, first 2 shown]
	v_fma_f32 v119, v136, v119, 0
	v_fma_f32 v143, v138, v143, 0
	v_fmac_f32_e32 v119, v137, v142
	v_fmac_f32_e32 v143, v139, v144
	;; [unrolled: 1-line block ×3, first 2 shown]
	v_add_u32_e32 v119, 0x4150, v25
	v_add_u32_e32 v144, 0x4148, v25
	;; [unrolled: 1-line block ×4, first 2 shown]
	v_fmac_f32_e32 v103, v162, v143
	ds_read2_b32 v[142:143], v119 offset1:1
	ds_read2_b32 v[144:145], v144 offset1:1
	;; [unrolled: 1-line block ×4, first 2 shown]
	v_add_u32_e32 v119, 0x4170, v25
	ds_read2_b32 v[150:151], v119 offset1:1
	v_add_u32_e32 v119, 0x4168, v25
	ds_read2_b32 v[152:153], v119 offset1:1
	ds_read2_b32 v[154:155], v154 offset1:1
	s_cmp_ge_i32 s22, s15
	s_waitcnt lgkmcnt(0)
	v_dot4_i32_i8 v119, v150, v128, 0
	v_dot4_i32_i8 v119, v151, v129, v119
	;; [unrolled: 1-line block ×15, first 2 shown]
	v_bfe_i32 v120, v140, 8, 8
	v_mul_lo_u32 v120, v170, v120
	v_dot4_i32_i8 v119, v161, v123, v119
	v_bfe_i32 v121, v141, 8, 8
	v_mul_lo_u32 v119, v119, v121
	v_bfe_i32 v121, v140, 0, 8
	v_mad_u64_u32 v[120:121], s[4:5], v171, v121, v[120:121]
	v_bfe_i32 v123, v141, 0, 8
	v_bfe_i32 v125, v140, 16, 8
	v_mad_u64_u32 v[121:122], s[4:5], v122, v123, v[119:120]
	v_ashrrev_i32_e32 v119, 24, v141
	v_mul_lo_u32 v119, v128, v119
	v_bfe_i32 v123, v141, 16, 8
	v_ashrrev_i32_e32 v122, 24, v140
	v_mul_lo_u32 v122, v168, v122
	v_mad_u64_u32 v[123:124], s[4:5], v129, v123, v[119:120]
	v_cvt_f32_i32_e32 v119, v120
	v_cvt_f32_i32_e32 v120, v121
	v_mad_u64_u32 v[124:125], s[4:5], v169, v125, v[122:123]
	v_cvt_f32_i32_e32 v121, v123
	v_fma_f32 v119, v136, v119, 0
	v_cvt_f32_i32_e32 v122, v124
	v_fma_f32 v120, v138, v120, 0
	v_fmac_f32_e32 v120, v139, v121
	s_barrier
	v_fmac_f32_e32 v119, v137, v122
	v_fmac_f32_e32 v99, v179, v119
	;; [unrolled: 1-line block ×3, first 2 shown]
	s_cbranch_scc1 .LBB195_5
; %bb.12:                               ;   in Loop: Header=BB195_6 Depth=1
	v_cmp_gt_i32_e32 vcc, s9, v27
	s_and_b64 s[24:25], s[2:3], vcc
	s_and_saveexec_b64 s[4:5], s[24:25]
	s_cbranch_execz .LBB195_14
; %bb.13:                               ;   in Loop: Header=BB195_6 Depth=1
	v_add_u32_e32 v118, v34, v27
	v_mad_i64_i32 v[118:119], s[24:25], v118, 36, v[2:3]
	global_load_dword v118, v[118:119], off offset:4
	s_waitcnt vmcnt(0)
	ds_write_b32 v21, v118
.LBB195_14:                             ;   in Loop: Header=BB195_6 Depth=1
	s_or_b64 exec, exec, s[4:5]
	s_and_saveexec_b64 s[4:5], s[0:1]
	s_cbranch_execz .LBB195_4
; %bb.15:                               ;   in Loop: Header=BB195_6 Depth=1
	v_add_u32_e32 v118, 4, v117
	v_cmp_gt_i32_e32 vcc, s9, v118
	s_and_b64 s[24:25], s[2:3], vcc
	s_and_b64 exec, exec, s[24:25]
	s_cbranch_execz .LBB195_4
; %bb.16:                               ;   in Loop: Header=BB195_6 Depth=1
	v_ashrrev_i32_e32 v118, 31, v117
	v_add_co_u32_e32 v119, vcc, v34, v117
	v_addc_co_u32_e32 v120, vcc, v35, v118, vcc
	v_mad_u64_u32 v[118:119], s[24:25], v119, 36, s[6:7]
	v_mad_i32_i24 v119, v120, 36, v119
	global_load_dword v118, v[118:119], off offset:144
	v_add_u32_e32 v119, v19, v22
	s_waitcnt vmcnt(0)
	v_cvt_f32_f16_e32 v118, v118
	ds_write_b32 v119, v118
	s_branch .LBB195_4
.LBB195_17:
	s_mul_i32 s0, s11, s8
	s_waitcnt vmcnt(0)
	v_cmp_gt_i32_e32 vcc, s0, v5
	s_and_saveexec_b64 s[0:1], vcc
	s_cbranch_execz .LBB195_26
; %bb.18:
	v_mul_lo_u32 v1, v5, s10
	v_add_u32_e32 v0, s20, v0
	v_cmp_gt_u32_e32 vcc, s10, v0
	s_and_saveexec_b64 s[0:1], vcc
	s_cbranch_execz .LBB195_20
; %bb.19:
	v_add_u32_e32 v2, v1, v0
	v_mov_b32_e32 v3, 0
	v_lshlrev_b64 v[2:3], 2, v[2:3]
	v_mov_b32_e32 v5, s13
	v_add_co_u32_e32 v2, vcc, s12, v2
	v_addc_co_u32_e32 v3, vcc, v5, v3, vcc
	global_store_dword v[2:3], v6, off
.LBB195_20:
	s_or_b64 exec, exec, s[0:1]
	v_add_u32_e32 v2, 32, v0
	v_cmp_gt_u32_e32 vcc, s10, v2
	s_and_saveexec_b64 s[0:1], vcc
	s_cbranch_execz .LBB195_22
; %bb.21:
	v_add_u32_e32 v2, v1, v2
	v_mov_b32_e32 v3, 0
	v_lshlrev_b64 v[2:3], 2, v[2:3]
	v_mov_b32_e32 v5, s13
	v_add_co_u32_e32 v2, vcc, s12, v2
	v_addc_co_u32_e32 v3, vcc, v5, v3, vcc
	global_store_dword v[2:3], v103, off
.LBB195_22:
	s_or_b64 exec, exec, s[0:1]
	;; [unrolled: 14-line block ×3, first 2 shown]
	v_add_u32_e32 v0, 0x60, v0
	v_cmp_gt_u32_e32 vcc, s10, v0
	s_and_b64 exec, exec, vcc
	s_cbranch_execz .LBB195_26
; %bb.25:
	v_add_u32_e32 v0, v1, v0
	v_mov_b32_e32 v1, 0
	v_lshlrev_b64 v[0:1], 2, v[0:1]
	v_mov_b32_e32 v2, s13
	v_add_co_u32_e32 v0, vcc, s12, v0
	v_addc_co_u32_e32 v1, vcc, v2, v1, vcc
	global_store_dword v[0:1], v4, off
.LBB195_26:
	s_endpgm
	.section	.rodata,"a",@progbits
	.p2align	6, 0x0
	.amdhsa_kernel _ZL8moe_q6_KIfLb0EEvPKvS1_PT_PKiS5_S5_iiiiiii
		.amdhsa_group_segment_fixed_size 37072
		.amdhsa_private_segment_fixed_size 0
		.amdhsa_kernarg_size 76
		.amdhsa_user_sgpr_count 6
		.amdhsa_user_sgpr_private_segment_buffer 1
		.amdhsa_user_sgpr_dispatch_ptr 0
		.amdhsa_user_sgpr_queue_ptr 0
		.amdhsa_user_sgpr_kernarg_segment_ptr 1
		.amdhsa_user_sgpr_dispatch_id 0
		.amdhsa_user_sgpr_flat_scratch_init 0
		.amdhsa_user_sgpr_private_segment_size 0
		.amdhsa_uses_dynamic_stack 0
		.amdhsa_system_sgpr_private_segment_wavefront_offset 0
		.amdhsa_system_sgpr_workgroup_id_x 1
		.amdhsa_system_sgpr_workgroup_id_y 1
		.amdhsa_system_sgpr_workgroup_id_z 0
		.amdhsa_system_sgpr_workgroup_info 0
		.amdhsa_system_vgpr_workitem_id 1
		.amdhsa_next_free_vgpr 180
		.amdhsa_next_free_sgpr 98
		.amdhsa_reserve_vcc 1
		.amdhsa_reserve_flat_scratch 0
		.amdhsa_float_round_mode_32 0
		.amdhsa_float_round_mode_16_64 0
		.amdhsa_float_denorm_mode_32 3
		.amdhsa_float_denorm_mode_16_64 3
		.amdhsa_dx10_clamp 1
		.amdhsa_ieee_mode 1
		.amdhsa_fp16_overflow 0
		.amdhsa_exception_fp_ieee_invalid_op 0
		.amdhsa_exception_fp_denorm_src 0
		.amdhsa_exception_fp_ieee_div_zero 0
		.amdhsa_exception_fp_ieee_overflow 0
		.amdhsa_exception_fp_ieee_underflow 0
		.amdhsa_exception_fp_ieee_inexact 0
		.amdhsa_exception_int_div_zero 0
	.end_amdhsa_kernel
	.section	.text._ZL8moe_q6_KIfLb0EEvPKvS1_PT_PKiS5_S5_iiiiiii,"axG",@progbits,_ZL8moe_q6_KIfLb0EEvPKvS1_PT_PKiS5_S5_iiiiiii,comdat
.Lfunc_end195:
	.size	_ZL8moe_q6_KIfLb0EEvPKvS1_PT_PKiS5_S5_iiiiiii, .Lfunc_end195-_ZL8moe_q6_KIfLb0EEvPKvS1_PT_PKiS5_S5_iiiiiii
                                        ; -- End function
	.set _ZL8moe_q6_KIfLb0EEvPKvS1_PT_PKiS5_S5_iiiiiii.num_vgpr, 180
	.set _ZL8moe_q6_KIfLb0EEvPKvS1_PT_PKiS5_S5_iiiiiii.num_agpr, 0
	.set _ZL8moe_q6_KIfLb0EEvPKvS1_PT_PKiS5_S5_iiiiiii.numbered_sgpr, 28
	.set _ZL8moe_q6_KIfLb0EEvPKvS1_PT_PKiS5_S5_iiiiiii.num_named_barrier, 0
	.set _ZL8moe_q6_KIfLb0EEvPKvS1_PT_PKiS5_S5_iiiiiii.private_seg_size, 0
	.set _ZL8moe_q6_KIfLb0EEvPKvS1_PT_PKiS5_S5_iiiiiii.uses_vcc, 1
	.set _ZL8moe_q6_KIfLb0EEvPKvS1_PT_PKiS5_S5_iiiiiii.uses_flat_scratch, 0
	.set _ZL8moe_q6_KIfLb0EEvPKvS1_PT_PKiS5_S5_iiiiiii.has_dyn_sized_stack, 0
	.set _ZL8moe_q6_KIfLb0EEvPKvS1_PT_PKiS5_S5_iiiiiii.has_recursion, 0
	.set _ZL8moe_q6_KIfLb0EEvPKvS1_PT_PKiS5_S5_iiiiiii.has_indirect_call, 0
	.section	.AMDGPU.csdata,"",@progbits
; Kernel info:
; codeLenInByte = 12888
; TotalNumSgprs: 32
; NumVgprs: 180
; ScratchSize: 0
; MemoryBound: 0
; FloatMode: 240
; IeeeMode: 1
; LDSByteSize: 37072 bytes/workgroup (compile time only)
; SGPRBlocks: 12
; VGPRBlocks: 44
; NumSGPRsForWavesPerEU: 102
; NumVGPRsForWavesPerEU: 180
; Occupancy: 1
; WaveLimiterHint : 1
; COMPUTE_PGM_RSRC2:SCRATCH_EN: 0
; COMPUTE_PGM_RSRC2:USER_SGPR: 6
; COMPUTE_PGM_RSRC2:TRAP_HANDLER: 0
; COMPUTE_PGM_RSRC2:TGID_X_EN: 1
; COMPUTE_PGM_RSRC2:TGID_Y_EN: 1
; COMPUTE_PGM_RSRC2:TGID_Z_EN: 0
; COMPUTE_PGM_RSRC2:TIDIG_COMP_CNT: 1
	.section	.text._ZL8moe_q6_KIfLb1EEvPKvS1_PT_PKiS5_S5_iiiiiii,"axG",@progbits,_ZL8moe_q6_KIfLb1EEvPKvS1_PT_PKiS5_S5_iiiiiii,comdat
	.globl	_ZL8moe_q6_KIfLb1EEvPKvS1_PT_PKiS5_S5_iiiiiii ; -- Begin function _ZL8moe_q6_KIfLb1EEvPKvS1_PT_PKiS5_S5_iiiiiii
	.p2align	8
	.type	_ZL8moe_q6_KIfLb1EEvPKvS1_PT_PKiS5_S5_iiiiiii,@function
_ZL8moe_q6_KIfLb1EEvPKvS1_PT_PKiS5_S5_iiiiiii: ; @_ZL8moe_q6_KIfLb1EEvPKvS1_PT_PKiS5_S5_iiiiiii
; %bb.0:
	s_load_dwordx4 s[0:3], s[4:5], 0x18
	s_mov_b32 s8, s7
	s_mov_b32 s9, 0
	s_lshl_b64 s[10:11], s[8:9], 2
	s_waitcnt lgkmcnt(0)
	s_add_u32 s2, s2, s10
	s_addc_u32 s3, s3, s11
	s_load_dword s2, s[2:3], 0x0
	s_waitcnt lgkmcnt(0)
	s_cmpk_gt_u32 s2, 0xff
	s_cbranch_scc1 .LBB196_26
; %bb.1:
	s_load_dwordx2 s[10:11], s[4:5], 0x28
	s_lshl_b32 s3, s8, 3
	s_waitcnt lgkmcnt(0)
	s_load_dword s7, s[10:11], 0x0
	s_waitcnt lgkmcnt(0)
	s_cmp_gt_u32 s3, s7
	s_cbranch_scc1 .LBB196_26
; %bb.2:
	v_add_u32_e32 v19, s3, v1
	v_mov_b32_e32 v20, 0
	v_lshlrev_b64 v[2:3], 2, v[19:20]
	v_mov_b32_e32 v4, s1
	v_add_co_u32_e32 v2, vcc, s0, v2
	v_addc_co_u32_e32 v3, vcc, v4, v3, vcc
	global_load_dword v21, v[2:3], off
	s_load_dwordx8 s[8:15], s[4:5], 0x30
	s_load_dwordx2 s[16:17], s[4:5], 0x10
	s_waitcnt lgkmcnt(0)
	s_lshl_b32 s15, s6, 7
	v_mov_b32_e32 v105, v20
	v_mov_b32_e32 v108, v20
	s_cmpk_lt_i32 s9, 0x100
	v_mov_b32_e32 v22, v20
	s_cbranch_scc1 .LBB196_17
; %bb.3:
	s_ashr_i32 s0, s9, 31
	s_lshr_b32 s0, s0, 24
	s_add_i32 s0, s9, s0
	s_ashr_i32 s22, s0, 8
	s_ashr_i32 s0, s12, 31
	s_lshr_b32 s0, s0, 27
	v_and_b32_e32 v2, 31, v0
	s_add_i32 s0, s12, s0
	v_add_u16_e32 v4, -16, v2
	v_cmp_gt_u32_e32 vcc, 16, v2
	s_ashr_i32 s12, s0, 5
	s_not_b32 s0, s15
	v_lshlrev_b32_e32 v3, 1, v2
	v_lshlrev_b32_e32 v20, 2, v2
	v_cndmask_b32_e32 v2, v4, v2, vcc
	s_mul_i32 s8, s2, s8
	s_add_i32 s2, s10, s0
	v_cmp_lt_u16_e64 s[0:1], 7, v2
	v_add_u32_e32 v2, 0xe0, v3
	v_cndmask_b32_e32 v2, v2, v3, vcc
	v_and_b32_e32 v2, 0xfe, v2
	v_sub_u32_e32 v2, v3, v2
	v_and_b32_e32 v3, 15, v0
	v_min_i32_e32 v4, s2, v1
	v_add_lshl_u32 v18, v2, v3, 2
	s_movk_i32 s3, 0x104
	v_cndmask_b32_e64 v23, 0, 2, s[0:1]
	v_mad_u64_u32 v[2:3], s[0:1], v4, s3, v[18:19]
	v_add_u32_e32 v3, 8, v1
	v_min_i32_e32 v3, s2, v3
	v_mul_lo_u32 v43, v4, s22
	v_mul_lo_u32 v46, v3, s22
	v_mad_u64_u32 v[3:4], s[0:1], v3, s3, v[18:19]
	v_add_u32_e32 v4, 16, v1
	v_min_i32_e32 v4, s2, v4
	v_mul_lo_u32 v49, v4, s22
	v_mad_u64_u32 v[4:5], s[0:1], v4, s3, v[18:19]
	v_add_u32_e32 v5, 24, v1
	v_min_i32_e32 v5, s2, v5
	;; [unrolled: 4-line block ×14, first 2 shown]
	v_mul_lo_u32 v103, v17, s22
	v_mad_u64_u32 v[17:18], s[0:1], v17, s3, v[18:19]
	v_lshl_add_u32 v18, v1, 5, v0
	v_and_b32_e32 v18, 0x7f, v18
	v_min_i32_e32 v18, s2, v18
	v_ashrrev_i32_e32 v19, 31, v18
	v_lshrrev_b32_e32 v19, 27, v19
	v_add_u32_e32 v19, v18, v19
	v_ashrrev_i32_e32 v19, 5, v19
	v_mul_lo_u32 v107, v18, s22
	v_lshlrev_b32_e32 v19, 2, v19
	v_lshlrev_b32_e32 v18, 2, v18
	s_mov_b32 s3, 0x8e40
	v_add3_u32 v24, v19, v18, s3
	v_lshrrev_b32_e32 v18, 2, v0
	v_lshl_add_u32 v18, v1, 3, v18
	v_and_b32_e32 v19, 3, v0
	v_and_b32_e32 v18, 0x7f, v18
	v_lshlrev_b32_e32 v113, 2, v19
	v_min_i32_e32 v19, s2, v18
	v_xor_b32_e32 v18, 64, v18
	v_min_i32_e32 v18, s2, v18
	s_abs_i32 s2, s14
	v_cvt_f32_u32_e32 v35, s2
	v_add_u32_e32 v36, 64, v0
	v_lshrrev_b32_e32 v37, 3, v36
	s_mov_b32 s10, 0x8200
	v_rcp_iflag_f32_e32 v35, v35
	v_lshlrev_b32_e32 v38, 2, v37
	v_lshlrev_b32_e32 v36, 4, v36
	s_sub_i32 s19, 0, s2
	v_mul_f32_e32 v35, 0x4f7ffffe, v35
	v_cvt_u32_f32_e32 v39, v35
	v_add3_u32 v35, v36, v38, s10
	v_and_b32_e32 v36, 60, v37
	s_waitcnt vmcnt(0)
	v_sub_u32_e32 v44, 0, v21
	v_mul_lo_u32 v37, s19, v39
	v_max_i32_e32 v44, v21, v44
	v_add_u32_e32 v38, 0x60, v0
	v_lshrrev_b32_e32 v40, 3, v38
	v_mul_hi_u32 v37, v39, v37
	v_lshlrev_b32_e32 v41, 2, v40
	v_ashrrev_i32_e32 v25, 31, v19
	v_lshrrev_b32_e32 v25, 29, v25
	v_add_u32_e32 v37, v39, v37
	v_mul_hi_u32 v39, v44, v37
	v_lshlrev_b32_e32 v37, 4, v38
	v_and_b32_e32 v38, 60, v40
	v_mul_lo_u32 v108, v19, s22
	v_mul_lo_u32 v40, v39, s2
	v_add_u32_e32 v25, v19, v25
	v_lshlrev_b32_e32 v115, 4, v19
	v_ashrrev_i32_e32 v19, 31, v18
	v_lshrrev_b32_e32 v19, 29, v19
	v_add_u32_e32 v33, 32, v0
	v_sub_u32_e32 v40, v44, v40
	v_add_u32_e32 v19, v18, v19
	v_lshrrev_b32_e32 v32, 3, v33
	v_add3_u32 v37, v37, v41, s10
	v_add_u32_e32 v41, 1, v39
	v_cmp_le_u32_e32 vcc, s2, v40
	s_load_dwordx4 s[4:7], s[4:5], 0x0
	v_lshrrev_b32_e32 v42, 5, v0
	v_ashrrev_i32_e32 v25, 3, v25
	v_ashrrev_i32_e32 v19, 3, v19
	v_lshlrev_b32_e32 v34, 2, v32
	v_lshlrev_b32_e32 v33, 4, v33
	v_cndmask_b32_e32 v39, v39, v41, vcc
	v_subrev_u32_e32 v41, s2, v40
	v_lshlrev_b32_e32 v25, 2, v25
	v_mul_lo_u32 v110, v18, s22
	v_lshlrev_b32_e32 v19, 2, v19
	v_lshlrev_b32_e32 v117, 4, v18
	;; [unrolled: 1-line block ×4, first 2 shown]
	v_add3_u32 v33, v33, v34, s10
	v_and_b32_e32 v34, 60, v32
	v_cndmask_b32_e32 v40, v40, v41, vcc
	v_add3_u32 v114, v25, v113, s10
	v_add3_u32 v116, v19, v113, s10
	v_add_u32_e32 v25, 0x9050, v18
	v_and_b32_e32 v19, 28, v18
	v_add3_u32 v31, v18, v31, s3
	v_add3_u32 v34, v18, v34, s3
	;; [unrolled: 1-line block ×4, first 2 shown]
	v_xor_b32_e32 v18, s14, v21
	v_add_u32_e32 v41, 1, v39
	v_cmp_le_u32_e32 vcc, s2, v40
	v_ashrrev_i32_e32 v18, 31, v18
	v_cndmask_b32_e32 v39, v39, v41, vcc
	s_mul_i32 s18, s22, s15
	v_xor_b32_e32 v39, v39, v18
	v_sub_u32_e32 v39, v39, v18
	s_waitcnt lgkmcnt(0)
	v_mov_b32_e32 v40, s7
	v_add_co_u32_e32 v18, vcc, s6, v19
	s_mul_hi_i32 s21, s18, 0xd2
	v_addc_co_u32_e32 v19, vcc, 0, v40, vcc
	s_mul_i32 s20, s18, 0xd2
	v_mov_b32_e32 v41, s21
	s_movk_i32 s23, 0xd2
	v_mov_b32_e32 v40, s20
	v_mad_u64_u32 v[99:100], s[18:19], v42, s23, v[40:41]
	v_and_b32_e32 v45, 7, v0
	v_lshlrev_b32_e32 v41, 1, v0
	v_mad_i64_i32 v[43:44], s[26:27], v43, s23, v[99:100]
	v_lshlrev_b32_e32 v42, 2, v45
	v_and_or_b32 v105, v41, 32, v42
	v_add_co_u32_e32 v41, vcc, v43, v105
	v_lshrrev_b32_e32 v28, 3, v0
	v_addc_co_u32_e32 v42, vcc, 0, v44, vcc
	v_lshlrev_b32_e32 v29, 2, v28
	v_lshlrev_b32_e32 v30, 4, v0
	v_mov_b32_e32 v45, s5
	v_add_co_u32_e32 v41, vcc, s4, v41
	v_add3_u32 v29, v30, v29, s10
	v_addc_co_u32_e32 v42, vcc, v45, v42, vcc
	s_movk_i32 s10, 0x80
	v_add_co_u32_e32 v41, vcc, s10, v41
	v_addc_co_u32_e32 v42, vcc, 0, v42, vcc
	v_add_co_u32_e32 v43, vcc, v43, v20
	v_mad_i64_i32 v[47:48], s[26:27], v46, s23, v[99:100]
	v_addc_co_u32_e32 v44, vcc, 0, v44, vcc
	v_add_co_u32_e32 v43, vcc, s4, v43
	v_addc_co_u32_e32 v44, vcc, v45, v44, vcc
	v_add_co_u32_e32 v45, vcc, v47, v105
	v_addc_co_u32_e32 v46, vcc, 0, v48, vcc
	v_mov_b32_e32 v50, s5
	v_add_co_u32_e32 v45, vcc, s4, v45
	v_addc_co_u32_e32 v46, vcc, v50, v46, vcc
	v_add_co_u32_e32 v45, vcc, s10, v45
	v_addc_co_u32_e32 v46, vcc, 0, v46, vcc
	v_add_co_u32_e32 v47, vcc, v47, v20
	v_mad_i64_i32 v[51:52], s[26:27], v49, s23, v[99:100]
	v_addc_co_u32_e32 v48, vcc, 0, v48, vcc
	v_add_co_u32_e32 v47, vcc, s4, v47
	v_addc_co_u32_e32 v48, vcc, v50, v48, vcc
	v_add_co_u32_e32 v49, vcc, v51, v105
	v_addc_co_u32_e32 v50, vcc, 0, v52, vcc
	v_mov_b32_e32 v54, s5
	v_add_co_u32_e32 v49, vcc, s4, v49
	v_addc_co_u32_e32 v50, vcc, v54, v50, vcc
	v_add_co_u32_e32 v49, vcc, s10, v49
	v_addc_co_u32_e32 v50, vcc, 0, v50, vcc
	v_add_co_u32_e32 v51, vcc, v51, v20
	v_mad_i64_i32 v[55:56], s[26:27], v53, s23, v[99:100]
	v_addc_co_u32_e32 v52, vcc, 0, v52, vcc
	v_add_co_u32_e32 v51, vcc, s4, v51
	v_addc_co_u32_e32 v52, vcc, v54, v52, vcc
	v_add_co_u32_e32 v53, vcc, v55, v105
	v_addc_co_u32_e32 v54, vcc, 0, v56, vcc
	v_mov_b32_e32 v58, s5
	v_add_co_u32_e32 v53, vcc, s4, v53
	v_addc_co_u32_e32 v54, vcc, v58, v54, vcc
	v_add_co_u32_e32 v53, vcc, s10, v53
	v_addc_co_u32_e32 v54, vcc, 0, v54, vcc
	v_add_co_u32_e32 v55, vcc, v55, v20
	v_mad_i64_i32 v[59:60], s[26:27], v57, s23, v[99:100]
	v_addc_co_u32_e32 v56, vcc, 0, v56, vcc
	v_add_co_u32_e32 v55, vcc, s4, v55
	v_addc_co_u32_e32 v56, vcc, v58, v56, vcc
	v_add_co_u32_e32 v57, vcc, v59, v105
	v_addc_co_u32_e32 v58, vcc, 0, v60, vcc
	v_mov_b32_e32 v62, s5
	v_add_co_u32_e32 v57, vcc, s4, v57
	v_addc_co_u32_e32 v58, vcc, v62, v58, vcc
	v_add_co_u32_e32 v57, vcc, s10, v57
	v_addc_co_u32_e32 v58, vcc, 0, v58, vcc
	v_add_co_u32_e32 v59, vcc, v59, v20
	v_mad_i64_i32 v[63:64], s[26:27], v61, s23, v[99:100]
	v_addc_co_u32_e32 v60, vcc, 0, v60, vcc
	v_add_co_u32_e32 v59, vcc, s4, v59
	v_addc_co_u32_e32 v60, vcc, v62, v60, vcc
	v_add_co_u32_e32 v61, vcc, v63, v105
	v_addc_co_u32_e32 v62, vcc, 0, v64, vcc
	v_mov_b32_e32 v66, s5
	v_add_co_u32_e32 v61, vcc, s4, v61
	v_addc_co_u32_e32 v62, vcc, v66, v62, vcc
	v_add_co_u32_e32 v61, vcc, s10, v61
	v_addc_co_u32_e32 v62, vcc, 0, v62, vcc
	v_add_co_u32_e32 v63, vcc, v63, v20
	v_mad_i64_i32 v[67:68], s[26:27], v65, s23, v[99:100]
	v_addc_co_u32_e32 v64, vcc, 0, v64, vcc
	v_add_co_u32_e32 v63, vcc, s4, v63
	v_addc_co_u32_e32 v64, vcc, v66, v64, vcc
	v_add_co_u32_e32 v65, vcc, v67, v105
	v_addc_co_u32_e32 v66, vcc, 0, v68, vcc
	v_mov_b32_e32 v70, s5
	v_add_co_u32_e32 v65, vcc, s4, v65
	v_addc_co_u32_e32 v66, vcc, v70, v66, vcc
	v_add_co_u32_e32 v65, vcc, s10, v65
	v_addc_co_u32_e32 v66, vcc, 0, v66, vcc
	v_add_co_u32_e32 v67, vcc, v67, v20
	v_mad_i64_i32 v[71:72], s[26:27], v69, s23, v[99:100]
	v_addc_co_u32_e32 v68, vcc, 0, v68, vcc
	v_add_co_u32_e32 v67, vcc, s4, v67
	v_addc_co_u32_e32 v68, vcc, v70, v68, vcc
	v_add_co_u32_e32 v69, vcc, v71, v105
	v_addc_co_u32_e32 v70, vcc, 0, v72, vcc
	v_mov_b32_e32 v74, s5
	v_add_co_u32_e32 v69, vcc, s4, v69
	v_addc_co_u32_e32 v70, vcc, v74, v70, vcc
	v_add_co_u32_e32 v69, vcc, s10, v69
	v_addc_co_u32_e32 v70, vcc, 0, v70, vcc
	v_add_co_u32_e32 v71, vcc, v71, v20
	v_mad_i64_i32 v[75:76], s[26:27], v73, s23, v[99:100]
	v_addc_co_u32_e32 v72, vcc, 0, v72, vcc
	v_add_co_u32_e32 v71, vcc, s4, v71
	v_addc_co_u32_e32 v72, vcc, v74, v72, vcc
	v_add_co_u32_e32 v73, vcc, v75, v105
	v_addc_co_u32_e32 v74, vcc, 0, v76, vcc
	v_mov_b32_e32 v78, s5
	v_add_co_u32_e32 v73, vcc, s4, v73
	v_addc_co_u32_e32 v74, vcc, v78, v74, vcc
	v_add_co_u32_e32 v73, vcc, s10, v73
	v_addc_co_u32_e32 v74, vcc, 0, v74, vcc
	v_add_co_u32_e32 v75, vcc, v75, v20
	v_mad_i64_i32 v[79:80], s[26:27], v77, s23, v[99:100]
	v_addc_co_u32_e32 v76, vcc, 0, v76, vcc
	v_add_co_u32_e32 v75, vcc, s4, v75
	v_addc_co_u32_e32 v76, vcc, v78, v76, vcc
	v_add_co_u32_e32 v77, vcc, v79, v105
	v_addc_co_u32_e32 v78, vcc, 0, v80, vcc
	v_mov_b32_e32 v82, s5
	v_add_co_u32_e32 v77, vcc, s4, v77
	v_addc_co_u32_e32 v78, vcc, v82, v78, vcc
	v_add_co_u32_e32 v77, vcc, s10, v77
	v_addc_co_u32_e32 v78, vcc, 0, v78, vcc
	v_add_co_u32_e32 v79, vcc, v79, v20
	v_mad_i64_i32 v[83:84], s[26:27], v81, s23, v[99:100]
	v_addc_co_u32_e32 v80, vcc, 0, v80, vcc
	v_add_co_u32_e32 v79, vcc, s4, v79
	v_addc_co_u32_e32 v80, vcc, v82, v80, vcc
	v_add_co_u32_e32 v81, vcc, v83, v105
	v_addc_co_u32_e32 v82, vcc, 0, v84, vcc
	v_mov_b32_e32 v86, s5
	v_add_co_u32_e32 v81, vcc, s4, v81
	v_addc_co_u32_e32 v82, vcc, v86, v82, vcc
	v_add_co_u32_e32 v81, vcc, s10, v81
	v_addc_co_u32_e32 v82, vcc, 0, v82, vcc
	v_add_co_u32_e32 v83, vcc, v83, v20
	v_mad_i64_i32 v[87:88], s[26:27], v85, s23, v[99:100]
	v_addc_co_u32_e32 v84, vcc, 0, v84, vcc
	v_add_co_u32_e32 v83, vcc, s4, v83
	v_addc_co_u32_e32 v84, vcc, v86, v84, vcc
	v_add_co_u32_e32 v85, vcc, v87, v105
	v_addc_co_u32_e32 v86, vcc, 0, v88, vcc
	v_mov_b32_e32 v90, s5
	v_add_co_u32_e32 v85, vcc, s4, v85
	v_addc_co_u32_e32 v86, vcc, v90, v86, vcc
	v_add_co_u32_e32 v85, vcc, s10, v85
	v_addc_co_u32_e32 v86, vcc, 0, v86, vcc
	v_add_co_u32_e32 v87, vcc, v87, v20
	v_mad_i64_i32 v[91:92], s[26:27], v89, s23, v[99:100]
	v_addc_co_u32_e32 v88, vcc, 0, v88, vcc
	v_add_co_u32_e32 v87, vcc, s4, v87
	v_addc_co_u32_e32 v88, vcc, v90, v88, vcc
	v_add_co_u32_e32 v89, vcc, v91, v105
	v_addc_co_u32_e32 v90, vcc, 0, v92, vcc
	v_mov_b32_e32 v94, s5
	v_add_co_u32_e32 v89, vcc, s4, v89
	v_addc_co_u32_e32 v90, vcc, v94, v90, vcc
	v_add_co_u32_e32 v89, vcc, s10, v89
	v_addc_co_u32_e32 v90, vcc, 0, v90, vcc
	v_add_co_u32_e32 v91, vcc, v91, v20
	v_mad_i64_i32 v[95:96], s[26:27], v93, s23, v[99:100]
	v_addc_co_u32_e32 v92, vcc, 0, v92, vcc
	v_add_co_u32_e32 v91, vcc, s4, v91
	v_addc_co_u32_e32 v92, vcc, v94, v92, vcc
	v_add_co_u32_e32 v93, vcc, v95, v105
	v_addc_co_u32_e32 v94, vcc, 0, v96, vcc
	v_mov_b32_e32 v98, s5
	v_add_co_u32_e32 v93, vcc, s4, v93
	v_addc_co_u32_e32 v94, vcc, v98, v94, vcc
	v_add_co_u32_e32 v93, vcc, s10, v93
	v_addc_co_u32_e32 v94, vcc, 0, v94, vcc
	v_add_co_u32_e32 v95, vcc, v95, v20
	v_mad_i64_i32 v[101:102], s[26:27], v97, s23, v[99:100]
	v_addc_co_u32_e32 v96, vcc, 0, v96, vcc
	v_add_co_u32_e32 v95, vcc, s4, v95
	v_addc_co_u32_e32 v96, vcc, v98, v96, vcc
	v_add_co_u32_e32 v97, vcc, v101, v105
	v_addc_co_u32_e32 v98, vcc, 0, v102, vcc
	v_mov_b32_e32 v104, s5
	v_add_co_u32_e32 v97, vcc, s4, v97
	v_addc_co_u32_e32 v98, vcc, v104, v98, vcc
	v_add_co_u32_e32 v97, vcc, s10, v97
	v_addc_co_u32_e32 v98, vcc, 0, v98, vcc
	v_add_co_u32_e32 v101, vcc, v101, v20
	v_mad_i64_i32 v[103:104], s[26:27], v103, s23, v[99:100]
	v_addc_co_u32_e32 v102, vcc, 0, v102, vcc
	v_mov_b32_e32 v106, s5
	v_add_co_u32_e32 v99, vcc, s4, v101
	v_addc_co_u32_e32 v100, vcc, v106, v102, vcc
	v_add_co_u32_e32 v101, vcc, v103, v105
	v_addc_co_u32_e32 v102, vcc, 0, v104, vcc
	v_mov_b32_e32 v105, s5
	v_add_co_u32_e32 v101, vcc, s4, v101
	v_addc_co_u32_e32 v102, vcc, v105, v102, vcc
	v_mov_b32_e32 v26, 0x8a40
	v_add_co_u32_e32 v101, vcc, s10, v101
	v_lshl_add_u32 v26, v1, 7, v26
	v_cmp_gt_u32_e64 s[0:1], 4, v0
	v_cmp_gt_i32_e64 s[2:3], s11, v39
	v_addc_co_u32_e32 v102, vcc, 0, v102, vcc
	s_ashr_i32 s24, s8, 31
	v_add_u32_e32 v27, v26, v20
	s_and_b64 s[18:19], s[0:1], s[2:3]
	v_add_co_u32_e32 v20, vcc, v103, v20
	v_addc_co_u32_e32 v104, vcc, 0, v104, vcc
	s_add_u32 s26, s4, s20
	v_add_co_u32_e32 v103, vcc, s4, v20
	s_addc_u32 s27, s5, s21
	v_addc_co_u32_e32 v104, vcc, v105, v104, vcc
	v_mov_b32_e32 v106, s27
	v_mov_b32_e32 v105, s26
	v_mad_i64_i32 v[106:107], s[26:27], v107, s23, v[105:106]
	v_mad_i64_i32 v[108:109], s[26:27], v108, s23, 0
	s_movk_i32 s25, 0xd0
	v_add_co_u32_e32 v106, vcc, s25, v106
	v_addc_co_u32_e32 v107, vcc, 0, v107, vcc
	v_mov_b32_e32 v20, s21
	v_add_co_u32_e32 v105, vcc, s20, v108
	v_addc_co_u32_e32 v20, vcc, v20, v109, vcc
	v_add_co_u32_e32 v105, vcc, v105, v113
	v_addc_co_u32_e32 v20, vcc, 0, v20, vcc
	v_mov_b32_e32 v108, s5
	v_add_co_u32_e32 v105, vcc, s4, v105
	v_mad_i64_i32 v[111:112], s[26:27], v110, s23, 0
	v_addc_co_u32_e32 v20, vcc, v108, v20, vcc
	s_movk_i32 s25, 0xc0
	v_add_co_u32_e32 v109, vcc, s25, v105
	v_addc_co_u32_e32 v110, vcc, 0, v20, vcc
	v_mov_b32_e32 v20, s21
	v_add_co_u32_e32 v105, vcc, s20, v111
	v_addc_co_u32_e32 v20, vcc, v20, v112, vcc
	v_add_co_u32_e32 v105, vcc, v105, v113
	v_mul_lo_u32 v39, v39, s12
	v_addc_co_u32_e32 v20, vcc, 0, v20, vcc
	v_add_co_u32_e32 v105, vcc, s4, v105
	v_addc_co_u32_e32 v20, vcc, v108, v20, vcc
	v_add_co_u32_e32 v111, vcc, s25, v105
	v_mov_b32_e32 v22, 0
	v_lshlrev_b32_e32 v1, 4, v1
	v_mul_u32_u24_e32 v30, 0x104, v0
	v_ashrrev_i32_e32 v40, 31, v39
	v_addc_co_u32_e32 v112, vcc, 0, v20, vcc
	s_mov_b32 s20, 0x30303030
	s_movk_i32 s21, 0x3f00
	s_movk_i32 s23, 0xe000
	v_add_u32_e32 v113, v114, v115
	v_add_u32_e32 v114, v116, v117
	v_mov_b32_e32 v115, s24
	v_mov_b32_e32 v116, 8
	;; [unrolled: 1-line block ×6, first 2 shown]
	s_branch .LBB196_6
.LBB196_4:                              ;   in Loop: Header=BB196_6 Depth=1
	s_or_b64 exec, exec, s[4:5]
	s_waitcnt lgkmcnt(0)
	s_barrier
	ds_read_b128 v[120:123], v26
	ds_read_b128 v[124:127], v26 offset:16
	ds_read_b128 v[128:131], v26 offset:32
	;; [unrolled: 1-line block ×3, first 2 shown]
	ds_read_b32 v119, v31
	ds_read2_b32 v[136:137], v30 offset0:44 offset1:45
	ds_read2_b32 v[138:139], v30 offset0:38 offset1:39
	ds_read2_b32 v[140:141], v30 offset0:36 offset1:37
	ds_read2_b32 v[142:143], v30 offset0:34 offset1:35
	ds_read2_b32 v[144:145], v30 offset0:32 offset1:33
	ds_read2_b32 v[146:147], v30 offset0:46 offset1:47
	ds_read2_b32 v[148:149], v30 offset0:42 offset1:43
	ds_read2_b32 v[150:151], v30 offset0:40 offset1:41
	s_waitcnt lgkmcnt(7)
	v_dot4_i32_i8 v118, v136, v132, 0
	v_dot4_i32_i8 v118, v137, v133, v118
	s_waitcnt lgkmcnt(2)
	v_dot4_i32_i8 v118, v146, v134, v118
	v_dot4_i32_i8 v160, v147, v135, v118
	;; [unrolled: 3-line block ×3, first 2 shown]
	v_dot4_i32_i8 v118, v148, v130, v118
	v_dot4_i32_i8 v161, v149, v131, v118
	;; [unrolled: 1-line block ×10, first 2 shown]
	v_add_u32_e32 v118, 0x2118, v30
	ds_read2_b32 v[136:137], v118 offset1:1
	v_add_u32_e32 v118, 0x2110, v30
	v_add_u32_e32 v140, 0x2108, v30
	;; [unrolled: 1-line block ×4, first 2 shown]
	ds_read2_b32 v[138:139], v118 offset1:1
	ds_read2_b32 v[140:141], v140 offset1:1
	;; [unrolled: 1-line block ×4, first 2 shown]
	v_add_u32_e32 v118, 0x2130, v30
	ds_read2_b32 v[146:147], v118 offset1:1
	v_add_u32_e32 v118, 0x2128, v30
	v_add_u32_e32 v150, 0x2120, v30
	;; [unrolled: 1-line block ×3, first 2 shown]
	ds_read2_b32 v[148:149], v118 offset1:1
	ds_read2_b32 v[150:151], v150 offset1:1
	;; [unrolled: 1-line block ×3, first 2 shown]
	s_waitcnt lgkmcnt(3)
	v_dot4_i32_i8 v118, v146, v132, 0
	v_dot4_i32_i8 v118, v147, v133, v118
	;; [unrolled: 1-line block ×4, first 2 shown]
	s_waitcnt lgkmcnt(1)
	v_dot4_i32_i8 v118, v150, v128, 0
	v_dot4_i32_i8 v118, v151, v129, v118
	;; [unrolled: 1-line block ×12, first 2 shown]
	v_add_u32_e32 v136, 0x4190, v30
	v_add_u32_e32 v138, 0x4188, v30
	v_add_u32_e32 v140, 0x4180, v30
	v_add_u32_e32 v142, 0x41b8, v30
	v_add_u32_e32 v144, 0x41b0, v30
	ds_read_b32 v118, v38 offset:384
	ds_read2_b32 v[136:137], v136 offset1:1
	ds_read2_b32 v[138:139], v138 offset1:1
	;; [unrolled: 1-line block ×5, first 2 shown]
	v_add_u32_e32 v146, 0x41a8, v30
	v_add_u32_e32 v148, 0x41a0, v30
	;; [unrolled: 1-line block ×3, first 2 shown]
	ds_read2_b32 v[146:147], v146 offset1:1
	ds_read2_b32 v[148:149], v148 offset1:1
	;; [unrolled: 1-line block ×3, first 2 shown]
	s_waitcnt lgkmcnt(3)
	v_dot4_i32_i8 v144, v144, v132, 0
	v_dot4_i32_i8 v136, v136, v124, 0
	;; [unrolled: 1-line block ×7, first 2 shown]
	s_waitcnt lgkmcnt(1)
	v_dot4_i32_i8 v142, v148, v128, 0
	v_dot4_i32_i8 v170, v153, v127, v136
	v_dot4_i32_i8 v136, v140, v120, 0
	v_dot4_i32_i8 v142, v149, v129, v142
	v_dot4_i32_i8 v136, v141, v121, v136
	v_dot4_i32_i8 v142, v146, v130, v142
	v_dot4_i32_i8 v136, v138, v122, v136
	v_dot4_i32_i8 v169, v147, v131, v142
	v_dot4_i32_i8 v171, v139, v123, v136
	v_add_u32_e32 v136, 0x6210, v30
	v_add_u32_e32 v138, 0x6208, v30
	;; [unrolled: 1-line block ×5, first 2 shown]
	ds_read2_b32 v[136:137], v136 offset1:1
	ds_read2_b32 v[138:139], v138 offset1:1
	;; [unrolled: 1-line block ×5, first 2 shown]
	v_add_u32_e32 v146, 0x6228, v30
	v_add_u32_e32 v148, 0x6220, v30
	;; [unrolled: 1-line block ×3, first 2 shown]
	ds_read2_b32 v[146:147], v146 offset1:1
	ds_read2_b32 v[148:149], v148 offset1:1
	;; [unrolled: 1-line block ×3, first 2 shown]
	s_waitcnt lgkmcnt(3)
	v_dot4_i32_i8 v132, v144, v132, 0
	v_dot4_i32_i8 v124, v136, v124, 0
	;; [unrolled: 1-line block ×3, first 2 shown]
	s_waitcnt lgkmcnt(1)
	v_dot4_i32_i8 v128, v148, v128, 0
	v_dot4_i32_i8 v132, v145, v133, v132
	v_dot4_i32_i8 v128, v149, v129, v128
	v_dot4_i32_i8 v124, v137, v125, v124
	v_dot4_i32_i8 v120, v141, v121, v120
	v_dot4_i32_i8 v132, v142, v134, v132
	v_dot4_i32_i8 v128, v146, v130, v128
	v_dot4_i32_i8 v124, v150, v126, v124
	v_dot4_i32_i8 v120, v138, v122, v120
	v_dot4_i32_i8 v172, v143, v135, v132
	v_dot4_i32_i8 v173, v147, v131, v128
	v_dot4_i32_i8 v174, v151, v127, v124
	v_dot4_i32_i8 v175, v139, v123, v120
	ds_read_b128 v[120:123], v26 offset:80
	ds_read_b128 v[124:127], v26 offset:64
	;; [unrolled: 1-line block ×4, first 2 shown]
	ds_read2_b32 v[136:137], v30 offset0:62 offset1:63
	ds_read2_b32 v[138:139], v30 offset0:60 offset1:61
	;; [unrolled: 1-line block ×7, first 2 shown]
	s_waitcnt lgkmcnt(5)
	v_dot4_i32_i8 v138, v138, v128, 0
	v_dot4_i32_i8 v138, v139, v129, v138
	;; [unrolled: 1-line block ×4, first 2 shown]
	s_waitcnt lgkmcnt(3)
	v_dot4_i32_i8 v136, v142, v120, 0
	v_dot4_i32_i8 v136, v143, v121, v136
	;; [unrolled: 1-line block ×4, first 2 shown]
	s_waitcnt lgkmcnt(1)
	v_dot4_i32_i8 v136, v146, v124, 0
	v_dot4_i32_i8 v136, v147, v125, v136
	;; [unrolled: 1-line block ×3, first 2 shown]
	v_add_u32_e32 v140, 0x6250, v30
	v_add_u32_e32 v142, 0x6248, v30
	;; [unrolled: 1-line block ×5, first 2 shown]
	v_dot4_i32_i8 v178, v145, v127, v136
	ds_read_b128 v[136:139], v1 offset:36944
	ds_read2_b32 v[140:141], v140 offset1:1
	ds_read2_b32 v[142:143], v142 offset1:1
	ds_read2_b32 v[144:145], v144 offset1:1
	ds_read2_b32 v[146:147], v146 offset1:1
	ds_read2_b32 v[150:151], v150 offset1:1
	v_add_u32_e32 v154, 0x6268, v30
	v_add_u32_e32 v156, 0x6260, v30
	;; [unrolled: 1-line block ×3, first 2 shown]
	ds_read2_b32 v[154:155], v154 offset1:1
	ds_read2_b32 v[156:157], v156 offset1:1
	;; [unrolled: 1-line block ×3, first 2 shown]
	s_waitcnt lgkmcnt(3)
	v_dot4_i32_i8 v150, v150, v128, 0
	v_dot4_i32_i8 v150, v151, v129, v150
	;; [unrolled: 1-line block ×4, first 2 shown]
	s_waitcnt lgkmcnt(1)
	v_dot4_i32_i8 v146, v156, v132, 0
	v_dot4_i32_i8 v151, v157, v133, v146
	ds_read_b32 v179, v36 offset:256
	ds_read2_b32 v[146:147], v37 offset0:2 offset1:3
	v_dot4_i32_i8 v140, v140, v120, 0
	v_dot4_i32_i8 v140, v141, v121, v140
	;; [unrolled: 1-line block ×4, first 2 shown]
	s_waitcnt lgkmcnt(0)
	v_bfe_i32 v141, v146, 8, 8
	v_bfe_i32 v152, v147, 8, 8
	v_mul_lo_u32 v140, v140, v152
	v_mul_lo_u32 v141, v174, v141
	v_dot4_i32_i8 v144, v144, v124, 0
	v_dot4_i32_i8 v144, v145, v125, v144
	;; [unrolled: 1-line block ×4, first 2 shown]
	v_bfe_i32 v143, v147, 0, 8
	v_mad_u64_u32 v[142:143], s[4:5], v142, v143, v[140:141]
	v_bfe_i32 v144, v146, 0, 8
	v_add_u32_e32 v156, 0x2160, v30
	v_mad_u64_u32 v[140:141], s[4:5], v175, v144, v[141:142]
	v_dot4_i32_i8 v141, v154, v134, v151
	v_dot4_i32_i8 v143, v155, v135, v141
	v_cvt_f32_i32_e32 v151, v140
	v_ashrrev_i32_e32 v140, 24, v147
	v_ashrrev_i32_e32 v141, 24, v146
	v_mul_lo_u32 v140, v150, v140
	v_mul_lo_u32 v141, v172, v141
	v_cvt_f32_i32_e32 v145, v142
	v_bfe_i32 v142, v147, 16, 8
	v_bfe_i32 v144, v146, 16, 8
	v_mad_u64_u32 v[142:143], s[4:5], v143, v142, v[140:141]
	v_fma_f32 v146, v136, v151, 0
	v_fma_f32 v172, v138, v145, 0
	v_mad_u64_u32 v[140:141], s[4:5], v173, v144, v[141:142]
	ds_read2_b32 v[143:144], v29 offset0:2 offset1:3
	v_cvt_f32_i32_e32 v142, v142
	v_cvt_f32_i32_e32 v147, v140
	ds_read2_b32 v[140:141], v30 offset0:56 offset1:57
	v_add_u32_e32 v150, 0x2178, v30
	v_fmac_f32_e32 v172, v139, v142
	v_fmac_f32_e32 v146, v137, v147
	s_waitcnt lgkmcnt(1)
	v_bfe_i32 v142, v143, 0, 8
	s_waitcnt lgkmcnt(0)
	v_dot4_i32_i8 v140, v140, v132, 0
	v_dot4_i32_i8 v140, v141, v133, v140
	v_bfe_i32 v141, v143, 8, 8
	v_mul_lo_u32 v141, v162, v141
	v_dot4_i32_i8 v140, v148, v134, v140
	v_dot4_i32_i8 v147, v149, v135, v140
	v_bfe_i32 v140, v144, 8, 8
	v_mul_lo_u32 v140, v177, v140
	v_mad_u64_u32 v[141:142], s[4:5], v163, v142, v[141:142]
	v_bfe_i32 v145, v144, 0, 8
	v_fmac_f32_e32 v20, v118, v146
	v_mad_u64_u32 v[145:146], s[4:5], v178, v145, v[140:141]
	v_ashrrev_i32_e32 v140, 24, v144
	v_mul_lo_u32 v140, v176, v140
	v_bfe_i32 v148, v144, 16, 8
	v_ashrrev_i32_e32 v142, 24, v143
	v_bfe_i32 v146, v143, 16, 8
	v_mul_lo_u32 v142, v160, v142
	v_mad_u64_u32 v[143:144], s[4:5], v147, v148, v[140:141]
	v_cvt_f32_i32_e32 v140, v141
	v_cvt_f32_i32_e32 v141, v145
	v_mad_u64_u32 v[146:147], s[4:5], v161, v146, v[142:143]
	v_cvt_f32_i32_e32 v142, v143
	v_fma_f32 v144, v136, v140, 0
	v_cvt_f32_i32_e32 v143, v146
	v_fma_f32 v145, v138, v141, 0
	v_fmac_f32_e32 v145, v139, v142
	v_add_u32_e32 v146, 0x2148, v30
	v_fmac_f32_e32 v144, v137, v143
	v_fmac_f32_e32 v22, v119, v144
	;; [unrolled: 1-line block ×3, first 2 shown]
	v_add_u32_e32 v119, 0x2150, v30
	v_add_u32_e32 v148, 0x2140, v30
	ds_read_b32 v162, v34 offset:128
	ds_read2_b32 v[140:141], v35 offset0:2 offset1:3
	ds_read2_b32 v[142:143], v33 offset0:2 offset1:3
	ds_read2_b32 v[144:145], v119 offset1:1
	ds_read2_b32 v[146:147], v146 offset1:1
	;; [unrolled: 1-line block ×4, first 2 shown]
	v_add_u32_e32 v119, 0x2170, v30
	ds_read2_b32 v[152:153], v119 offset1:1
	v_add_u32_e32 v119, 0x2168, v30
	v_add_u32_e32 v160, 0x41d8, v30
	ds_read2_b32 v[154:155], v119 offset1:1
	ds_read2_b32 v[156:157], v156 offset1:1
	;; [unrolled: 1-line block ×3, first 2 shown]
	v_fmac_f32_e32 v20, v118, v172
	s_waitcnt lgkmcnt(3)
	v_dot4_i32_i8 v119, v152, v128, 0
	v_dot4_i32_i8 v119, v153, v129, v119
	;; [unrolled: 1-line block ×4, first 2 shown]
	s_waitcnt lgkmcnt(1)
	v_dot4_i32_i8 v119, v156, v132, 0
	v_dot4_i32_i8 v119, v157, v133, v119
	;; [unrolled: 1-line block ×11, first 2 shown]
	v_bfe_i32 v144, v142, 8, 8
	v_dot4_i32_i8 v119, v159, v123, v119
	v_bfe_i32 v145, v143, 8, 8
	v_mul_lo_u32 v144, v166, v144
	v_mul_lo_u32 v119, v119, v145
	v_bfe_i32 v145, v142, 0, 8
	v_bfe_i32 v147, v143, 0, 8
	v_mad_u64_u32 v[144:145], s[4:5], v167, v145, v[144:145]
	v_bfe_i32 v148, v142, 16, 8
	v_ashrrev_i32_e32 v142, 24, v142
	v_mad_u64_u32 v[145:146], s[4:5], v146, v147, v[119:120]
	v_ashrrev_i32_e32 v119, 24, v143
	v_mul_lo_u32 v142, v164, v142
	v_mul_lo_u32 v119, v150, v119
	v_bfe_i32 v146, v143, 16, 8
	v_add_u32_e32 v154, 0x41e0, v30
	v_mad_u64_u32 v[142:143], s[4:5], v165, v148, v[142:143]
	v_mad_u64_u32 v[146:147], s[4:5], v151, v146, v[119:120]
	v_cvt_f32_i32_e32 v119, v144
	v_cvt_f32_i32_e32 v143, v145
	;; [unrolled: 1-line block ×4, first 2 shown]
	v_fma_f32 v119, v136, v119, 0
	v_fma_f32 v143, v138, v143, 0
	v_fmac_f32_e32 v119, v137, v142
	v_fmac_f32_e32 v143, v139, v144
	v_fmac_f32_e32 v108, v162, v119
	v_add_u32_e32 v119, 0x41d0, v30
	v_add_u32_e32 v144, 0x41c8, v30
	v_add_u32_e32 v146, 0x41c0, v30
	v_add_u32_e32 v148, 0x41f8, v30
	v_fmac_f32_e32 v108, v162, v143
	ds_read2_b32 v[142:143], v119 offset1:1
	ds_read2_b32 v[144:145], v144 offset1:1
	;; [unrolled: 1-line block ×4, first 2 shown]
	v_add_u32_e32 v119, 0x41f0, v30
	ds_read2_b32 v[150:151], v119 offset1:1
	v_add_u32_e32 v119, 0x41e8, v30
	ds_read2_b32 v[152:153], v119 offset1:1
	ds_read2_b32 v[154:155], v154 offset1:1
	s_waitcnt lgkmcnt(0)
	s_barrier
	v_dot4_i32_i8 v119, v150, v128, 0
	v_dot4_i32_i8 v119, v151, v129, v119
	;; [unrolled: 1-line block ×15, first 2 shown]
	v_bfe_i32 v120, v140, 8, 8
	v_mul_lo_u32 v120, v170, v120
	v_dot4_i32_i8 v119, v161, v123, v119
	v_bfe_i32 v121, v141, 8, 8
	v_mul_lo_u32 v119, v119, v121
	v_bfe_i32 v121, v140, 0, 8
	v_mad_u64_u32 v[120:121], s[4:5], v171, v121, v[120:121]
	v_bfe_i32 v123, v141, 0, 8
	v_bfe_i32 v125, v140, 16, 8
	v_mad_u64_u32 v[121:122], s[4:5], v122, v123, v[119:120]
	v_ashrrev_i32_e32 v119, 24, v141
	v_mul_lo_u32 v119, v128, v119
	v_bfe_i32 v123, v141, 16, 8
	v_ashrrev_i32_e32 v122, 24, v140
	v_mul_lo_u32 v122, v168, v122
	v_mad_u64_u32 v[123:124], s[4:5], v129, v123, v[119:120]
	v_cvt_f32_i32_e32 v119, v120
	v_cvt_f32_i32_e32 v120, v121
	v_mad_u64_u32 v[124:125], s[4:5], v169, v125, v[122:123]
	v_cvt_f32_i32_e32 v121, v123
	v_fma_f32 v119, v136, v119, 0
	v_cvt_f32_i32_e32 v122, v124
	v_fma_f32 v120, v138, v120, 0
	v_fmac_f32_e32 v120, v139, v121
	v_fmac_f32_e32 v119, v137, v122
	;; [unrolled: 1-line block ×4, first 2 shown]
.LBB196_5:                              ;   in Loop: Header=BB196_6 Depth=1
	v_add_co_u32_e32 v41, vcc, 0xd2, v41
	v_addc_co_u32_e32 v42, vcc, 0, v42, vcc
	v_add_co_u32_e32 v43, vcc, 0xd2, v43
	v_addc_co_u32_e32 v44, vcc, 0, v44, vcc
	;; [unrolled: 2-line block ×34, first 2 shown]
	s_add_i32 s22, s22, -1
	s_addk_i32 s10, 0x100
	v_add_co_u32_e32 v111, vcc, 0xd2, v111
	v_add_u32_e32 v32, 8, v32
	v_add_u32_e32 v28, 8, v28
	;; [unrolled: 1-line block ×3, first 2 shown]
	s_cmp_eq_u32 s22, 0
	v_addc_co_u32_e32 v112, vcc, 0, v112, vcc
	s_cbranch_scc1 .LBB196_17
.LBB196_6:                              ; =>This Inner Loop Header: Depth=1
	v_add_co_u32_e32 v118, vcc, s8, v43
	v_addc_co_u32_e32 v119, vcc, v44, v115, vcc
	global_load_dword v122, v[118:119], off
	v_add_co_u32_e32 v118, vcc, s8, v41
	v_addc_co_u32_e32 v119, vcc, v42, v115, vcc
	global_load_dword v123, v[118:119], off
	;; [unrolled: 3-line block ×4, first 2 shown]
	v_add_co_u32_e32 v118, vcc, s8, v51
	v_addc_co_u32_e32 v119, vcc, v52, v115, vcc
	v_add_co_u32_e32 v120, vcc, s8, v49
	v_addc_co_u32_e32 v121, vcc, v50, v115, vcc
	global_load_dword v127, v[120:121], off
	global_load_dword v126, v[118:119], off
	v_add_co_u32_e32 v118, vcc, s8, v55
	v_addc_co_u32_e32 v119, vcc, v56, v115, vcc
	v_add_co_u32_e32 v120, vcc, s8, v53
	v_addc_co_u32_e32 v121, vcc, v54, v115, vcc
	global_load_dword v128, v[118:119], off
	s_nop 0
	global_load_dword v120, v[120:121], off
	s_add_i32 s4, s10, 0xffffff80
	s_cmp_lt_i32 s4, s9
	s_waitcnt vmcnt(7)
	v_lshrrev_b32_e32 v119, 4, v122
	v_and_b32_e32 v118, 0xf0f0f0f, v122
	v_and_b32_e32 v119, 0xf0f0f0f, v119
	s_waitcnt vmcnt(6)
	v_ashrrev_i32_e32 v121, v23, v123
	v_and_or_b32 v119, v121, s20, v119
	v_lshlrev_b16_e32 v130, 8, v119
	v_and_b32_sdwa v131, v119, s21 dst_sel:DWORD dst_unused:UNUSED_PAD src0_sel:WORD_1 src1_sel:DWORD
	v_add_u16_e32 v130, 0xe000, v130
	s_waitcnt vmcnt(5)
	v_and_b32_e32 v122, 0xf0f0f0f, v124
	v_lshrrev_b32_e32 v123, 4, v124
	v_and_b32_e32 v123, 0xf0f0f0f, v123
	s_waitcnt vmcnt(4)
	v_ashrrev_i32_e32 v124, v23, v125
	v_lshlrev_b32_e32 v125, 4, v121
	v_lshlrev_b32_e32 v129, 4, v124
	v_and_or_b32 v118, v125, s20, v118
	v_and_or_b32 v121, v129, s20, v122
	;; [unrolled: 1-line block ×3, first 2 shown]
	v_and_b32_e32 v123, 0x3f00, v118
	v_lshlrev_b16_e32 v124, 8, v118
	v_and_b32_sdwa v125, v118, s21 dst_sel:DWORD dst_unused:UNUSED_PAD src0_sel:WORD_1 src1_sel:DWORD
	v_lshlrev_b16_sdwa v118, v116, v118 dst_sel:DWORD dst_unused:UNUSED_PAD src0_sel:DWORD src1_sel:WORD_1
	v_and_b32_e32 v129, 0x3f00, v119
	v_lshlrev_b16_sdwa v119, v116, v119 dst_sel:DWORD dst_unused:UNUSED_PAD src0_sel:DWORD src1_sel:WORD_1
	v_add_u16_e32 v124, 0xe000, v124
	v_add_u16_e32 v118, 0xe000, v118
	;; [unrolled: 1-line block ×3, first 2 shown]
	v_or_b32_sdwa v123, v123, v124 dst_sel:DWORD dst_unused:UNUSED_PAD src0_sel:DWORD src1_sel:BYTE_1
	v_or_b32_sdwa v118, v125, v118 dst_sel:DWORD dst_unused:UNUSED_PAD src0_sel:DWORD src1_sel:BYTE_1
	;; [unrolled: 1-line block ×4, first 2 shown]
	v_add_u16_e32 v123, 0xe000, v123
	v_add_u16_sdwa v118, v118, s23 dst_sel:WORD_1 dst_unused:UNUSED_PAD src0_sel:DWORD src1_sel:DWORD
	v_add_u16_e32 v124, 0xe000, v124
	v_add_u16_sdwa v119, v119, s23 dst_sel:WORD_1 dst_unused:UNUSED_PAD src0_sel:DWORD src1_sel:DWORD
	v_lshlrev_b16_e32 v136, 8, v122
	v_or_b32_e32 v118, v123, v118
	v_or_b32_e32 v119, v124, v119
	v_and_b32_e32 v132, 0x3f00, v121
	v_lshlrev_b16_e32 v133, 8, v121
	v_and_b32_sdwa v134, v121, s21 dst_sel:DWORD dst_unused:UNUSED_PAD src0_sel:WORD_1 src1_sel:DWORD
	v_lshlrev_b16_sdwa v121, v116, v121 dst_sel:DWORD dst_unused:UNUSED_PAD src0_sel:DWORD src1_sel:WORD_1
	v_and_b32_e32 v135, 0x3f00, v122
	ds_write2_b32 v2, v118, v119 offset1:16
	v_add_u16_e32 v118, 0xe000, v136
	v_add_u16_e32 v133, 0xe000, v133
	;; [unrolled: 1-line block ×3, first 2 shown]
	v_or_b32_sdwa v118, v135, v118 dst_sel:DWORD dst_unused:UNUSED_PAD src0_sel:DWORD src1_sel:BYTE_1
	v_or_b32_sdwa v125, v132, v133 dst_sel:DWORD dst_unused:UNUSED_PAD src0_sel:DWORD src1_sel:BYTE_1
	;; [unrolled: 1-line block ×3, first 2 shown]
	v_add_u16_e32 v123, 0xe000, v118
	v_add_co_u32_e32 v118, vcc, s8, v59
	v_add_u16_e32 v125, 0xe000, v125
	v_add_u16_sdwa v121, v121, s23 dst_sel:WORD_1 dst_unused:UNUSED_PAD src0_sel:DWORD src1_sel:DWORD
	v_addc_co_u32_e32 v119, vcc, v60, v115, vcc
	v_or_b32_e32 v121, v125, v121
	global_load_dword v125, v[118:119], off
	v_add_co_u32_e32 v118, vcc, s8, v57
	v_addc_co_u32_e32 v119, vcc, v58, v115, vcc
	global_load_dword v129, v[118:119], off
	v_lshlrev_b16_sdwa v118, v116, v122 dst_sel:DWORD dst_unused:UNUSED_PAD src0_sel:DWORD src1_sel:WORD_1
	v_and_b32_sdwa v124, v122, s21 dst_sel:DWORD dst_unused:UNUSED_PAD src0_sel:WORD_1 src1_sel:DWORD
	v_add_u16_e32 v118, 0xe000, v118
	v_or_b32_sdwa v118, v124, v118 dst_sel:DWORD dst_unused:UNUSED_PAD src0_sel:DWORD src1_sel:BYTE_1
	v_add_u16_sdwa v118, v118, s23 dst_sel:WORD_1 dst_unused:UNUSED_PAD src0_sel:DWORD src1_sel:DWORD
	v_or_b32_e32 v118, v123, v118
	ds_write2_b32 v3, v121, v118 offset1:16
	s_waitcnt vmcnt(5)
	v_ashrrev_i32_e32 v121, v23, v127
	s_waitcnt vmcnt(4)
	v_and_b32_e32 v118, 0xf0f0f0f, v126
	v_lshlrev_b32_e32 v122, 4, v121
	v_and_or_b32 v118, v122, s20, v118
	v_lshlrev_b16_e32 v123, 8, v118
	v_and_b32_e32 v122, 0x3f00, v118
	v_add_u16_e32 v123, 0xe000, v123
	v_or_b32_sdwa v122, v122, v123 dst_sel:DWORD dst_unused:UNUSED_PAD src0_sel:DWORD src1_sel:BYTE_1
	v_and_b32_sdwa v123, v118, s21 dst_sel:DWORD dst_unused:UNUSED_PAD src0_sel:WORD_1 src1_sel:DWORD
	v_lshlrev_b16_sdwa v118, v116, v118 dst_sel:DWORD dst_unused:UNUSED_PAD src0_sel:DWORD src1_sel:WORD_1
	v_lshrrev_b32_e32 v119, 4, v126
	v_add_u16_e32 v118, 0xe000, v118
	v_and_b32_e32 v119, 0xf0f0f0f, v119
	v_or_b32_sdwa v118, v123, v118 dst_sel:DWORD dst_unused:UNUSED_PAD src0_sel:DWORD src1_sel:BYTE_1
	v_add_u16_e32 v122, 0xe000, v122
	v_add_u16_sdwa v118, v118, s23 dst_sel:WORD_1 dst_unused:UNUSED_PAD src0_sel:DWORD src1_sel:DWORD
	v_and_or_b32 v119, v121, s20, v119
	v_or_b32_e32 v118, v122, v118
	v_lshlrev_b16_e32 v122, 8, v119
	v_and_b32_e32 v121, 0x3f00, v119
	v_add_u16_e32 v122, 0xe000, v122
	v_or_b32_sdwa v121, v121, v122 dst_sel:DWORD dst_unused:UNUSED_PAD src0_sel:DWORD src1_sel:BYTE_1
	v_and_b32_sdwa v122, v119, s21 dst_sel:DWORD dst_unused:UNUSED_PAD src0_sel:WORD_1 src1_sel:DWORD
	v_lshlrev_b16_sdwa v119, v116, v119 dst_sel:DWORD dst_unused:UNUSED_PAD src0_sel:DWORD src1_sel:WORD_1
	v_add_u16_e32 v119, 0xe000, v119
	v_or_b32_sdwa v119, v122, v119 dst_sel:DWORD dst_unused:UNUSED_PAD src0_sel:DWORD src1_sel:BYTE_1
	v_add_u16_e32 v121, 0xe000, v121
	v_add_u16_sdwa v119, v119, s23 dst_sel:WORD_1 dst_unused:UNUSED_PAD src0_sel:DWORD src1_sel:DWORD
	v_or_b32_e32 v119, v121, v119
	ds_write2_b32 v4, v118, v119 offset1:16
	s_waitcnt vmcnt(3)
	v_lshrrev_b32_e32 v118, 4, v128
	v_and_b32_e32 v122, 0xf0f0f0f, v118
	v_add_co_u32_e32 v118, vcc, s8, v63
	v_addc_co_u32_e32 v119, vcc, v64, v115, vcc
	global_load_dword v123, v[118:119], off
	v_add_co_u32_e32 v118, vcc, s8, v61
	v_addc_co_u32_e32 v119, vcc, v62, v115, vcc
	global_load_dword v124, v[118:119], off
	s_waitcnt vmcnt(4)
	v_ashrrev_i32_e32 v120, v23, v120
	v_and_b32_e32 v121, 0xf0f0f0f, v128
	v_lshlrev_b32_e32 v118, 4, v120
	v_and_or_b32 v118, v118, s20, v121
	v_lshlrev_b16_e32 v121, 8, v118
	v_and_b32_e32 v119, 0x3f00, v118
	v_add_u16_e32 v121, 0xe000, v121
	v_or_b32_sdwa v119, v119, v121 dst_sel:DWORD dst_unused:UNUSED_PAD src0_sel:DWORD src1_sel:BYTE_1
	v_and_b32_sdwa v121, v118, s21 dst_sel:DWORD dst_unused:UNUSED_PAD src0_sel:WORD_1 src1_sel:DWORD
	v_lshlrev_b16_sdwa v118, v116, v118 dst_sel:DWORD dst_unused:UNUSED_PAD src0_sel:DWORD src1_sel:WORD_1
	v_add_u16_e32 v118, 0xe000, v118
	v_or_b32_sdwa v118, v121, v118 dst_sel:DWORD dst_unused:UNUSED_PAD src0_sel:DWORD src1_sel:BYTE_1
	v_add_u16_e32 v119, 0xe000, v119
	v_add_u16_sdwa v118, v118, s23 dst_sel:WORD_1 dst_unused:UNUSED_PAD src0_sel:DWORD src1_sel:DWORD
	v_or_b32_e32 v118, v119, v118
	v_and_or_b32 v119, v120, s20, v122
	v_lshlrev_b16_e32 v121, 8, v119
	v_and_b32_e32 v120, 0x3f00, v119
	v_add_u16_e32 v121, 0xe000, v121
	v_or_b32_sdwa v120, v120, v121 dst_sel:DWORD dst_unused:UNUSED_PAD src0_sel:DWORD src1_sel:BYTE_1
	v_and_b32_sdwa v121, v119, s21 dst_sel:DWORD dst_unused:UNUSED_PAD src0_sel:WORD_1 src1_sel:DWORD
	v_lshlrev_b16_sdwa v119, v116, v119 dst_sel:DWORD dst_unused:UNUSED_PAD src0_sel:DWORD src1_sel:WORD_1
	v_add_u16_e32 v119, 0xe000, v119
	v_or_b32_sdwa v119, v121, v119 dst_sel:DWORD dst_unused:UNUSED_PAD src0_sel:DWORD src1_sel:BYTE_1
	v_add_u16_e32 v120, 0xe000, v120
	v_add_u16_sdwa v119, v119, s23 dst_sel:WORD_1 dst_unused:UNUSED_PAD src0_sel:DWORD src1_sel:DWORD
	v_or_b32_e32 v119, v120, v119
	ds_write2_b32 v5, v118, v119 offset1:16
	s_waitcnt vmcnt(3)
	v_lshrrev_b32_e32 v118, 4, v125
	v_and_b32_e32 v121, 0xf0f0f0f, v118
	v_add_co_u32_e32 v118, vcc, s8, v67
	v_addc_co_u32_e32 v119, vcc, v68, v115, vcc
	v_and_b32_e32 v120, 0xf0f0f0f, v125
	global_load_dword v125, v[118:119], off
	v_add_co_u32_e32 v118, vcc, s8, v65
	v_addc_co_u32_e32 v119, vcc, v66, v115, vcc
	global_load_dword v126, v[118:119], off
	s_waitcnt vmcnt(4)
	v_ashrrev_i32_e32 v122, v23, v129
	v_lshlrev_b32_e32 v118, 4, v122
	v_and_or_b32 v118, v118, s20, v120
	v_lshlrev_b16_e32 v120, 8, v118
	v_and_b32_e32 v119, 0x3f00, v118
	v_add_u16_e32 v120, 0xe000, v120
	v_or_b32_sdwa v119, v119, v120 dst_sel:DWORD dst_unused:UNUSED_PAD src0_sel:DWORD src1_sel:BYTE_1
	v_and_b32_sdwa v120, v118, s21 dst_sel:DWORD dst_unused:UNUSED_PAD src0_sel:WORD_1 src1_sel:DWORD
	v_lshlrev_b16_sdwa v118, v116, v118 dst_sel:DWORD dst_unused:UNUSED_PAD src0_sel:DWORD src1_sel:WORD_1
	v_add_u16_e32 v118, 0xe000, v118
	v_or_b32_sdwa v118, v120, v118 dst_sel:DWORD dst_unused:UNUSED_PAD src0_sel:DWORD src1_sel:BYTE_1
	v_add_u16_e32 v119, 0xe000, v119
	v_add_u16_sdwa v118, v118, s23 dst_sel:WORD_1 dst_unused:UNUSED_PAD src0_sel:DWORD src1_sel:DWORD
	v_and_or_b32 v121, v122, s20, v121
	v_or_b32_e32 v120, v119, v118
	v_lshlrev_b16_e32 v119, 8, v121
	v_and_b32_e32 v118, 0x3f00, v121
	v_add_u16_e32 v119, 0xe000, v119
	v_or_b32_sdwa v118, v118, v119 dst_sel:DWORD dst_unused:UNUSED_PAD src0_sel:DWORD src1_sel:BYTE_1
	v_add_u16_e32 v122, 0xe000, v118
	v_add_co_u32_e32 v118, vcc, s8, v71
	v_addc_co_u32_e32 v119, vcc, v72, v115, vcc
	global_load_dword v128, v[118:119], off
	v_add_co_u32_e32 v118, vcc, s8, v69
	v_addc_co_u32_e32 v119, vcc, v70, v115, vcc
	global_load_dword v129, v[118:119], off
	v_lshlrev_b16_sdwa v118, v116, v121 dst_sel:DWORD dst_unused:UNUSED_PAD src0_sel:DWORD src1_sel:WORD_1
	v_and_b32_sdwa v127, v121, s21 dst_sel:DWORD dst_unused:UNUSED_PAD src0_sel:WORD_1 src1_sel:DWORD
	v_add_u16_e32 v118, 0xe000, v118
	v_or_b32_sdwa v118, v127, v118 dst_sel:DWORD dst_unused:UNUSED_PAD src0_sel:DWORD src1_sel:BYTE_1
	v_add_u16_sdwa v118, v118, s23 dst_sel:WORD_1 dst_unused:UNUSED_PAD src0_sel:DWORD src1_sel:DWORD
	v_or_b32_e32 v118, v122, v118
	ds_write2_b32 v6, v120, v118 offset1:16
	s_waitcnt vmcnt(5)
	v_and_b32_e32 v118, 0xf0f0f0f, v123
	s_waitcnt vmcnt(4)
	v_ashrrev_i32_e32 v120, v23, v124
	v_lshlrev_b32_e32 v121, 4, v120
	v_and_or_b32 v118, v121, s20, v118
	v_lshlrev_b16_e32 v122, 8, v118
	v_and_b32_e32 v121, 0x3f00, v118
	v_add_u16_e32 v122, 0xe000, v122
	v_lshrrev_b32_e32 v119, 4, v123
	v_or_b32_sdwa v121, v121, v122 dst_sel:DWORD dst_unused:UNUSED_PAD src0_sel:DWORD src1_sel:BYTE_1
	v_and_b32_sdwa v122, v118, s21 dst_sel:DWORD dst_unused:UNUSED_PAD src0_sel:WORD_1 src1_sel:DWORD
	v_lshlrev_b16_sdwa v118, v116, v118 dst_sel:DWORD dst_unused:UNUSED_PAD src0_sel:DWORD src1_sel:WORD_1
	v_and_b32_e32 v119, 0xf0f0f0f, v119
	v_add_u16_e32 v118, 0xe000, v118
	v_or_b32_sdwa v118, v122, v118 dst_sel:DWORD dst_unused:UNUSED_PAD src0_sel:DWORD src1_sel:BYTE_1
	v_and_or_b32 v120, v120, s20, v119
	v_add_u16_e32 v121, 0xe000, v121
	v_add_u16_sdwa v118, v118, s23 dst_sel:WORD_1 dst_unused:UNUSED_PAD src0_sel:DWORD src1_sel:DWORD
	v_lshlrev_b16_e32 v119, 8, v120
	v_or_b32_e32 v121, v121, v118
	v_and_b32_e32 v118, 0x3f00, v120
	v_add_u16_e32 v119, 0xe000, v119
	v_or_b32_sdwa v118, v118, v119 dst_sel:DWORD dst_unused:UNUSED_PAD src0_sel:DWORD src1_sel:BYTE_1
	v_add_u16_e32 v122, 0xe000, v118
	v_add_co_u32_e32 v118, vcc, s8, v75
	v_addc_co_u32_e32 v119, vcc, v76, v115, vcc
	global_load_dword v124, v[118:119], off
	v_add_co_u32_e32 v118, vcc, s8, v73
	v_addc_co_u32_e32 v119, vcc, v74, v115, vcc
	global_load_dword v127, v[118:119], off
	v_lshlrev_b16_sdwa v118, v116, v120 dst_sel:DWORD dst_unused:UNUSED_PAD src0_sel:DWORD src1_sel:WORD_1
	v_and_b32_sdwa v123, v120, s21 dst_sel:DWORD dst_unused:UNUSED_PAD src0_sel:WORD_1 src1_sel:DWORD
	v_add_u16_e32 v118, 0xe000, v118
	v_or_b32_sdwa v118, v123, v118 dst_sel:DWORD dst_unused:UNUSED_PAD src0_sel:DWORD src1_sel:BYTE_1
	v_add_u16_sdwa v118, v118, s23 dst_sel:WORD_1 dst_unused:UNUSED_PAD src0_sel:DWORD src1_sel:DWORD
	v_or_b32_e32 v118, v122, v118
	ds_write2_b32 v7, v121, v118 offset1:16
	s_waitcnt vmcnt(5)
	v_and_b32_e32 v118, 0xf0f0f0f, v125
	v_lshrrev_b32_e32 v119, 4, v125
	s_waitcnt vmcnt(4)
	v_ashrrev_i32_e32 v120, v23, v126
	v_lshlrev_b32_e32 v121, 4, v120
	v_and_or_b32 v118, v121, s20, v118
	v_lshlrev_b16_e32 v122, 8, v118
	v_and_b32_e32 v121, 0x3f00, v118
	v_add_u16_e32 v122, 0xe000, v122
	v_or_b32_sdwa v121, v121, v122 dst_sel:DWORD dst_unused:UNUSED_PAD src0_sel:DWORD src1_sel:BYTE_1
	v_and_b32_sdwa v122, v118, s21 dst_sel:DWORD dst_unused:UNUSED_PAD src0_sel:WORD_1 src1_sel:DWORD
	v_lshlrev_b16_sdwa v118, v116, v118 dst_sel:DWORD dst_unused:UNUSED_PAD src0_sel:DWORD src1_sel:WORD_1
	v_add_u16_e32 v118, 0xe000, v118
	v_and_b32_e32 v119, 0xf0f0f0f, v119
	v_or_b32_sdwa v118, v122, v118 dst_sel:DWORD dst_unused:UNUSED_PAD src0_sel:DWORD src1_sel:BYTE_1
	v_add_u16_e32 v121, 0xe000, v121
	v_add_u16_sdwa v118, v118, s23 dst_sel:WORD_1 dst_unused:UNUSED_PAD src0_sel:DWORD src1_sel:DWORD
	v_and_or_b32 v119, v120, s20, v119
	v_or_b32_e32 v118, v121, v118
	v_lshlrev_b16_e32 v121, 8, v119
	v_and_b32_e32 v120, 0x3f00, v119
	v_add_u16_e32 v121, 0xe000, v121
	v_or_b32_sdwa v120, v120, v121 dst_sel:DWORD dst_unused:UNUSED_PAD src0_sel:DWORD src1_sel:BYTE_1
	v_and_b32_sdwa v121, v119, s21 dst_sel:DWORD dst_unused:UNUSED_PAD src0_sel:WORD_1 src1_sel:DWORD
	v_lshlrev_b16_sdwa v119, v116, v119 dst_sel:DWORD dst_unused:UNUSED_PAD src0_sel:DWORD src1_sel:WORD_1
	v_add_u16_e32 v119, 0xe000, v119
	v_or_b32_sdwa v119, v121, v119 dst_sel:DWORD dst_unused:UNUSED_PAD src0_sel:DWORD src1_sel:BYTE_1
	v_add_u16_e32 v120, 0xe000, v120
	v_add_u16_sdwa v119, v119, s23 dst_sel:WORD_1 dst_unused:UNUSED_PAD src0_sel:DWORD src1_sel:DWORD
	v_or_b32_e32 v119, v120, v119
	ds_write2_b32 v8, v118, v119 offset1:16
	s_waitcnt vmcnt(3)
	v_lshrrev_b32_e32 v118, 4, v128
	v_and_b32_e32 v121, 0xf0f0f0f, v118
	v_add_co_u32_e32 v118, vcc, s8, v79
	v_addc_co_u32_e32 v119, vcc, v80, v115, vcc
	global_load_dword v123, v[118:119], off
	v_add_co_u32_e32 v118, vcc, s8, v77
	s_waitcnt vmcnt(3)
	v_ashrrev_i32_e32 v122, v23, v129
	v_addc_co_u32_e32 v119, vcc, v78, v115, vcc
	v_and_b32_e32 v120, 0xf0f0f0f, v128
	global_load_dword v125, v[118:119], off
	v_lshlrev_b32_e32 v118, 4, v122
	v_and_or_b32 v118, v118, s20, v120
	v_lshlrev_b16_e32 v120, 8, v118
	v_and_b32_e32 v119, 0x3f00, v118
	v_add_u16_e32 v120, 0xe000, v120
	v_or_b32_sdwa v119, v119, v120 dst_sel:DWORD dst_unused:UNUSED_PAD src0_sel:DWORD src1_sel:BYTE_1
	v_and_b32_sdwa v120, v118, s21 dst_sel:DWORD dst_unused:UNUSED_PAD src0_sel:WORD_1 src1_sel:DWORD
	v_lshlrev_b16_sdwa v118, v116, v118 dst_sel:DWORD dst_unused:UNUSED_PAD src0_sel:DWORD src1_sel:WORD_1
	v_add_u16_e32 v118, 0xe000, v118
	v_or_b32_sdwa v118, v120, v118 dst_sel:DWORD dst_unused:UNUSED_PAD src0_sel:DWORD src1_sel:BYTE_1
	v_add_u16_e32 v119, 0xe000, v119
	v_add_u16_sdwa v118, v118, s23 dst_sel:WORD_1 dst_unused:UNUSED_PAD src0_sel:DWORD src1_sel:DWORD
	v_or_b32_e32 v118, v119, v118
	v_and_or_b32 v119, v122, s20, v121
	v_lshlrev_b16_e32 v121, 8, v119
	v_and_b32_e32 v120, 0x3f00, v119
	v_add_u16_e32 v121, 0xe000, v121
	v_or_b32_sdwa v120, v120, v121 dst_sel:DWORD dst_unused:UNUSED_PAD src0_sel:DWORD src1_sel:BYTE_1
	v_and_b32_sdwa v121, v119, s21 dst_sel:DWORD dst_unused:UNUSED_PAD src0_sel:WORD_1 src1_sel:DWORD
	v_lshlrev_b16_sdwa v119, v116, v119 dst_sel:DWORD dst_unused:UNUSED_PAD src0_sel:DWORD src1_sel:WORD_1
	v_add_u16_e32 v119, 0xe000, v119
	v_or_b32_sdwa v119, v121, v119 dst_sel:DWORD dst_unused:UNUSED_PAD src0_sel:DWORD src1_sel:BYTE_1
	v_add_u16_e32 v120, 0xe000, v120
	v_add_u16_sdwa v119, v119, s23 dst_sel:WORD_1 dst_unused:UNUSED_PAD src0_sel:DWORD src1_sel:DWORD
	v_or_b32_e32 v119, v120, v119
	ds_write2_b32 v9, v118, v119 offset1:16
	s_waitcnt vmcnt(3)
	v_lshrrev_b32_e32 v118, 4, v124
	v_and_b32_e32 v121, 0xf0f0f0f, v118
	v_add_co_u32_e32 v118, vcc, s8, v83
	v_addc_co_u32_e32 v119, vcc, v84, v115, vcc
	v_and_b32_e32 v120, 0xf0f0f0f, v124
	global_load_dword v124, v[118:119], off
	v_add_co_u32_e32 v118, vcc, s8, v81
	v_addc_co_u32_e32 v119, vcc, v82, v115, vcc
	global_load_dword v126, v[118:119], off
	s_waitcnt vmcnt(4)
	v_ashrrev_i32_e32 v122, v23, v127
	v_lshlrev_b32_e32 v118, 4, v122
	v_and_or_b32 v118, v118, s20, v120
	v_lshlrev_b16_e32 v120, 8, v118
	v_and_b32_e32 v119, 0x3f00, v118
	v_add_u16_e32 v120, 0xe000, v120
	v_or_b32_sdwa v119, v119, v120 dst_sel:DWORD dst_unused:UNUSED_PAD src0_sel:DWORD src1_sel:BYTE_1
	v_and_b32_sdwa v120, v118, s21 dst_sel:DWORD dst_unused:UNUSED_PAD src0_sel:WORD_1 src1_sel:DWORD
	v_lshlrev_b16_sdwa v118, v116, v118 dst_sel:DWORD dst_unused:UNUSED_PAD src0_sel:DWORD src1_sel:WORD_1
	v_add_u16_e32 v118, 0xe000, v118
	v_or_b32_sdwa v118, v120, v118 dst_sel:DWORD dst_unused:UNUSED_PAD src0_sel:DWORD src1_sel:BYTE_1
	v_add_u16_e32 v119, 0xe000, v119
	v_add_u16_sdwa v118, v118, s23 dst_sel:WORD_1 dst_unused:UNUSED_PAD src0_sel:DWORD src1_sel:DWORD
	v_and_or_b32 v121, v122, s20, v121
	v_or_b32_e32 v120, v119, v118
	v_lshlrev_b16_e32 v119, 8, v121
	v_and_b32_e32 v118, 0x3f00, v121
	v_add_u16_e32 v119, 0xe000, v119
	v_or_b32_sdwa v118, v118, v119 dst_sel:DWORD dst_unused:UNUSED_PAD src0_sel:DWORD src1_sel:BYTE_1
	v_add_u16_e32 v122, 0xe000, v118
	v_add_co_u32_e32 v118, vcc, s8, v87
	v_addc_co_u32_e32 v119, vcc, v88, v115, vcc
	global_load_dword v128, v[118:119], off
	v_add_co_u32_e32 v118, vcc, s8, v85
	v_addc_co_u32_e32 v119, vcc, v86, v115, vcc
	global_load_dword v129, v[118:119], off
	v_lshlrev_b16_sdwa v118, v116, v121 dst_sel:DWORD dst_unused:UNUSED_PAD src0_sel:DWORD src1_sel:WORD_1
	v_and_b32_sdwa v127, v121, s21 dst_sel:DWORD dst_unused:UNUSED_PAD src0_sel:WORD_1 src1_sel:DWORD
	v_add_u16_e32 v118, 0xe000, v118
	v_or_b32_sdwa v118, v127, v118 dst_sel:DWORD dst_unused:UNUSED_PAD src0_sel:DWORD src1_sel:BYTE_1
	v_add_u16_sdwa v118, v118, s23 dst_sel:WORD_1 dst_unused:UNUSED_PAD src0_sel:DWORD src1_sel:DWORD
	v_or_b32_e32 v118, v122, v118
	ds_write2_b32 v10, v120, v118 offset1:16
	s_waitcnt vmcnt(5)
	v_and_b32_e32 v118, 0xf0f0f0f, v123
	v_lshrrev_b32_e32 v119, 4, v123
	v_and_b32_e32 v119, 0xf0f0f0f, v119
	s_waitcnt vmcnt(4)
	v_ashrrev_i32_e32 v120, v23, v125
	v_lshlrev_b32_e32 v121, 4, v120
	v_and_or_b32 v118, v121, s20, v118
	v_lshlrev_b16_e32 v122, 8, v118
	v_and_b32_e32 v121, 0x3f00, v118
	v_add_u16_e32 v122, 0xe000, v122
	v_or_b32_sdwa v121, v121, v122 dst_sel:DWORD dst_unused:UNUSED_PAD src0_sel:DWORD src1_sel:BYTE_1
	v_and_b32_sdwa v122, v118, s21 dst_sel:DWORD dst_unused:UNUSED_PAD src0_sel:WORD_1 src1_sel:DWORD
	v_lshlrev_b16_sdwa v118, v116, v118 dst_sel:DWORD dst_unused:UNUSED_PAD src0_sel:DWORD src1_sel:WORD_1
	v_add_u16_e32 v118, 0xe000, v118
	v_or_b32_sdwa v118, v122, v118 dst_sel:DWORD dst_unused:UNUSED_PAD src0_sel:DWORD src1_sel:BYTE_1
	v_and_or_b32 v120, v120, s20, v119
	v_add_u16_e32 v121, 0xe000, v121
	v_add_u16_sdwa v118, v118, s23 dst_sel:WORD_1 dst_unused:UNUSED_PAD src0_sel:DWORD src1_sel:DWORD
	v_lshlrev_b16_e32 v119, 8, v120
	v_or_b32_e32 v121, v121, v118
	v_and_b32_e32 v118, 0x3f00, v120
	v_add_u16_e32 v119, 0xe000, v119
	v_or_b32_sdwa v118, v118, v119 dst_sel:DWORD dst_unused:UNUSED_PAD src0_sel:DWORD src1_sel:BYTE_1
	v_add_u16_e32 v122, 0xe000, v118
	v_add_co_u32_e32 v118, vcc, s8, v91
	v_addc_co_u32_e32 v119, vcc, v92, v115, vcc
	global_load_dword v125, v[118:119], off
	v_add_co_u32_e32 v118, vcc, s8, v89
	v_addc_co_u32_e32 v119, vcc, v90, v115, vcc
	global_load_dword v127, v[118:119], off
	v_lshlrev_b16_sdwa v118, v116, v120 dst_sel:DWORD dst_unused:UNUSED_PAD src0_sel:DWORD src1_sel:WORD_1
	v_and_b32_sdwa v123, v120, s21 dst_sel:DWORD dst_unused:UNUSED_PAD src0_sel:WORD_1 src1_sel:DWORD
	v_add_u16_e32 v118, 0xe000, v118
	v_or_b32_sdwa v118, v123, v118 dst_sel:DWORD dst_unused:UNUSED_PAD src0_sel:DWORD src1_sel:BYTE_1
	v_add_u16_sdwa v118, v118, s23 dst_sel:WORD_1 dst_unused:UNUSED_PAD src0_sel:DWORD src1_sel:DWORD
	v_or_b32_e32 v118, v122, v118
	ds_write2_b32 v11, v121, v118 offset1:16
	s_waitcnt vmcnt(5)
	v_and_b32_e32 v118, 0xf0f0f0f, v124
	v_lshrrev_b32_e32 v119, 4, v124
	s_waitcnt vmcnt(4)
	v_ashrrev_i32_e32 v120, v23, v126
	v_lshlrev_b32_e32 v121, 4, v120
	v_and_or_b32 v118, v121, s20, v118
	v_lshlrev_b16_e32 v122, 8, v118
	v_and_b32_e32 v121, 0x3f00, v118
	v_add_u16_e32 v122, 0xe000, v122
	v_or_b32_sdwa v121, v121, v122 dst_sel:DWORD dst_unused:UNUSED_PAD src0_sel:DWORD src1_sel:BYTE_1
	v_and_b32_sdwa v122, v118, s21 dst_sel:DWORD dst_unused:UNUSED_PAD src0_sel:WORD_1 src1_sel:DWORD
	v_lshlrev_b16_sdwa v118, v116, v118 dst_sel:DWORD dst_unused:UNUSED_PAD src0_sel:DWORD src1_sel:WORD_1
	v_add_u16_e32 v118, 0xe000, v118
	v_and_b32_e32 v119, 0xf0f0f0f, v119
	v_or_b32_sdwa v118, v122, v118 dst_sel:DWORD dst_unused:UNUSED_PAD src0_sel:DWORD src1_sel:BYTE_1
	v_add_u16_e32 v121, 0xe000, v121
	v_add_u16_sdwa v118, v118, s23 dst_sel:WORD_1 dst_unused:UNUSED_PAD src0_sel:DWORD src1_sel:DWORD
	v_and_or_b32 v119, v120, s20, v119
	v_or_b32_e32 v118, v121, v118
	v_lshlrev_b16_e32 v121, 8, v119
	v_and_b32_e32 v120, 0x3f00, v119
	v_add_u16_e32 v121, 0xe000, v121
	v_or_b32_sdwa v120, v120, v121 dst_sel:DWORD dst_unused:UNUSED_PAD src0_sel:DWORD src1_sel:BYTE_1
	v_and_b32_sdwa v121, v119, s21 dst_sel:DWORD dst_unused:UNUSED_PAD src0_sel:WORD_1 src1_sel:DWORD
	v_lshlrev_b16_sdwa v119, v116, v119 dst_sel:DWORD dst_unused:UNUSED_PAD src0_sel:DWORD src1_sel:WORD_1
	v_add_u16_e32 v119, 0xe000, v119
	v_or_b32_sdwa v119, v121, v119 dst_sel:DWORD dst_unused:UNUSED_PAD src0_sel:DWORD src1_sel:BYTE_1
	v_add_u16_e32 v120, 0xe000, v120
	v_add_u16_sdwa v119, v119, s23 dst_sel:WORD_1 dst_unused:UNUSED_PAD src0_sel:DWORD src1_sel:DWORD
	v_or_b32_e32 v119, v120, v119
	ds_write2_b32 v12, v118, v119 offset1:16
	s_waitcnt vmcnt(3)
	v_lshrrev_b32_e32 v118, 4, v128
	v_and_b32_e32 v121, 0xf0f0f0f, v118
	v_add_co_u32_e32 v118, vcc, s8, v95
	v_addc_co_u32_e32 v119, vcc, v96, v115, vcc
	global_load_dword v123, v[118:119], off
	v_add_co_u32_e32 v118, vcc, s8, v93
	v_addc_co_u32_e32 v119, vcc, v94, v115, vcc
	global_load_dword v124, v[118:119], off
	s_waitcnt vmcnt(4)
	v_ashrrev_i32_e32 v122, v23, v129
	v_and_b32_e32 v120, 0xf0f0f0f, v128
	v_lshlrev_b32_e32 v118, 4, v122
	v_and_or_b32 v118, v118, s20, v120
	v_lshlrev_b16_e32 v120, 8, v118
	v_and_b32_e32 v119, 0x3f00, v118
	v_add_u16_e32 v120, 0xe000, v120
	v_or_b32_sdwa v119, v119, v120 dst_sel:DWORD dst_unused:UNUSED_PAD src0_sel:DWORD src1_sel:BYTE_1
	v_and_b32_sdwa v120, v118, s21 dst_sel:DWORD dst_unused:UNUSED_PAD src0_sel:WORD_1 src1_sel:DWORD
	v_lshlrev_b16_sdwa v118, v116, v118 dst_sel:DWORD dst_unused:UNUSED_PAD src0_sel:DWORD src1_sel:WORD_1
	v_add_u16_e32 v118, 0xe000, v118
	v_or_b32_sdwa v118, v120, v118 dst_sel:DWORD dst_unused:UNUSED_PAD src0_sel:DWORD src1_sel:BYTE_1
	v_add_u16_e32 v119, 0xe000, v119
	v_add_u16_sdwa v118, v118, s23 dst_sel:WORD_1 dst_unused:UNUSED_PAD src0_sel:DWORD src1_sel:DWORD
	v_or_b32_e32 v118, v119, v118
	v_and_or_b32 v119, v122, s20, v121
	v_lshlrev_b16_e32 v121, 8, v119
	v_and_b32_e32 v120, 0x3f00, v119
	v_add_u16_e32 v121, 0xe000, v121
	v_or_b32_sdwa v120, v120, v121 dst_sel:DWORD dst_unused:UNUSED_PAD src0_sel:DWORD src1_sel:BYTE_1
	v_and_b32_sdwa v121, v119, s21 dst_sel:DWORD dst_unused:UNUSED_PAD src0_sel:WORD_1 src1_sel:DWORD
	v_lshlrev_b16_sdwa v119, v116, v119 dst_sel:DWORD dst_unused:UNUSED_PAD src0_sel:DWORD src1_sel:WORD_1
	v_add_u16_e32 v119, 0xe000, v119
	v_or_b32_sdwa v119, v121, v119 dst_sel:DWORD dst_unused:UNUSED_PAD src0_sel:DWORD src1_sel:BYTE_1
	v_add_u16_e32 v120, 0xe000, v120
	v_add_u16_sdwa v119, v119, s23 dst_sel:WORD_1 dst_unused:UNUSED_PAD src0_sel:DWORD src1_sel:DWORD
	v_or_b32_e32 v119, v120, v119
	ds_write2_b32 v13, v118, v119 offset1:16
	s_waitcnt vmcnt(3)
	v_lshrrev_b32_e32 v119, 4, v125
	v_and_b32_e32 v118, 0xf0f0f0f, v125
	s_waitcnt vmcnt(2)
	v_ashrrev_i32_e32 v121, v23, v127
	v_and_b32_e32 v120, 0xf0f0f0f, v119
	v_lshlrev_b32_e32 v119, 4, v121
	v_and_or_b32 v122, v119, s20, v118
	v_lshlrev_b16_e32 v118, 8, v122
	v_add_u16_e32 v126, 0xe000, v118
	v_add_co_u32_e32 v118, vcc, s8, v99
	v_addc_co_u32_e32 v119, vcc, v100, v115, vcc
	global_load_dword v127, v[118:119], off
	v_add_co_u32_e32 v118, vcc, s8, v97
	v_addc_co_u32_e32 v119, vcc, v98, v115, vcc
	global_load_dword v128, v[118:119], off
	v_and_b32_e32 v125, 0x3f00, v122
	v_and_b32_sdwa v119, v122, s21 dst_sel:DWORD dst_unused:UNUSED_PAD src0_sel:WORD_1 src1_sel:DWORD
	v_lshlrev_b16_sdwa v122, v116, v122 dst_sel:DWORD dst_unused:UNUSED_PAD src0_sel:DWORD src1_sel:WORD_1
	v_add_u16_e32 v122, 0xe000, v122
	v_or_b32_sdwa v118, v125, v126 dst_sel:DWORD dst_unused:UNUSED_PAD src0_sel:DWORD src1_sel:BYTE_1
	v_or_b32_sdwa v119, v119, v122 dst_sel:DWORD dst_unused:UNUSED_PAD src0_sel:DWORD src1_sel:BYTE_1
	v_add_u16_e32 v118, 0xe000, v118
	v_add_u16_sdwa v119, v119, s23 dst_sel:WORD_1 dst_unused:UNUSED_PAD src0_sel:DWORD src1_sel:DWORD
	v_or_b32_e32 v122, v118, v119
	v_and_or_b32 v118, v121, s20, v120
	v_lshlrev_b16_e32 v120, 8, v118
	v_and_b32_e32 v119, 0x3f00, v118
	v_add_u16_e32 v120, 0xe000, v120
	v_or_b32_sdwa v119, v119, v120 dst_sel:DWORD dst_unused:UNUSED_PAD src0_sel:DWORD src1_sel:BYTE_1
	v_and_b32_sdwa v120, v118, s21 dst_sel:DWORD dst_unused:UNUSED_PAD src0_sel:WORD_1 src1_sel:DWORD
	v_lshlrev_b16_sdwa v118, v116, v118 dst_sel:DWORD dst_unused:UNUSED_PAD src0_sel:DWORD src1_sel:WORD_1
	v_add_u16_e32 v118, 0xe000, v118
	v_or_b32_sdwa v118, v120, v118 dst_sel:DWORD dst_unused:UNUSED_PAD src0_sel:DWORD src1_sel:BYTE_1
	v_add_u16_e32 v119, 0xe000, v119
	v_add_u16_sdwa v118, v118, s23 dst_sel:WORD_1 dst_unused:UNUSED_PAD src0_sel:DWORD src1_sel:DWORD
	v_or_b32_e32 v120, v119, v118
	v_add_co_u32_e32 v118, vcc, s8, v103
	v_addc_co_u32_e32 v119, vcc, v104, v115, vcc
	global_load_dword v121, v[118:119], off
	v_add_co_u32_e32 v118, vcc, s8, v101
	v_addc_co_u32_e32 v119, vcc, v102, v115, vcc
	global_load_dword v125, v[118:119], off
	ds_write2_b32 v14, v122, v120 offset1:16
	s_waitcnt vmcnt(5)
	v_lshrrev_b32_e32 v119, 4, v123
	s_waitcnt vmcnt(4)
	v_ashrrev_i32_e32 v122, v23, v124
	v_and_b32_e32 v118, 0xf0f0f0f, v123
	v_and_b32_e32 v120, 0xf0f0f0f, v119
	v_lshlrev_b32_e32 v119, 4, v122
	v_and_or_b32 v118, v119, s20, v118
	v_lshlrev_b16_e32 v123, 8, v118
	v_and_b32_e32 v119, 0x3f00, v118
	v_add_u16_e32 v123, 0xe000, v123
	v_or_b32_sdwa v119, v119, v123 dst_sel:DWORD dst_unused:UNUSED_PAD src0_sel:DWORD src1_sel:BYTE_1
	v_add_u16_e32 v123, 0xe000, v119
	v_and_b32_sdwa v119, v118, s21 dst_sel:DWORD dst_unused:UNUSED_PAD src0_sel:WORD_1 src1_sel:DWORD
	v_lshlrev_b16_sdwa v118, v116, v118 dst_sel:DWORD dst_unused:UNUSED_PAD src0_sel:DWORD src1_sel:WORD_1
	v_add_u16_e32 v118, 0xe000, v118
	v_or_b32_sdwa v118, v119, v118 dst_sel:DWORD dst_unused:UNUSED_PAD src0_sel:DWORD src1_sel:BYTE_1
	v_add_u16_sdwa v124, v118, s23 dst_sel:WORD_1 dst_unused:UNUSED_PAD src0_sel:DWORD src1_sel:DWORD
	v_add_co_u32_e32 v118, vcc, s8, v106
	v_addc_co_u32_e32 v119, vcc, v107, v115, vcc
	global_load_ushort v126, v[118:119], off
	v_add_co_u32_e32 v118, vcc, s8, v109
	v_addc_co_u32_e32 v119, vcc, v110, v115, vcc
	global_load_dword v129, v[118:119], off
	v_add_co_u32_e32 v118, vcc, s8, v111
	v_addc_co_u32_e32 v119, vcc, v112, v115, vcc
	global_load_dword v118, v[118:119], off
	v_and_or_b32 v120, v122, s20, v120
	v_or_b32_e32 v119, v123, v124
	v_lshlrev_b16_e32 v123, 8, v120
	v_and_b32_e32 v122, 0x3f00, v120
	v_add_u16_e32 v123, 0xe000, v123
	v_or_b32_sdwa v122, v122, v123 dst_sel:DWORD dst_unused:UNUSED_PAD src0_sel:DWORD src1_sel:BYTE_1
	v_and_b32_sdwa v123, v120, s21 dst_sel:DWORD dst_unused:UNUSED_PAD src0_sel:WORD_1 src1_sel:DWORD
	v_lshlrev_b16_sdwa v120, v116, v120 dst_sel:DWORD dst_unused:UNUSED_PAD src0_sel:DWORD src1_sel:WORD_1
	v_add_u16_e32 v120, 0xe000, v120
	v_or_b32_sdwa v120, v123, v120 dst_sel:DWORD dst_unused:UNUSED_PAD src0_sel:DWORD src1_sel:BYTE_1
	v_add_u16_e32 v122, 0xe000, v122
	v_add_u16_sdwa v120, v120, s23 dst_sel:WORD_1 dst_unused:UNUSED_PAD src0_sel:DWORD src1_sel:DWORD
	v_or_b32_e32 v120, v122, v120
	ds_write2_b32 v15, v119, v120 offset1:16
	s_waitcnt vmcnt(6)
	v_and_b32_e32 v119, 0xf0f0f0f, v127
	v_lshrrev_b32_e32 v120, 4, v127
	s_waitcnt vmcnt(5)
	v_ashrrev_i32_e32 v122, v23, v128
	v_lshlrev_b32_e32 v123, 4, v122
	v_and_or_b32 v119, v123, s20, v119
	v_lshlrev_b16_e32 v124, 8, v119
	v_and_b32_e32 v123, 0x3f00, v119
	v_add_u16_e32 v124, 0xe000, v124
	v_or_b32_sdwa v123, v123, v124 dst_sel:DWORD dst_unused:UNUSED_PAD src0_sel:DWORD src1_sel:BYTE_1
	v_and_b32_sdwa v124, v119, s21 dst_sel:DWORD dst_unused:UNUSED_PAD src0_sel:WORD_1 src1_sel:DWORD
	v_lshlrev_b16_sdwa v119, v116, v119 dst_sel:DWORD dst_unused:UNUSED_PAD src0_sel:DWORD src1_sel:WORD_1
	v_add_u16_e32 v119, 0xe000, v119
	v_and_b32_e32 v120, 0xf0f0f0f, v120
	v_or_b32_sdwa v119, v124, v119 dst_sel:DWORD dst_unused:UNUSED_PAD src0_sel:DWORD src1_sel:BYTE_1
	v_add_u16_e32 v123, 0xe000, v123
	v_add_u16_sdwa v119, v119, s23 dst_sel:WORD_1 dst_unused:UNUSED_PAD src0_sel:DWORD src1_sel:DWORD
	v_and_or_b32 v120, v122, s20, v120
	v_or_b32_e32 v119, v123, v119
	v_lshlrev_b16_e32 v123, 8, v120
	v_and_b32_e32 v122, 0x3f00, v120
	v_add_u16_e32 v123, 0xe000, v123
	v_or_b32_sdwa v122, v122, v123 dst_sel:DWORD dst_unused:UNUSED_PAD src0_sel:DWORD src1_sel:BYTE_1
	v_and_b32_sdwa v123, v120, s21 dst_sel:DWORD dst_unused:UNUSED_PAD src0_sel:WORD_1 src1_sel:DWORD
	v_lshlrev_b16_sdwa v120, v116, v120 dst_sel:DWORD dst_unused:UNUSED_PAD src0_sel:DWORD src1_sel:WORD_1
	v_add_u16_e32 v120, 0xe000, v120
	v_or_b32_sdwa v120, v123, v120 dst_sel:DWORD dst_unused:UNUSED_PAD src0_sel:DWORD src1_sel:BYTE_1
	v_add_u16_e32 v122, 0xe000, v122
	v_add_u16_sdwa v120, v120, s23 dst_sel:WORD_1 dst_unused:UNUSED_PAD src0_sel:DWORD src1_sel:DWORD
	v_or_b32_e32 v120, v122, v120
	ds_write2_b32 v16, v119, v120 offset1:16
	s_waitcnt vmcnt(4)
	v_and_b32_e32 v119, 0xf0f0f0f, v121
	v_lshrrev_b32_e32 v120, 4, v121
	v_and_b32_e32 v120, 0xf0f0f0f, v120
	s_waitcnt vmcnt(3)
	v_ashrrev_i32_e32 v121, v23, v125
	v_lshlrev_b32_e32 v122, 4, v121
	v_and_or_b32 v119, v122, s20, v119
	v_lshlrev_b16_e32 v123, 8, v119
	v_and_b32_e32 v122, 0x3f00, v119
	v_add_u16_e32 v123, 0xe000, v123
	v_or_b32_sdwa v122, v122, v123 dst_sel:DWORD dst_unused:UNUSED_PAD src0_sel:DWORD src1_sel:BYTE_1
	v_and_b32_sdwa v123, v119, s21 dst_sel:DWORD dst_unused:UNUSED_PAD src0_sel:WORD_1 src1_sel:DWORD
	v_lshlrev_b16_sdwa v119, v116, v119 dst_sel:DWORD dst_unused:UNUSED_PAD src0_sel:DWORD src1_sel:WORD_1
	v_add_u16_e32 v119, 0xe000, v119
	v_or_b32_sdwa v119, v123, v119 dst_sel:DWORD dst_unused:UNUSED_PAD src0_sel:DWORD src1_sel:BYTE_1
	v_add_u16_e32 v122, 0xe000, v122
	v_add_u16_sdwa v119, v119, s23 dst_sel:WORD_1 dst_unused:UNUSED_PAD src0_sel:DWORD src1_sel:DWORD
	v_and_or_b32 v120, v121, s20, v120
	v_or_b32_e32 v119, v122, v119
	v_lshlrev_b16_e32 v122, 8, v120
	v_and_b32_e32 v121, 0x3f00, v120
	v_add_u16_e32 v122, 0xe000, v122
	v_or_b32_sdwa v121, v121, v122 dst_sel:DWORD dst_unused:UNUSED_PAD src0_sel:DWORD src1_sel:BYTE_1
	v_and_b32_sdwa v122, v120, s21 dst_sel:DWORD dst_unused:UNUSED_PAD src0_sel:WORD_1 src1_sel:DWORD
	v_lshlrev_b16_sdwa v120, v116, v120 dst_sel:DWORD dst_unused:UNUSED_PAD src0_sel:DWORD src1_sel:WORD_1
	v_add_u16_e32 v120, 0xe000, v120
	v_or_b32_sdwa v120, v122, v120 dst_sel:DWORD dst_unused:UNUSED_PAD src0_sel:DWORD src1_sel:BYTE_1
	s_waitcnt vmcnt(2)
	v_cvt_f32_f16_e32 v122, v126
	v_add_u16_e32 v121, 0xe000, v121
	v_add_u16_sdwa v120, v120, s23 dst_sel:WORD_1 dst_unused:UNUSED_PAD src0_sel:DWORD src1_sel:DWORD
	v_or_b32_e32 v120, v121, v120
	ds_write2_b32 v17, v119, v120 offset1:16
	ds_write_b32 v24, v122
	s_waitcnt vmcnt(1)
	ds_write_b32 v113, v129
	s_waitcnt vmcnt(0)
	ds_write_b32 v114, v118
	s_cbranch_scc0 .LBB196_5
; %bb.7:                                ;   in Loop: Header=BB196_6 Depth=1
	v_cmp_gt_i32_e32 vcc, s12, v28
	s_and_b64 s[24:25], s[2:3], vcc
	s_and_saveexec_b64 s[4:5], s[24:25]
	s_cbranch_execz .LBB196_9
; %bb.8:                                ;   in Loop: Header=BB196_6 Depth=1
	v_add_u32_e32 v118, v39, v28
	v_mad_i64_i32 v[118:119], s[24:25], v118, 36, v[18:19]
	global_load_dword v118, v[118:119], off offset:4
	s_waitcnt vmcnt(0)
	ds_write_b32 v27, v118
.LBB196_9:                              ;   in Loop: Header=BB196_6 Depth=1
	s_or_b64 exec, exec, s[4:5]
	v_cmp_gt_i32_e32 vcc, s12, v117
	s_and_b64 s[24:25], s[18:19], vcc
	s_and_saveexec_b64 s[4:5], s[24:25]
	s_cbranch_execz .LBB196_11
; %bb.10:                               ;   in Loop: Header=BB196_6 Depth=1
	v_add_u32_e32 v118, v39, v117
	v_mad_i64_i32 v[118:119], s[24:25], v118, 36, s[6:7]
	global_load_dword v118, v[118:119], off
	v_add_u32_e32 v119, v25, v1
	s_waitcnt vmcnt(0)
	v_cvt_f32_f16_e32 v118, v118
	ds_write_b32 v119, v118
.LBB196_11:                             ;   in Loop: Header=BB196_6 Depth=1
	s_or_b64 exec, exec, s[4:5]
	s_waitcnt lgkmcnt(0)
	s_barrier
	ds_read_b128 v[120:123], v26
	ds_read_b128 v[124:127], v26 offset:16
	ds_read_b128 v[128:131], v26 offset:32
	;; [unrolled: 1-line block ×3, first 2 shown]
	ds_read_b32 v119, v31
	ds_read2_b32 v[136:137], v30 offset0:12 offset1:13
	ds_read2_b32 v[138:139], v30 offset0:6 offset1:7
	;; [unrolled: 1-line block ×4, first 2 shown]
	ds_read2_b32 v[144:145], v30 offset1:1
	ds_read2_b32 v[146:147], v30 offset0:14 offset1:15
	ds_read2_b32 v[148:149], v30 offset0:10 offset1:11
	;; [unrolled: 1-line block ×3, first 2 shown]
	s_waitcnt lgkmcnt(7)
	v_dot4_i32_i8 v118, v136, v132, 0
	v_dot4_i32_i8 v118, v137, v133, v118
	s_waitcnt lgkmcnt(2)
	v_dot4_i32_i8 v118, v146, v134, v118
	v_dot4_i32_i8 v160, v147, v135, v118
	;; [unrolled: 3-line block ×3, first 2 shown]
	v_dot4_i32_i8 v118, v148, v130, v118
	v_dot4_i32_i8 v161, v149, v131, v118
	;; [unrolled: 1-line block ×10, first 2 shown]
	v_add_u32_e32 v118, 0x2098, v30
	ds_read2_b32 v[136:137], v118 offset1:1
	v_add_u32_e32 v118, 0x2090, v30
	v_add_u32_e32 v140, 0x2088, v30
	;; [unrolled: 1-line block ×4, first 2 shown]
	ds_read2_b32 v[138:139], v118 offset1:1
	ds_read2_b32 v[140:141], v140 offset1:1
	;; [unrolled: 1-line block ×4, first 2 shown]
	v_add_u32_e32 v118, 0x20b0, v30
	ds_read2_b32 v[146:147], v118 offset1:1
	v_add_u32_e32 v118, 0x20a8, v30
	v_add_u32_e32 v150, 0x20a0, v30
	;; [unrolled: 1-line block ×3, first 2 shown]
	ds_read2_b32 v[148:149], v118 offset1:1
	ds_read2_b32 v[150:151], v150 offset1:1
	;; [unrolled: 1-line block ×3, first 2 shown]
	s_waitcnt lgkmcnt(3)
	v_dot4_i32_i8 v118, v146, v132, 0
	v_dot4_i32_i8 v118, v147, v133, v118
	;; [unrolled: 1-line block ×4, first 2 shown]
	s_waitcnt lgkmcnt(1)
	v_dot4_i32_i8 v118, v150, v128, 0
	v_dot4_i32_i8 v118, v151, v129, v118
	;; [unrolled: 1-line block ×12, first 2 shown]
	v_add_u32_e32 v136, 0x4110, v30
	v_add_u32_e32 v138, 0x4108, v30
	v_add_u32_e32 v140, 0x4100, v30
	v_add_u32_e32 v142, 0x4138, v30
	v_add_u32_e32 v144, 0x4130, v30
	ds_read_b32 v118, v38 offset:384
	ds_read2_b32 v[136:137], v136 offset1:1
	ds_read2_b32 v[138:139], v138 offset1:1
	;; [unrolled: 1-line block ×5, first 2 shown]
	v_add_u32_e32 v146, 0x4128, v30
	v_add_u32_e32 v148, 0x4120, v30
	;; [unrolled: 1-line block ×3, first 2 shown]
	ds_read2_b32 v[146:147], v146 offset1:1
	ds_read2_b32 v[148:149], v148 offset1:1
	;; [unrolled: 1-line block ×3, first 2 shown]
	s_waitcnt lgkmcnt(3)
	v_dot4_i32_i8 v144, v144, v132, 0
	v_dot4_i32_i8 v136, v136, v124, 0
	;; [unrolled: 1-line block ×7, first 2 shown]
	s_waitcnt lgkmcnt(1)
	v_dot4_i32_i8 v142, v148, v128, 0
	v_dot4_i32_i8 v170, v153, v127, v136
	;; [unrolled: 1-line block ×9, first 2 shown]
	v_add_u32_e32 v136, 0x6190, v30
	v_add_u32_e32 v138, 0x6188, v30
	;; [unrolled: 1-line block ×5, first 2 shown]
	ds_read2_b32 v[136:137], v136 offset1:1
	ds_read2_b32 v[138:139], v138 offset1:1
	ds_read2_b32 v[140:141], v140 offset1:1
	ds_read2_b32 v[142:143], v142 offset1:1
	ds_read2_b32 v[144:145], v144 offset1:1
	v_add_u32_e32 v146, 0x61a8, v30
	v_add_u32_e32 v148, 0x61a0, v30
	;; [unrolled: 1-line block ×3, first 2 shown]
	ds_read2_b32 v[146:147], v146 offset1:1
	ds_read2_b32 v[148:149], v148 offset1:1
	;; [unrolled: 1-line block ×3, first 2 shown]
	s_waitcnt lgkmcnt(3)
	v_dot4_i32_i8 v132, v144, v132, 0
	v_dot4_i32_i8 v124, v136, v124, 0
	;; [unrolled: 1-line block ×3, first 2 shown]
	s_waitcnt lgkmcnt(1)
	v_dot4_i32_i8 v128, v148, v128, 0
	v_dot4_i32_i8 v132, v145, v133, v132
	;; [unrolled: 1-line block ×13, first 2 shown]
	ds_read_b128 v[120:123], v26 offset:80
	ds_read_b128 v[124:127], v26 offset:64
	;; [unrolled: 1-line block ×4, first 2 shown]
	ds_read2_b32 v[136:137], v30 offset0:30 offset1:31
	ds_read2_b32 v[138:139], v30 offset0:28 offset1:29
	;; [unrolled: 1-line block ×7, first 2 shown]
	s_waitcnt lgkmcnt(5)
	v_dot4_i32_i8 v138, v138, v128, 0
	v_dot4_i32_i8 v138, v139, v129, v138
	v_dot4_i32_i8 v136, v136, v130, v138
	v_dot4_i32_i8 v176, v137, v131, v136
	s_waitcnt lgkmcnt(3)
	v_dot4_i32_i8 v136, v142, v120, 0
	v_dot4_i32_i8 v136, v143, v121, v136
	;; [unrolled: 1-line block ×4, first 2 shown]
	s_waitcnt lgkmcnt(1)
	v_dot4_i32_i8 v136, v146, v124, 0
	v_dot4_i32_i8 v136, v147, v125, v136
	;; [unrolled: 1-line block ×3, first 2 shown]
	v_add_u32_e32 v140, 0x61d0, v30
	v_add_u32_e32 v142, 0x61c8, v30
	;; [unrolled: 1-line block ×5, first 2 shown]
	v_dot4_i32_i8 v178, v145, v127, v136
	ds_read_b128 v[136:139], v1 offset:36944
	ds_read2_b32 v[140:141], v140 offset1:1
	ds_read2_b32 v[142:143], v142 offset1:1
	;; [unrolled: 1-line block ×5, first 2 shown]
	v_add_u32_e32 v154, 0x61e8, v30
	v_add_u32_e32 v156, 0x61e0, v30
	;; [unrolled: 1-line block ×3, first 2 shown]
	ds_read2_b32 v[154:155], v154 offset1:1
	ds_read2_b32 v[156:157], v156 offset1:1
	ds_read2_b32 v[158:159], v158 offset1:1
	s_waitcnt lgkmcnt(3)
	v_dot4_i32_i8 v150, v150, v128, 0
	v_dot4_i32_i8 v150, v151, v129, v150
	;; [unrolled: 1-line block ×4, first 2 shown]
	s_waitcnt lgkmcnt(1)
	v_dot4_i32_i8 v146, v156, v132, 0
	v_dot4_i32_i8 v151, v157, v133, v146
	ds_read_b32 v179, v36 offset:256
	ds_read2_b32 v[146:147], v37 offset1:1
	v_dot4_i32_i8 v140, v140, v120, 0
	v_dot4_i32_i8 v140, v141, v121, v140
	;; [unrolled: 1-line block ×4, first 2 shown]
	s_waitcnt lgkmcnt(0)
	v_bfe_i32 v141, v146, 8, 8
	v_bfe_i32 v152, v147, 8, 8
	v_mul_lo_u32 v140, v140, v152
	v_mul_lo_u32 v141, v174, v141
	v_dot4_i32_i8 v144, v144, v124, 0
	v_dot4_i32_i8 v144, v145, v125, v144
	;; [unrolled: 1-line block ×4, first 2 shown]
	v_bfe_i32 v143, v147, 0, 8
	v_mad_u64_u32 v[142:143], s[4:5], v142, v143, v[140:141]
	v_bfe_i32 v144, v146, 0, 8
	v_add_u32_e32 v156, 0x20e0, v30
	v_mad_u64_u32 v[140:141], s[4:5], v175, v144, v[141:142]
	v_dot4_i32_i8 v141, v154, v134, v151
	v_dot4_i32_i8 v143, v155, v135, v141
	v_cvt_f32_i32_e32 v151, v140
	v_ashrrev_i32_e32 v140, 24, v147
	v_ashrrev_i32_e32 v141, 24, v146
	v_mul_lo_u32 v140, v150, v140
	v_mul_lo_u32 v141, v172, v141
	v_cvt_f32_i32_e32 v145, v142
	v_bfe_i32 v142, v147, 16, 8
	v_bfe_i32 v144, v146, 16, 8
	v_mad_u64_u32 v[142:143], s[4:5], v143, v142, v[140:141]
	v_fma_f32 v146, v136, v151, 0
	v_fma_f32 v172, v138, v145, 0
	v_mad_u64_u32 v[140:141], s[4:5], v173, v144, v[141:142]
	ds_read2_b32 v[143:144], v29 offset1:1
	v_cvt_f32_i32_e32 v142, v142
	v_cvt_f32_i32_e32 v147, v140
	ds_read2_b32 v[140:141], v30 offset0:24 offset1:25
	v_add_u32_e32 v150, 0x20f8, v30
	v_fmac_f32_e32 v172, v139, v142
	v_fmac_f32_e32 v146, v137, v147
	s_waitcnt lgkmcnt(1)
	v_bfe_i32 v142, v143, 0, 8
	s_waitcnt lgkmcnt(0)
	v_dot4_i32_i8 v140, v140, v132, 0
	v_dot4_i32_i8 v140, v141, v133, v140
	v_bfe_i32 v141, v143, 8, 8
	v_mul_lo_u32 v141, v162, v141
	v_dot4_i32_i8 v140, v148, v134, v140
	v_dot4_i32_i8 v147, v149, v135, v140
	v_bfe_i32 v140, v144, 8, 8
	v_mul_lo_u32 v140, v177, v140
	v_mad_u64_u32 v[141:142], s[4:5], v163, v142, v[141:142]
	v_bfe_i32 v145, v144, 0, 8
	v_fmac_f32_e32 v20, v118, v146
	v_mad_u64_u32 v[145:146], s[4:5], v178, v145, v[140:141]
	v_ashrrev_i32_e32 v140, 24, v144
	v_mul_lo_u32 v140, v176, v140
	v_bfe_i32 v148, v144, 16, 8
	v_ashrrev_i32_e32 v142, 24, v143
	v_bfe_i32 v146, v143, 16, 8
	v_mul_lo_u32 v142, v160, v142
	v_mad_u64_u32 v[143:144], s[4:5], v147, v148, v[140:141]
	v_cvt_f32_i32_e32 v140, v141
	v_cvt_f32_i32_e32 v141, v145
	v_mad_u64_u32 v[146:147], s[4:5], v161, v146, v[142:143]
	v_cvt_f32_i32_e32 v142, v143
	v_fma_f32 v144, v136, v140, 0
	v_cvt_f32_i32_e32 v143, v146
	v_fma_f32 v145, v138, v141, 0
	v_fmac_f32_e32 v145, v139, v142
	v_add_u32_e32 v146, 0x20c8, v30
	v_fmac_f32_e32 v144, v137, v143
	v_fmac_f32_e32 v22, v119, v144
	;; [unrolled: 1-line block ×3, first 2 shown]
	v_add_u32_e32 v119, 0x20d0, v30
	v_add_u32_e32 v148, 0x20c0, v30
	ds_read_b32 v162, v34 offset:128
	ds_read2_b32 v[140:141], v35 offset1:1
	ds_read2_b32 v[142:143], v33 offset1:1
	ds_read2_b32 v[144:145], v119 offset1:1
	ds_read2_b32 v[146:147], v146 offset1:1
	ds_read2_b32 v[148:149], v148 offset1:1
	ds_read2_b32 v[150:151], v150 offset1:1
	v_add_u32_e32 v119, 0x20f0, v30
	ds_read2_b32 v[152:153], v119 offset1:1
	v_add_u32_e32 v119, 0x20e8, v30
	v_add_u32_e32 v160, 0x4158, v30
	ds_read2_b32 v[154:155], v119 offset1:1
	ds_read2_b32 v[156:157], v156 offset1:1
	;; [unrolled: 1-line block ×3, first 2 shown]
	v_fmac_f32_e32 v20, v118, v172
	s_waitcnt lgkmcnt(3)
	v_dot4_i32_i8 v119, v152, v128, 0
	v_dot4_i32_i8 v119, v153, v129, v119
	;; [unrolled: 1-line block ×4, first 2 shown]
	s_waitcnt lgkmcnt(1)
	v_dot4_i32_i8 v119, v156, v132, 0
	v_dot4_i32_i8 v119, v157, v133, v119
	;; [unrolled: 1-line block ×11, first 2 shown]
	v_bfe_i32 v144, v142, 8, 8
	v_dot4_i32_i8 v119, v159, v123, v119
	v_bfe_i32 v145, v143, 8, 8
	v_mul_lo_u32 v144, v166, v144
	v_mul_lo_u32 v119, v119, v145
	v_bfe_i32 v145, v142, 0, 8
	v_bfe_i32 v147, v143, 0, 8
	v_mad_u64_u32 v[144:145], s[4:5], v167, v145, v[144:145]
	v_bfe_i32 v148, v142, 16, 8
	v_ashrrev_i32_e32 v142, 24, v142
	v_mad_u64_u32 v[145:146], s[4:5], v146, v147, v[119:120]
	v_ashrrev_i32_e32 v119, 24, v143
	v_mul_lo_u32 v142, v164, v142
	v_mul_lo_u32 v119, v150, v119
	v_bfe_i32 v146, v143, 16, 8
	v_add_u32_e32 v154, 0x4160, v30
	v_mad_u64_u32 v[142:143], s[4:5], v165, v148, v[142:143]
	v_mad_u64_u32 v[146:147], s[4:5], v151, v146, v[119:120]
	v_cvt_f32_i32_e32 v119, v144
	v_cvt_f32_i32_e32 v143, v145
	;; [unrolled: 1-line block ×4, first 2 shown]
	v_fma_f32 v119, v136, v119, 0
	v_fma_f32 v143, v138, v143, 0
	v_fmac_f32_e32 v119, v137, v142
	v_fmac_f32_e32 v143, v139, v144
	v_fmac_f32_e32 v108, v162, v119
	v_add_u32_e32 v119, 0x4150, v30
	v_add_u32_e32 v144, 0x4148, v30
	v_add_u32_e32 v146, 0x4140, v30
	v_add_u32_e32 v148, 0x4178, v30
	v_fmac_f32_e32 v108, v162, v143
	ds_read2_b32 v[142:143], v119 offset1:1
	ds_read2_b32 v[144:145], v144 offset1:1
	;; [unrolled: 1-line block ×4, first 2 shown]
	v_add_u32_e32 v119, 0x4170, v30
	ds_read2_b32 v[150:151], v119 offset1:1
	v_add_u32_e32 v119, 0x4168, v30
	ds_read2_b32 v[152:153], v119 offset1:1
	ds_read2_b32 v[154:155], v154 offset1:1
	s_cmp_ge_i32 s10, s9
	s_waitcnt lgkmcnt(0)
	v_dot4_i32_i8 v119, v150, v128, 0
	v_dot4_i32_i8 v119, v151, v129, v119
	;; [unrolled: 1-line block ×15, first 2 shown]
	v_bfe_i32 v120, v140, 8, 8
	v_mul_lo_u32 v120, v170, v120
	v_dot4_i32_i8 v119, v161, v123, v119
	v_bfe_i32 v121, v141, 8, 8
	v_mul_lo_u32 v119, v119, v121
	v_bfe_i32 v121, v140, 0, 8
	v_mad_u64_u32 v[120:121], s[4:5], v171, v121, v[120:121]
	v_bfe_i32 v123, v141, 0, 8
	v_bfe_i32 v125, v140, 16, 8
	v_mad_u64_u32 v[121:122], s[4:5], v122, v123, v[119:120]
	v_ashrrev_i32_e32 v119, 24, v141
	v_mul_lo_u32 v119, v128, v119
	v_bfe_i32 v123, v141, 16, 8
	v_ashrrev_i32_e32 v122, 24, v140
	v_mul_lo_u32 v122, v168, v122
	v_mad_u64_u32 v[123:124], s[4:5], v129, v123, v[119:120]
	v_cvt_f32_i32_e32 v119, v120
	v_cvt_f32_i32_e32 v120, v121
	v_mad_u64_u32 v[124:125], s[4:5], v169, v125, v[122:123]
	v_cvt_f32_i32_e32 v121, v123
	v_fma_f32 v119, v136, v119, 0
	v_cvt_f32_i32_e32 v122, v124
	v_fma_f32 v120, v138, v120, 0
	v_fmac_f32_e32 v120, v139, v121
	s_barrier
	v_fmac_f32_e32 v119, v137, v122
	v_fmac_f32_e32 v105, v179, v119
	;; [unrolled: 1-line block ×3, first 2 shown]
	s_cbranch_scc1 .LBB196_5
; %bb.12:                               ;   in Loop: Header=BB196_6 Depth=1
	v_cmp_gt_i32_e32 vcc, s12, v32
	s_and_b64 s[24:25], s[2:3], vcc
	s_and_saveexec_b64 s[4:5], s[24:25]
	s_cbranch_execz .LBB196_14
; %bb.13:                               ;   in Loop: Header=BB196_6 Depth=1
	v_add_u32_e32 v118, v39, v32
	v_mad_i64_i32 v[118:119], s[24:25], v118, 36, v[18:19]
	global_load_dword v118, v[118:119], off offset:4
	s_waitcnt vmcnt(0)
	ds_write_b32 v27, v118
.LBB196_14:                             ;   in Loop: Header=BB196_6 Depth=1
	s_or_b64 exec, exec, s[4:5]
	s_and_saveexec_b64 s[4:5], s[0:1]
	s_cbranch_execz .LBB196_4
; %bb.15:                               ;   in Loop: Header=BB196_6 Depth=1
	v_add_u32_e32 v118, 4, v117
	v_cmp_gt_i32_e32 vcc, s12, v118
	s_and_b64 s[24:25], s[2:3], vcc
	s_and_b64 exec, exec, s[24:25]
	s_cbranch_execz .LBB196_4
; %bb.16:                               ;   in Loop: Header=BB196_6 Depth=1
	v_ashrrev_i32_e32 v118, 31, v117
	v_add_co_u32_e32 v119, vcc, v39, v117
	v_addc_co_u32_e32 v120, vcc, v40, v118, vcc
	v_mad_u64_u32 v[118:119], s[24:25], v119, 36, s[6:7]
	v_mad_i32_i24 v119, v120, 36, v119
	global_load_dword v118, v[118:119], off offset:144
	v_add_u32_e32 v119, v25, v1
	s_waitcnt vmcnt(0)
	v_cvt_f32_f16_e32 v118, v118
	ds_write_b32 v119, v118
	s_branch .LBB196_4
.LBB196_17:
	s_mul_i32 s0, s14, s11
	s_waitcnt vmcnt(0)
	v_cmp_gt_i32_e32 vcc, s0, v21
	s_and_saveexec_b64 s[0:1], vcc
	s_cbranch_execz .LBB196_26
; %bb.18:
	v_mul_lo_u32 v1, v21, s13
	v_add_u32_e32 v0, s15, v0
	v_cmp_gt_u32_e32 vcc, s13, v0
	s_and_saveexec_b64 s[0:1], vcc
	s_cbranch_execz .LBB196_20
; %bb.19:
	v_add_u32_e32 v2, v1, v0
	v_mov_b32_e32 v3, 0
	v_lshlrev_b64 v[2:3], 2, v[2:3]
	v_mov_b32_e32 v4, s17
	v_add_co_u32_e32 v2, vcc, s16, v2
	v_addc_co_u32_e32 v3, vcc, v4, v3, vcc
	global_store_dword v[2:3], v22, off
.LBB196_20:
	s_or_b64 exec, exec, s[0:1]
	v_add_u32_e32 v2, 32, v0
	v_cmp_gt_u32_e32 vcc, s13, v2
	s_and_saveexec_b64 s[0:1], vcc
	s_cbranch_execz .LBB196_22
; %bb.21:
	v_add_u32_e32 v2, v1, v2
	v_mov_b32_e32 v3, 0
	v_lshlrev_b64 v[2:3], 2, v[2:3]
	v_mov_b32_e32 v4, s17
	v_add_co_u32_e32 v2, vcc, s16, v2
	v_addc_co_u32_e32 v3, vcc, v4, v3, vcc
	global_store_dword v[2:3], v108, off
.LBB196_22:
	s_or_b64 exec, exec, s[0:1]
	;; [unrolled: 14-line block ×3, first 2 shown]
	v_add_u32_e32 v0, 0x60, v0
	v_cmp_gt_u32_e32 vcc, s13, v0
	s_and_b64 exec, exec, vcc
	s_cbranch_execz .LBB196_26
; %bb.25:
	v_add_u32_e32 v0, v1, v0
	v_mov_b32_e32 v1, 0
	v_lshlrev_b64 v[0:1], 2, v[0:1]
	v_mov_b32_e32 v2, s17
	v_add_co_u32_e32 v0, vcc, s16, v0
	v_addc_co_u32_e32 v1, vcc, v2, v1, vcc
	global_store_dword v[0:1], v20, off
.LBB196_26:
	s_endpgm
	.section	.rodata,"a",@progbits
	.p2align	6, 0x0
	.amdhsa_kernel _ZL8moe_q6_KIfLb1EEvPKvS1_PT_PKiS5_S5_iiiiiii
		.amdhsa_group_segment_fixed_size 37072
		.amdhsa_private_segment_fixed_size 0
		.amdhsa_kernarg_size 76
		.amdhsa_user_sgpr_count 6
		.amdhsa_user_sgpr_private_segment_buffer 1
		.amdhsa_user_sgpr_dispatch_ptr 0
		.amdhsa_user_sgpr_queue_ptr 0
		.amdhsa_user_sgpr_kernarg_segment_ptr 1
		.amdhsa_user_sgpr_dispatch_id 0
		.amdhsa_user_sgpr_flat_scratch_init 0
		.amdhsa_user_sgpr_private_segment_size 0
		.amdhsa_uses_dynamic_stack 0
		.amdhsa_system_sgpr_private_segment_wavefront_offset 0
		.amdhsa_system_sgpr_workgroup_id_x 1
		.amdhsa_system_sgpr_workgroup_id_y 1
		.amdhsa_system_sgpr_workgroup_id_z 0
		.amdhsa_system_sgpr_workgroup_info 0
		.amdhsa_system_vgpr_workitem_id 1
		.amdhsa_next_free_vgpr 180
		.amdhsa_next_free_sgpr 98
		.amdhsa_reserve_vcc 1
		.amdhsa_reserve_flat_scratch 0
		.amdhsa_float_round_mode_32 0
		.amdhsa_float_round_mode_16_64 0
		.amdhsa_float_denorm_mode_32 3
		.amdhsa_float_denorm_mode_16_64 3
		.amdhsa_dx10_clamp 1
		.amdhsa_ieee_mode 1
		.amdhsa_fp16_overflow 0
		.amdhsa_exception_fp_ieee_invalid_op 0
		.amdhsa_exception_fp_denorm_src 0
		.amdhsa_exception_fp_ieee_div_zero 0
		.amdhsa_exception_fp_ieee_overflow 0
		.amdhsa_exception_fp_ieee_underflow 0
		.amdhsa_exception_fp_ieee_inexact 0
		.amdhsa_exception_int_div_zero 0
	.end_amdhsa_kernel
	.section	.text._ZL8moe_q6_KIfLb1EEvPKvS1_PT_PKiS5_S5_iiiiiii,"axG",@progbits,_ZL8moe_q6_KIfLb1EEvPKvS1_PT_PKiS5_S5_iiiiiii,comdat
.Lfunc_end196:
	.size	_ZL8moe_q6_KIfLb1EEvPKvS1_PT_PKiS5_S5_iiiiiii, .Lfunc_end196-_ZL8moe_q6_KIfLb1EEvPKvS1_PT_PKiS5_S5_iiiiiii
                                        ; -- End function
	.set _ZL8moe_q6_KIfLb1EEvPKvS1_PT_PKiS5_S5_iiiiiii.num_vgpr, 180
	.set _ZL8moe_q6_KIfLb1EEvPKvS1_PT_PKiS5_S5_iiiiiii.num_agpr, 0
	.set _ZL8moe_q6_KIfLb1EEvPKvS1_PT_PKiS5_S5_iiiiiii.numbered_sgpr, 28
	.set _ZL8moe_q6_KIfLb1EEvPKvS1_PT_PKiS5_S5_iiiiiii.num_named_barrier, 0
	.set _ZL8moe_q6_KIfLb1EEvPKvS1_PT_PKiS5_S5_iiiiiii.private_seg_size, 0
	.set _ZL8moe_q6_KIfLb1EEvPKvS1_PT_PKiS5_S5_iiiiiii.uses_vcc, 1
	.set _ZL8moe_q6_KIfLb1EEvPKvS1_PT_PKiS5_S5_iiiiiii.uses_flat_scratch, 0
	.set _ZL8moe_q6_KIfLb1EEvPKvS1_PT_PKiS5_S5_iiiiiii.has_dyn_sized_stack, 0
	.set _ZL8moe_q6_KIfLb1EEvPKvS1_PT_PKiS5_S5_iiiiiii.has_recursion, 0
	.set _ZL8moe_q6_KIfLb1EEvPKvS1_PT_PKiS5_S5_iiiiiii.has_indirect_call, 0
	.section	.AMDGPU.csdata,"",@progbits
; Kernel info:
; codeLenInByte = 13116
; TotalNumSgprs: 32
; NumVgprs: 180
; ScratchSize: 0
; MemoryBound: 0
; FloatMode: 240
; IeeeMode: 1
; LDSByteSize: 37072 bytes/workgroup (compile time only)
; SGPRBlocks: 12
; VGPRBlocks: 44
; NumSGPRsForWavesPerEU: 102
; NumVGPRsForWavesPerEU: 180
; Occupancy: 1
; WaveLimiterHint : 1
; COMPUTE_PGM_RSRC2:SCRATCH_EN: 0
; COMPUTE_PGM_RSRC2:USER_SGPR: 6
; COMPUTE_PGM_RSRC2:TRAP_HANDLER: 0
; COMPUTE_PGM_RSRC2:TGID_X_EN: 1
; COMPUTE_PGM_RSRC2:TGID_Y_EN: 1
; COMPUTE_PGM_RSRC2:TGID_Z_EN: 0
; COMPUTE_PGM_RSRC2:TIDIG_COMP_CNT: 1
	.section	.text._ZL8moe_q4_0IN3c104HalfELb0EEvPKvS3_PT_PKiS7_S7_iiiiiii,"axG",@progbits,_ZL8moe_q4_0IN3c104HalfELb0EEvPKvS3_PT_PKiS7_S7_iiiiiii,comdat
	.globl	_ZL8moe_q4_0IN3c104HalfELb0EEvPKvS3_PT_PKiS7_S7_iiiiiii ; -- Begin function _ZL8moe_q4_0IN3c104HalfELb0EEvPKvS3_PT_PKiS7_S7_iiiiiii
	.p2align	8
	.type	_ZL8moe_q4_0IN3c104HalfELb0EEvPKvS3_PT_PKiS7_S7_iiiiiii,@function
_ZL8moe_q4_0IN3c104HalfELb0EEvPKvS3_PT_PKiS7_S7_iiiiiii: ; @_ZL8moe_q4_0IN3c104HalfELb0EEvPKvS3_PT_PKiS7_S7_iiiiiii
; %bb.0:
	s_load_dwordx4 s[0:3], s[4:5], 0x18
	s_mov_b32 s8, s7
	s_mov_b32 s9, 0
	s_lshl_b64 s[10:11], s[8:9], 2
	s_waitcnt lgkmcnt(0)
	s_add_u32 s2, s2, s10
	s_addc_u32 s3, s3, s11
	s_load_dword s2, s[2:3], 0x0
	s_waitcnt lgkmcnt(0)
	s_cmpk_gt_u32 s2, 0xff
	s_cbranch_scc1 .LBB197_30
; %bb.1:
	s_load_dwordx2 s[10:11], s[4:5], 0x28
	s_lshl_b32 s3, s8, 3
	s_waitcnt lgkmcnt(0)
	s_load_dword s7, s[10:11], 0x0
	s_waitcnt lgkmcnt(0)
	s_cmp_gt_u32 s3, s7
	s_cbranch_scc1 .LBB197_30
; %bb.2:
	v_add_u32_e32 v2, s3, v1
	v_mov_b32_e32 v3, 0
	v_lshlrev_b64 v[4:5], 2, v[2:3]
	v_mov_b32_e32 v2, s1
	v_add_co_u32_e32 v4, vcc, s0, v4
	v_addc_co_u32_e32 v5, vcc, v2, v5, vcc
	global_load_dword v4, v[4:5], off
	s_load_dwordx2 s[14:15], s[4:5], 0x30
	s_load_dwordx2 s[12:13], s[4:5], 0x10
	s_load_dwordx4 s[8:11], s[4:5], 0x3c
	s_lshl_b32 s18, s6, 7
	v_mov_b32_e32 v46, v3
	s_waitcnt lgkmcnt(0)
	s_cmp_lt_i32 s15, 32
	v_mov_b32_e32 v49, v3
	v_mov_b32_e32 v5, v3
	s_cbranch_scc1 .LBB197_21
; %bb.3:
	s_load_dwordx4 s[4:7], s[4:5], 0x0
	s_ashr_i32 s0, s15, 31
	s_ashr_i32 s1, s9, 31
	s_lshr_b32 s0, s0, 27
	s_lshr_b32 s1, s1, 27
	s_add_i32 s0, s15, s0
	s_add_i32 s1, s9, s1
	s_mul_i32 s2, s2, s14
	s_ashr_i32 s19, s0, 5
	s_ashr_i32 s9, s1, 5
	;; [unrolled: 1-line block ×3, first 2 shown]
	s_waitcnt lgkmcnt(0)
	s_add_u32 s2, s4, s2
	s_mul_i32 s3, s19, s18
	v_mul_lo_u32 v8, s19, v1
	s_addc_u32 s1, s5, s1
	s_mul_hi_i32 s4, s3, 18
	s_mul_i32 s3, s3, 18
	s_add_u32 s14, s2, s3
	s_addc_u32 s20, s1, s4
	s_lshl_b32 s1, s19, 3
	v_add_u32_e32 v10, s1, v8
	v_add_u32_e32 v12, s1, v10
	;; [unrolled: 1-line block ×12, first 2 shown]
	v_lshrrev_b32_e32 v41, 3, v0
	v_add_u32_e32 v34, s1, v32
	v_lshl_add_u32 v3, v1, 2, v41
	v_add_u32_e32 v36, s1, v34
	v_and_b32_e32 v40, 7, v0
	v_add_u32_e32 v44, 32, v3
	v_add_u32_e32 v38, s1, v36
	v_lshlrev_b32_e32 v46, 2, v40
	s_movk_i32 s1, 0x4200
	v_and_b32_e32 v45, 0xffc, v44
	v_add3_u32 v66, v45, v46, s1
	v_add_u32_e32 v45, 64, v3
	v_mul_lo_u32 v42, s19, v3
	v_and_b32_e32 v43, 0x7fc, v3
	v_lshlrev_b32_e32 v65, 5, v3
	v_and_b32_e32 v47, 0xffc, v45
	v_add_u32_e32 v3, 0x60, v3
	v_add3_u32 v68, v47, v46, s1
	v_and_b32_e32 v47, 0xffc, v3
	s_abs_i32 s2, s11
	v_add3_u32 v49, v43, v46, s1
	v_add3_u32 v46, v47, v46, s1
	v_cvt_f32_u32_e32 v47, s2
	s_andn2_b32 s0, s0, 31
	v_add_u32_e32 v43, s0, v42
	v_lshlrev_b32_e32 v67, 5, v44
	v_rcp_iflag_f32_e32 v50, v47
	v_add_u32_e32 v44, s0, v43
	v_lshlrev_b32_e32 v69, 5, v45
	v_add_u32_e32 v45, s0, v44
	v_mul_f32_e32 v50, 0x4f7ffffe, v50
	v_cvt_u32_f32_e32 v52, v50
	s_sub_i32 s0, 0, s2
	v_lshlrev_b32_e32 v2, 2, v0
	s_movk_i32 s16, 0x84
	v_mul_lo_u32 v53, s0, v52
	v_mov_b32_e32 v47, 0x5280
	v_mov_b32_e32 v50, 0x5680
	v_mad_u32_u24 v9, v1, s16, v2
	v_lshl_add_u32 v47, v1, 7, v47
	v_lshl_add_u32 v50, v1, 4, v50
	v_mul_hi_u32 v1, v52, v53
	v_and_b32_e32 v7, 12, v2
	v_and_b32_e32 v55, 28, v2
	v_add_u32_e32 v51, v50, v2
	s_waitcnt vmcnt(0)
	v_sub_u32_e32 v2, 0, v4
	v_max_i32_e32 v2, v4, v2
	v_add_u32_e32 v1, v52, v1
	v_mul_hi_u32 v1, v2, v1
	v_xor_b32_e32 v59, s11, v4
	v_ashrrev_i32_e32 v59, 31, v59
	v_add_u32_e32 v58, 32, v0
	v_mul_lo_u32 v54, v1, s2
	v_add_u32_e32 v57, 64, v0
	v_add_u32_e32 v56, 0x60, v0
	v_lshrrev_b32_e32 v53, 3, v58
	v_sub_u32_e32 v2, v2, v54
	v_add_u32_e32 v54, 1, v1
	v_cmp_le_u32_e64 s[0:1], s2, v2
	v_cndmask_b32_e64 v1, v1, v54, s[0:1]
	v_subrev_u32_e32 v54, s2, v2
	v_cndmask_b32_e64 v2, v2, v54, s[0:1]
	v_add_u32_e32 v54, 1, v1
	v_cmp_le_u32_e64 s[0:1], s2, v2
	v_cndmask_b32_e64 v1, v1, v54, s[0:1]
	v_xor_b32_e32 v1, v1, v59
	v_sub_u32_e32 v1, v1, v59
	v_mul_lo_u32 v54, v1, s9
	v_lshlrev_b32_e32 v59, 5, v0
	v_and_b32_e32 v56, 0x1fc, v56
	v_and_b32_e32 v57, 0x1fc, v57
	;; [unrolled: 1-line block ×4, first 2 shown]
	v_lshlrev_b32_e32 v3, 5, v3
	v_and_b32_e32 v48, 31, v0
	v_cmp_gt_u32_e32 vcc, 4, v0
	v_cmp_gt_i32_e64 s[0:1], s8, v1
	v_mov_b32_e32 v2, s7
	v_add_co_u32_e64 v1, s[2:3], s6, v55
	v_add_u32_e32 v61, v59, v56
	v_add_u32_e32 v62, v59, v57
	;; [unrolled: 1-line block ×4, first 2 shown]
	v_lshrrev_b32_e32 v6, 2, v0
	v_mov_b32_e32 v5, 0
	v_add_u32_e32 v11, 0x420, v9
	v_add_u32_e32 v13, 0x840, v9
	v_add_u32_e32 v15, 0xc60, v9
	v_add_u32_e32 v17, 0x1080, v9
	v_add_u32_e32 v19, 0x14a0, v9
	v_add_u32_e32 v21, 0x18c0, v9
	v_add_u32_e32 v23, 0x1ce0, v9
	v_add_u32_e32 v25, 0x2100, v9
	v_add_u32_e32 v27, 0x2520, v9
	v_add_u32_e32 v29, 0x2940, v9
	v_add_u32_e32 v31, 0x2d60, v9
	v_add_u32_e32 v33, 0x3180, v9
	v_add_u32_e32 v35, 0x35a0, v9
	v_add_u32_e32 v37, 0x39c0, v9
	v_add_u32_e32 v39, 0x3de0, v9
	v_lshl_or_b32 v48, v48, 2, v47
	v_mul_u32_u24_e32 v52, 0x84, v0
	s_mov_b32 s21, 0
	v_addc_co_u32_e64 v2, s[2:3], 0, v2, s[2:3]
	s_and_b64 s[4:5], vcc, s[0:1]
	v_ashrrev_i32_e32 v55, 31, v54
	v_add_u32_e32 v56, 0x4e00, v61
	v_add_u32_e32 v57, 0x4a00, v62
	;; [unrolled: 1-line block ×4, first 2 shown]
	v_mad_u32_u24 v60, v0, s16, 64
	v_add_u32_e32 v61, 0x4e10, v61
	v_add_u32_e32 v62, 0x4a10, v62
	;; [unrolled: 1-line block ×8, first 2 shown]
	v_mov_b32_e32 v49, 0
	v_mov_b32_e32 v46, 0
	v_mov_b32_e32 v3, 0
	s_branch .LBB197_5
.LBB197_4:                              ;   in Loop: Header=BB197_5 Depth=1
	s_add_i32 s21, s21, 8
	s_cmp_ge_i32 s21, s19
	s_cbranch_scc1 .LBB197_21
.LBB197_5:                              ; =>This Loop Header: Depth=1
                                        ;     Child Loop BB197_11 Depth 2
                                        ;     Child Loop BB197_19 Depth 2
	s_mul_i32 s3, s21, 18
	s_mul_hi_u32 s2, s21, 18
	s_add_u32 s16, s14, s3
	s_addc_u32 s17, s20, s2
	v_mad_u64_u32 v[69:70], s[2:3], v6, 18, s[16:17]
	v_mad_u64_u32 v[71:72], s[2:3], v8, 18, v[69:70]
	;; [unrolled: 1-line block ×3, first 2 shown]
	v_add_co_u32_e64 v71, s[2:3], v71, v7
	v_addc_co_u32_e64 v72, s[2:3], 0, v72, s[2:3]
	v_add_co_u32_e64 v73, s[2:3], v73, v7
	v_addc_co_u32_e64 v74, s[2:3], 0, v74, s[2:3]
	v_mad_u64_u32 v[75:76], s[2:3], v12, 18, v[69:70]
	v_mad_u64_u32 v[77:78], s[2:3], v14, 18, v[69:70]
	v_add_co_u32_e64 v75, s[2:3], v75, v7
	v_addc_co_u32_e64 v76, s[2:3], 0, v76, s[2:3]
	v_add_co_u32_e64 v77, s[2:3], v77, v7
	v_addc_co_u32_e64 v78, s[2:3], 0, v78, s[2:3]
	v_mad_u64_u32 v[79:80], s[2:3], v16, 18, v[69:70]
	v_mad_u64_u32 v[81:82], s[2:3], v18, 18, v[69:70]
	;; [unrolled: 6-line block ×3, first 2 shown]
	v_add_co_u32_e64 v83, s[2:3], v83, v7
	v_addc_co_u32_e64 v84, s[2:3], 0, v84, s[2:3]
	v_add_co_u32_e64 v85, s[2:3], v85, v7
	v_addc_co_u32_e64 v86, s[2:3], 0, v86, s[2:3]
	global_load_dword v87, v[71:72], off offset:2
	global_load_dword v88, v[73:74], off offset:2
	;; [unrolled: 1-line block ×8, first 2 shown]
	v_mad_u64_u32 v[71:72], s[2:3], v24, 18, v[69:70]
	v_mad_u64_u32 v[73:74], s[2:3], v26, 18, v[69:70]
	v_add_co_u32_e64 v71, s[2:3], v71, v7
	v_addc_co_u32_e64 v72, s[2:3], 0, v72, s[2:3]
	v_add_co_u32_e64 v73, s[2:3], v73, v7
	v_addc_co_u32_e64 v74, s[2:3], 0, v74, s[2:3]
	v_mad_u64_u32 v[75:76], s[2:3], v28, 18, v[69:70]
	v_mad_u64_u32 v[77:78], s[2:3], v30, 18, v[69:70]
	v_add_co_u32_e64 v75, s[2:3], v75, v7
	v_addc_co_u32_e64 v76, s[2:3], 0, v76, s[2:3]
	v_add_co_u32_e64 v77, s[2:3], v77, v7
	v_addc_co_u32_e64 v78, s[2:3], 0, v78, s[2:3]
	v_mad_u64_u32 v[79:80], s[2:3], v32, 18, v[69:70]
	v_mad_u64_u32 v[81:82], s[2:3], v34, 18, v[69:70]
	v_add_co_u32_e64 v79, s[2:3], v79, v7
	v_addc_co_u32_e64 v80, s[2:3], 0, v80, s[2:3]
	v_add_co_u32_e64 v81, s[2:3], v81, v7
	v_addc_co_u32_e64 v82, s[2:3], 0, v82, s[2:3]
	v_mad_u64_u32 v[83:84], s[2:3], v36, 18, v[69:70]
	v_mad_u64_u32 v[69:70], s[2:3], v38, 18, v[69:70]
	v_add_co_u32_e64 v83, s[2:3], v83, v7
	v_addc_co_u32_e64 v84, s[2:3], 0, v84, s[2:3]
	v_add_co_u32_e64 v69, s[2:3], v69, v7
	v_addc_co_u32_e64 v70, s[2:3], 0, v70, s[2:3]
	v_mad_u64_u32 v[85:86], s[2:3], v40, 18, s[16:17]
	global_load_dword v95, v[71:72], off offset:2
	global_load_dword v96, v[73:74], off offset:2
	s_nop 0
	global_load_dword v75, v[75:76], off offset:2
	s_nop 0
	;; [unrolled: 2-line block ×3, first 2 shown]
	global_load_dword v77, v[79:80], off offset:2
	global_load_dword v78, v[81:82], off offset:2
	s_nop 0
	global_load_dword v79, v[83:84], off offset:2
	global_load_dword v80, v[69:70], off offset:2
	s_lshl_b32 s16, s21, 5
	v_mad_u64_u32 v[69:70], s[2:3], v42, 18, v[85:86]
	v_mad_u64_u32 v[71:72], s[2:3], v43, 18, v[85:86]
	;; [unrolled: 1-line block ×3, first 2 shown]
	global_load_ushort v81, v[69:70], off
	s_nop 0
	global_load_ushort v71, v[71:72], off
	v_mad_u64_u32 v[69:70], s[2:3], v45, 18, v[85:86]
	global_load_ushort v72, v[73:74], off
	s_nop 0
	global_load_ushort v69, v[69:70], off
	s_cmp_lt_i32 s16, s15
	s_waitcnt vmcnt(19)
	ds_write_b32 v9, v87
	s_waitcnt vmcnt(18)
	ds_write_b32 v11, v88
	;; [unrolled: 2-line block ×16, first 2 shown]
	s_waitcnt vmcnt(3)
	v_cvt_f32_f16_e32 v70, v81
	s_waitcnt vmcnt(2)
	v_cvt_f32_f16_e32 v71, v71
	ds_write_b32 v65, v70
	ds_write_b32 v66, v71
	s_waitcnt vmcnt(1)
	v_cvt_f32_f16_e32 v72, v72
	s_waitcnt vmcnt(0)
	v_cvt_f32_f16_e32 v69, v69
	ds_write_b32 v67, v72
	ds_write_b32 v68, v69
	s_cbranch_scc0 .LBB197_4
; %bb.6:                                ;   in Loop: Header=BB197_5 Depth=1
	v_add_u32_e32 v69, s21, v41
	v_cmp_gt_i32_e64 s[2:3], s9, v69
	s_and_b64 s[22:23], s[0:1], s[2:3]
	s_and_saveexec_b64 s[2:3], s[22:23]
	s_cbranch_execz .LBB197_8
; %bb.7:                                ;   in Loop: Header=BB197_5 Depth=1
	v_add_u32_e32 v69, v54, v69
	v_mad_i64_i32 v[69:70], s[22:23], v69, 36, v[1:2]
	global_load_dword v69, v[69:70], off offset:4
	s_waitcnt vmcnt(0)
	ds_write_b32 v48, v69
.LBB197_8:                              ;   in Loop: Header=BB197_5 Depth=1
	s_or_b64 exec, exec, s[2:3]
	v_add_u32_e32 v69, s21, v0
	v_cmp_gt_i32_e64 s[2:3], s9, v69
	s_and_b64 s[22:23], s[4:5], s[2:3]
	s_and_saveexec_b64 s[2:3], s[22:23]
	s_cbranch_execz .LBB197_10
; %bb.9:                                ;   in Loop: Header=BB197_5 Depth=1
	v_add_u32_e32 v70, v54, v69
	v_mad_i64_i32 v[70:71], s[22:23], v70, 36, s[6:7]
	global_load_dword v70, v[70:71], off
	s_waitcnt vmcnt(0)
	ds_write_b32 v51, v70
.LBB197_10:                             ;   in Loop: Header=BB197_5 Depth=1
	s_or_b64 exec, exec, s[2:3]
	s_mov_b32 s2, -4
	v_mov_b32_e32 v70, v47
	v_mov_b32_e32 v71, v50
	;; [unrolled: 1-line block ×7, first 2 shown]
	s_waitcnt lgkmcnt(0)
	s_barrier
.LBB197_11:                             ;   Parent Loop BB197_5 Depth=1
                                        ; =>  This Inner Loop Header: Depth=2
	v_add_u32_e32 v89, 0x1080, v76
	v_add_u32_e32 v91, 0x1088, v76
	;; [unrolled: 1-line block ×6, first 2 shown]
	ds_read_b128 v[77:80], v70
	ds_read_b128 v[81:84], v70 offset:16
	ds_read2_b32 v[85:86], v76 offset0:2 offset1:3
	ds_read_b32 v101, v71
	ds_read_b32 v102, v72
	ds_read2_b32 v[87:88], v76 offset1:1
	ds_read_b32 v103, v73
	ds_read_b32 v104, v74
	;; [unrolled: 1-line block ×3, first 2 shown]
	ds_read2_b32 v[89:90], v89 offset1:1
	ds_read2_b32 v[91:92], v91 offset1:1
	;; [unrolled: 1-line block ×6, first 2 shown]
	s_waitcnt lgkmcnt(9)
	v_and_b32_e32 v107, 0xf0f0f0f, v87
	v_lshrrev_b32_e32 v87, 4, v87
	v_and_b32_e32 v87, 0xf0f0f0f, v87
	v_dot4_i32_i8 v107, v107, v77, 0
	s_waitcnt lgkmcnt(5)
	v_and_b32_e32 v111, 0xf0f0f0f, v89
	v_lshrrev_b32_e32 v89, 4, v89
	s_waitcnt lgkmcnt(3)
	v_and_b32_e32 v115, 0xf0f0f0f, v93
	v_lshrrev_b32_e32 v93, 4, v93
	;; [unrolled: 3-line block ×3, first 2 shown]
	v_and_b32_e32 v108, 0xf0f0f0f, v88
	v_lshrrev_b32_e32 v88, 4, v88
	v_dot4_i32_i8 v87, v87, v81, v107
	v_and_b32_e32 v89, 0xf0f0f0f, v89
	v_dot4_i32_i8 v107, v111, v77, 0
	v_and_b32_e32 v93, 0xf0f0f0f, v93
	;; [unrolled: 2-line block ×4, first 2 shown]
	v_and_b32_e32 v112, 0xf0f0f0f, v90
	v_lshrrev_b32_e32 v90, 4, v90
	v_and_b32_e32 v116, 0xf0f0f0f, v94
	v_lshrrev_b32_e32 v94, 4, v94
	;; [unrolled: 2-line block ×3, first 2 shown]
	v_dot4_i32_i8 v87, v108, v78, v87
	v_dot4_i32_i8 v89, v89, v81, v107
	v_dot4_i32_i8 v93, v93, v81, v111
	v_dot4_i32_i8 v77, v97, v81, v77
	v_and_b32_e32 v109, 0xf0f0f0f, v85
	v_lshrrev_b32_e32 v85, 4, v85
	v_and_b32_e32 v90, 0xf0f0f0f, v90
	v_and_b32_e32 v94, 0xf0f0f0f, v94
	;; [unrolled: 1-line block ×3, first 2 shown]
	v_dot4_i32_i8 v87, v88, v82, v87
	v_dot4_i32_i8 v88, v112, v78, v89
	;; [unrolled: 1-line block ×4, first 2 shown]
	v_and_b32_e32 v85, 0xf0f0f0f, v85
	v_and_b32_e32 v113, 0xf0f0f0f, v91
	v_lshrrev_b32_e32 v91, 4, v91
	v_and_b32_e32 v117, 0xf0f0f0f, v95
	v_lshrrev_b32_e32 v95, 4, v95
	s_waitcnt lgkmcnt(0)
	v_and_b32_e32 v121, 0xf0f0f0f, v99
	v_lshrrev_b32_e32 v99, 4, v99
	v_dot4_i32_i8 v78, v109, v79, v87
	v_dot4_i32_i8 v87, v90, v82, v88
	;; [unrolled: 1-line block ×4, first 2 shown]
	v_and_b32_e32 v110, 0xf0f0f0f, v86
	v_lshrrev_b32_e32 v86, 4, v86
	v_and_b32_e32 v91, 0xf0f0f0f, v91
	v_and_b32_e32 v95, 0xf0f0f0f, v95
	;; [unrolled: 1-line block ×3, first 2 shown]
	v_dot4_i32_i8 v78, v85, v83, v78
	v_dot4_i32_i8 v82, v113, v79, v87
	;; [unrolled: 1-line block ×4, first 2 shown]
	v_and_b32_e32 v86, 0xf0f0f0f, v86
	v_and_b32_e32 v114, 0xf0f0f0f, v92
	v_lshrrev_b32_e32 v92, 4, v92
	v_and_b32_e32 v118, 0xf0f0f0f, v96
	v_lshrrev_b32_e32 v96, 4, v96
	;; [unrolled: 2-line block ×3, first 2 shown]
	v_dot4_i32_i8 v78, v110, v80, v78
	v_dot4_i32_i8 v79, v91, v83, v82
	;; [unrolled: 1-line block ×4, first 2 shown]
	v_cvt_f32_f16_sdwa v106, v101 dst_sel:DWORD dst_unused:UNUSED_PAD src0_sel:WORD_1
	v_and_b32_e32 v92, 0xf0f0f0f, v92
	v_and_b32_e32 v96, 0xf0f0f0f, v96
	;; [unrolled: 1-line block ×3, first 2 shown]
	v_dot4_i32_i8 v78, v86, v84, v78
	v_dot4_i32_i8 v79, v114, v80, v79
	;; [unrolled: 1-line block ×4, first 2 shown]
	v_cvt_f32_i32_e32 v78, v78
	v_dot4_i32_i8 v79, v92, v84, v79
	v_dot4_i32_i8 v80, v96, v84, v82
	;; [unrolled: 1-line block ×3, first 2 shown]
	v_cvt_f32_i32_e32 v79, v79
	v_cvt_f32_i32_e32 v80, v80
	;; [unrolled: 1-line block ×3, first 2 shown]
	v_mul_f32_e32 v81, 0xc1000000, v106
	v_fma_mix_f32 v78, v101, v78, v81 op_sel_hi:[1,0,0]
	s_add_i32 s2, s2, 4
	v_fmac_f32_e32 v5, v102, v78
	v_fma_mix_f32 v78, v101, v79, v81 op_sel_hi:[1,0,0]
	v_fma_mix_f32 v79, v101, v80, v81 op_sel_hi:[1,0,0]
	;; [unrolled: 1-line block ×3, first 2 shown]
	v_add_u32_e32 v76, 16, v76
	v_add_u32_e32 v75, 4, v75
	;; [unrolled: 1-line block ×7, first 2 shown]
	s_cmp_lt_u32 s2, 12
	v_fmac_f32_e32 v49, v103, v78
	v_fmac_f32_e32 v46, v104, v79
	;; [unrolled: 1-line block ×3, first 2 shown]
	s_cbranch_scc1 .LBB197_11
; %bb.12:                               ;   in Loop: Header=BB197_5 Depth=1
	s_bitset1_b32 s16, 7
	s_cmp_ge_i32 s16, s15
	s_barrier
	s_cbranch_scc1 .LBB197_4
; %bb.13:                               ;   in Loop: Header=BB197_5 Depth=1
	v_add_u32_e32 v70, s21, v53
	v_cmp_gt_i32_e64 s[2:3], s9, v70
	s_and_b64 s[16:17], s[0:1], s[2:3]
	s_and_saveexec_b64 s[2:3], s[16:17]
	s_cbranch_execz .LBB197_15
; %bb.14:                               ;   in Loop: Header=BB197_5 Depth=1
	v_add_u32_e32 v70, v54, v70
	v_mad_i64_i32 v[70:71], s[16:17], v70, 36, v[1:2]
	global_load_dword v70, v[70:71], off offset:4
	s_waitcnt vmcnt(0)
	ds_write_b32 v48, v70
.LBB197_15:                             ;   in Loop: Header=BB197_5 Depth=1
	s_or_b64 exec, exec, s[2:3]
	s_and_saveexec_b64 s[16:17], vcc
	s_cbranch_execz .LBB197_18
; %bb.16:                               ;   in Loop: Header=BB197_5 Depth=1
	v_or_b32_e32 v70, 4, v69
	v_cmp_gt_i32_e64 s[2:3], s9, v70
	s_and_b64 s[2:3], s[0:1], s[2:3]
	s_and_b64 exec, exec, s[2:3]
	s_cbranch_execz .LBB197_18
; %bb.17:                               ;   in Loop: Header=BB197_5 Depth=1
	v_ashrrev_i32_e32 v70, 31, v69
	v_add_co_u32_e64 v69, s[2:3], v54, v69
	v_addc_co_u32_e64 v71, s[2:3], v55, v70, s[2:3]
	v_mad_u64_u32 v[69:70], s[2:3], v69, 36, s[6:7]
	v_mad_i32_i24 v70, v71, 36, v70
	global_load_dword v69, v[69:70], off offset:144
	s_waitcnt vmcnt(0)
	ds_write_b32 v51, v69
.LBB197_18:                             ;   in Loop: Header=BB197_5 Depth=1
	s_or_b64 exec, exec, s[16:17]
	s_mov_b32 s2, 12
	v_mov_b32_e32 v69, v50
	v_mov_b32_e32 v70, v47
	;; [unrolled: 1-line block ×7, first 2 shown]
	s_waitcnt lgkmcnt(0)
	s_barrier
.LBB197_19:                             ;   Parent Loop BB197_5 Depth=1
                                        ; =>  This Inner Loop Header: Depth=2
	v_add_u32_e32 v88, 0x1080, v75
	v_add_u32_e32 v90, 0x1088, v75
	;; [unrolled: 1-line block ×6, first 2 shown]
	ds_read_b128 v[76:79], v70
	ds_read_b128 v[80:83], v70 offset:16
	ds_read_b32 v100, v69
	ds_read2_b32 v[84:85], v75 offset0:2 offset1:3
	ds_read_b32 v101, v71
	ds_read2_b32 v[86:87], v75 offset1:1
	ds_read_b32 v102, v72
	ds_read_b32 v103, v73
	;; [unrolled: 1-line block ×3, first 2 shown]
	ds_read2_b32 v[88:89], v88 offset1:1
	ds_read2_b32 v[90:91], v90 offset1:1
	;; [unrolled: 1-line block ×6, first 2 shown]
	s_waitcnt lgkmcnt(9)
	v_and_b32_e32 v106, 0xf0f0f0f, v86
	v_lshrrev_b32_e32 v86, 4, v86
	v_and_b32_e32 v86, 0xf0f0f0f, v86
	v_dot4_i32_i8 v106, v106, v76, 0
	s_waitcnt lgkmcnt(5)
	v_and_b32_e32 v110, 0xf0f0f0f, v88
	v_lshrrev_b32_e32 v88, 4, v88
	s_waitcnt lgkmcnt(3)
	v_and_b32_e32 v114, 0xf0f0f0f, v92
	v_lshrrev_b32_e32 v92, 4, v92
	;; [unrolled: 3-line block ×3, first 2 shown]
	v_and_b32_e32 v107, 0xf0f0f0f, v87
	v_lshrrev_b32_e32 v87, 4, v87
	v_dot4_i32_i8 v86, v86, v80, v106
	v_and_b32_e32 v88, 0xf0f0f0f, v88
	v_dot4_i32_i8 v106, v110, v76, 0
	v_and_b32_e32 v92, 0xf0f0f0f, v92
	;; [unrolled: 2-line block ×4, first 2 shown]
	v_and_b32_e32 v111, 0xf0f0f0f, v89
	v_lshrrev_b32_e32 v89, 4, v89
	v_and_b32_e32 v115, 0xf0f0f0f, v93
	v_lshrrev_b32_e32 v93, 4, v93
	;; [unrolled: 2-line block ×3, first 2 shown]
	v_dot4_i32_i8 v86, v107, v77, v86
	v_dot4_i32_i8 v88, v88, v80, v106
	;; [unrolled: 1-line block ×4, first 2 shown]
	v_and_b32_e32 v108, 0xf0f0f0f, v84
	v_lshrrev_b32_e32 v84, 4, v84
	v_and_b32_e32 v89, 0xf0f0f0f, v89
	v_and_b32_e32 v93, 0xf0f0f0f, v93
	;; [unrolled: 1-line block ×3, first 2 shown]
	v_dot4_i32_i8 v86, v87, v81, v86
	v_dot4_i32_i8 v87, v111, v77, v88
	;; [unrolled: 1-line block ×4, first 2 shown]
	v_and_b32_e32 v84, 0xf0f0f0f, v84
	v_and_b32_e32 v112, 0xf0f0f0f, v90
	v_lshrrev_b32_e32 v90, 4, v90
	v_and_b32_e32 v116, 0xf0f0f0f, v94
	v_lshrrev_b32_e32 v94, 4, v94
	s_waitcnt lgkmcnt(0)
	v_and_b32_e32 v120, 0xf0f0f0f, v98
	v_lshrrev_b32_e32 v98, 4, v98
	v_dot4_i32_i8 v77, v108, v78, v86
	v_dot4_i32_i8 v86, v89, v81, v87
	;; [unrolled: 1-line block ×4, first 2 shown]
	v_and_b32_e32 v109, 0xf0f0f0f, v85
	v_lshrrev_b32_e32 v85, 4, v85
	v_and_b32_e32 v90, 0xf0f0f0f, v90
	v_and_b32_e32 v94, 0xf0f0f0f, v94
	;; [unrolled: 1-line block ×3, first 2 shown]
	v_dot4_i32_i8 v77, v84, v82, v77
	v_dot4_i32_i8 v81, v112, v78, v86
	;; [unrolled: 1-line block ×4, first 2 shown]
	v_and_b32_e32 v85, 0xf0f0f0f, v85
	v_and_b32_e32 v113, 0xf0f0f0f, v91
	v_lshrrev_b32_e32 v91, 4, v91
	v_and_b32_e32 v117, 0xf0f0f0f, v95
	v_lshrrev_b32_e32 v95, 4, v95
	;; [unrolled: 2-line block ×3, first 2 shown]
	v_dot4_i32_i8 v77, v109, v79, v77
	v_dot4_i32_i8 v78, v90, v82, v81
	;; [unrolled: 1-line block ×4, first 2 shown]
	v_cvt_f32_f16_sdwa v105, v100 dst_sel:DWORD dst_unused:UNUSED_PAD src0_sel:WORD_1
	v_and_b32_e32 v91, 0xf0f0f0f, v91
	v_and_b32_e32 v95, 0xf0f0f0f, v95
	;; [unrolled: 1-line block ×3, first 2 shown]
	v_dot4_i32_i8 v77, v85, v83, v77
	v_dot4_i32_i8 v78, v113, v79, v78
	;; [unrolled: 1-line block ×4, first 2 shown]
	v_cvt_f32_i32_e32 v77, v77
	v_dot4_i32_i8 v78, v91, v83, v78
	v_dot4_i32_i8 v79, v95, v83, v81
	;; [unrolled: 1-line block ×3, first 2 shown]
	v_cvt_f32_i32_e32 v78, v78
	v_cvt_f32_i32_e32 v79, v79
	;; [unrolled: 1-line block ×3, first 2 shown]
	v_mul_f32_e32 v80, 0xc1000000, v105
	v_fma_mix_f32 v77, v100, v77, v80 op_sel_hi:[1,0,0]
	s_add_i32 s2, s2, 4
	v_fmac_f32_e32 v5, v101, v77
	v_fma_mix_f32 v77, v100, v78, v80 op_sel_hi:[1,0,0]
	v_fma_mix_f32 v78, v100, v79, v80 op_sel_hi:[1,0,0]
	;; [unrolled: 1-line block ×3, first 2 shown]
	v_add_u32_e32 v75, 16, v75
	v_add_u32_e32 v74, 4, v74
	;; [unrolled: 1-line block ×7, first 2 shown]
	s_cmp_lt_u32 s2, 28
	v_fmac_f32_e32 v49, v102, v77
	v_fmac_f32_e32 v46, v103, v78
	v_fmac_f32_e32 v3, v104, v76
	s_cbranch_scc1 .LBB197_19
; %bb.20:                               ;   in Loop: Header=BB197_5 Depth=1
	s_barrier
	s_branch .LBB197_4
.LBB197_21:
	s_mul_i32 s0, s11, s8
	s_waitcnt vmcnt(0)
	v_cmp_gt_i32_e32 vcc, s0, v4
	s_and_saveexec_b64 s[0:1], vcc
	s_cbranch_execz .LBB197_30
; %bb.22:
	v_mul_lo_u32 v1, v4, s10
	v_add_u32_e32 v0, s18, v0
	v_cmp_gt_u32_e32 vcc, s10, v0
	s_and_saveexec_b64 s[0:1], vcc
	s_cbranch_execz .LBB197_24
; %bb.23:
	v_add_u32_e32 v6, v1, v0
	v_mov_b32_e32 v7, 0
	v_lshlrev_b64 v[6:7], 1, v[6:7]
	v_cvt_f16_f32_e32 v8, v5
	v_mov_b32_e32 v2, s13
	v_add_co_u32_e32 v4, vcc, s12, v6
	v_addc_co_u32_e32 v5, vcc, v2, v7, vcc
	global_store_short v[4:5], v8, off
.LBB197_24:
	s_or_b64 exec, exec, s[0:1]
	v_add_u32_e32 v2, 32, v0
	v_cmp_gt_u32_e32 vcc, s10, v2
	s_and_saveexec_b64 s[0:1], vcc
	s_cbranch_execz .LBB197_26
; %bb.25:
	v_add_u32_e32 v4, v1, v2
	v_mov_b32_e32 v5, 0
	v_lshlrev_b64 v[4:5], 1, v[4:5]
	v_cvt_f16_f32_e32 v6, v49
	v_mov_b32_e32 v2, s13
	v_add_co_u32_e32 v4, vcc, s12, v4
	v_addc_co_u32_e32 v5, vcc, v2, v5, vcc
	global_store_short v[4:5], v6, off
.LBB197_26:
	s_or_b64 exec, exec, s[0:1]
	;; [unrolled: 15-line block ×3, first 2 shown]
	v_add_u32_e32 v0, 0x60, v0
	v_cmp_gt_u32_e32 vcc, s10, v0
	s_and_b64 exec, exec, vcc
	s_cbranch_execz .LBB197_30
; %bb.29:
	v_add_u32_e32 v0, v1, v0
	v_mov_b32_e32 v1, 0
	v_lshlrev_b64 v[0:1], 1, v[0:1]
	v_cvt_f16_f32_e32 v3, v3
	v_mov_b32_e32 v2, s13
	v_add_co_u32_e32 v0, vcc, s12, v0
	v_addc_co_u32_e32 v1, vcc, v2, v1, vcc
	global_store_short v[0:1], v3, off
.LBB197_30:
	s_endpgm
	.section	.rodata,"a",@progbits
	.p2align	6, 0x0
	.amdhsa_kernel _ZL8moe_q4_0IN3c104HalfELb0EEvPKvS3_PT_PKiS7_S7_iiiiiii
		.amdhsa_group_segment_fixed_size 22272
		.amdhsa_private_segment_fixed_size 0
		.amdhsa_kernarg_size 76
		.amdhsa_user_sgpr_count 6
		.amdhsa_user_sgpr_private_segment_buffer 1
		.amdhsa_user_sgpr_dispatch_ptr 0
		.amdhsa_user_sgpr_queue_ptr 0
		.amdhsa_user_sgpr_kernarg_segment_ptr 1
		.amdhsa_user_sgpr_dispatch_id 0
		.amdhsa_user_sgpr_flat_scratch_init 0
		.amdhsa_user_sgpr_private_segment_size 0
		.amdhsa_uses_dynamic_stack 0
		.amdhsa_system_sgpr_private_segment_wavefront_offset 0
		.amdhsa_system_sgpr_workgroup_id_x 1
		.amdhsa_system_sgpr_workgroup_id_y 1
		.amdhsa_system_sgpr_workgroup_id_z 0
		.amdhsa_system_sgpr_workgroup_info 0
		.amdhsa_system_vgpr_workitem_id 1
		.amdhsa_next_free_vgpr 123
		.amdhsa_next_free_sgpr 98
		.amdhsa_reserve_vcc 1
		.amdhsa_reserve_flat_scratch 0
		.amdhsa_float_round_mode_32 0
		.amdhsa_float_round_mode_16_64 0
		.amdhsa_float_denorm_mode_32 3
		.amdhsa_float_denorm_mode_16_64 3
		.amdhsa_dx10_clamp 1
		.amdhsa_ieee_mode 1
		.amdhsa_fp16_overflow 0
		.amdhsa_exception_fp_ieee_invalid_op 0
		.amdhsa_exception_fp_denorm_src 0
		.amdhsa_exception_fp_ieee_div_zero 0
		.amdhsa_exception_fp_ieee_overflow 0
		.amdhsa_exception_fp_ieee_underflow 0
		.amdhsa_exception_fp_ieee_inexact 0
		.amdhsa_exception_int_div_zero 0
	.end_amdhsa_kernel
	.section	.text._ZL8moe_q4_0IN3c104HalfELb0EEvPKvS3_PT_PKiS7_S7_iiiiiii,"axG",@progbits,_ZL8moe_q4_0IN3c104HalfELb0EEvPKvS3_PT_PKiS7_S7_iiiiiii,comdat
.Lfunc_end197:
	.size	_ZL8moe_q4_0IN3c104HalfELb0EEvPKvS3_PT_PKiS7_S7_iiiiiii, .Lfunc_end197-_ZL8moe_q4_0IN3c104HalfELb0EEvPKvS3_PT_PKiS7_S7_iiiiiii
                                        ; -- End function
	.set _ZL8moe_q4_0IN3c104HalfELb0EEvPKvS3_PT_PKiS7_S7_iiiiiii.num_vgpr, 123
	.set _ZL8moe_q4_0IN3c104HalfELb0EEvPKvS3_PT_PKiS7_S7_iiiiiii.num_agpr, 0
	.set _ZL8moe_q4_0IN3c104HalfELb0EEvPKvS3_PT_PKiS7_S7_iiiiiii.numbered_sgpr, 24
	.set _ZL8moe_q4_0IN3c104HalfELb0EEvPKvS3_PT_PKiS7_S7_iiiiiii.num_named_barrier, 0
	.set _ZL8moe_q4_0IN3c104HalfELb0EEvPKvS3_PT_PKiS7_S7_iiiiiii.private_seg_size, 0
	.set _ZL8moe_q4_0IN3c104HalfELb0EEvPKvS3_PT_PKiS7_S7_iiiiiii.uses_vcc, 1
	.set _ZL8moe_q4_0IN3c104HalfELb0EEvPKvS3_PT_PKiS7_S7_iiiiiii.uses_flat_scratch, 0
	.set _ZL8moe_q4_0IN3c104HalfELb0EEvPKvS3_PT_PKiS7_S7_iiiiiii.has_dyn_sized_stack, 0
	.set _ZL8moe_q4_0IN3c104HalfELb0EEvPKvS3_PT_PKiS7_S7_iiiiiii.has_recursion, 0
	.set _ZL8moe_q4_0IN3c104HalfELb0EEvPKvS3_PT_PKiS7_S7_iiiiiii.has_indirect_call, 0
	.section	.AMDGPU.csdata,"",@progbits
; Kernel info:
; codeLenInByte = 4384
; TotalNumSgprs: 28
; NumVgprs: 123
; ScratchSize: 0
; MemoryBound: 0
; FloatMode: 240
; IeeeMode: 1
; LDSByteSize: 22272 bytes/workgroup (compile time only)
; SGPRBlocks: 12
; VGPRBlocks: 30
; NumSGPRsForWavesPerEU: 102
; NumVGPRsForWavesPerEU: 123
; Occupancy: 2
; WaveLimiterHint : 1
; COMPUTE_PGM_RSRC2:SCRATCH_EN: 0
; COMPUTE_PGM_RSRC2:USER_SGPR: 6
; COMPUTE_PGM_RSRC2:TRAP_HANDLER: 0
; COMPUTE_PGM_RSRC2:TGID_X_EN: 1
; COMPUTE_PGM_RSRC2:TGID_Y_EN: 1
; COMPUTE_PGM_RSRC2:TGID_Z_EN: 0
; COMPUTE_PGM_RSRC2:TIDIG_COMP_CNT: 1
	.section	.text._ZL8moe_q4_0IN3c104HalfELb1EEvPKvS3_PT_PKiS7_S7_iiiiiii,"axG",@progbits,_ZL8moe_q4_0IN3c104HalfELb1EEvPKvS3_PT_PKiS7_S7_iiiiiii,comdat
	.globl	_ZL8moe_q4_0IN3c104HalfELb1EEvPKvS3_PT_PKiS7_S7_iiiiiii ; -- Begin function _ZL8moe_q4_0IN3c104HalfELb1EEvPKvS3_PT_PKiS7_S7_iiiiiii
	.p2align	8
	.type	_ZL8moe_q4_0IN3c104HalfELb1EEvPKvS3_PT_PKiS7_S7_iiiiiii,@function
_ZL8moe_q4_0IN3c104HalfELb1EEvPKvS3_PT_PKiS7_S7_iiiiiii: ; @_ZL8moe_q4_0IN3c104HalfELb1EEvPKvS3_PT_PKiS7_S7_iiiiiii
; %bb.0:
	s_load_dwordx4 s[0:3], s[4:5], 0x18
	s_mov_b32 s8, s7
	s_mov_b32 s9, 0
	s_lshl_b64 s[10:11], s[8:9], 2
	s_waitcnt lgkmcnt(0)
	s_add_u32 s2, s2, s10
	s_addc_u32 s3, s3, s11
	s_load_dword s2, s[2:3], 0x0
	s_waitcnt lgkmcnt(0)
	s_cmpk_gt_u32 s2, 0xff
	s_cbranch_scc1 .LBB198_30
; %bb.1:
	s_load_dwordx2 s[10:11], s[4:5], 0x28
	s_lshl_b32 s3, s8, 3
	s_waitcnt lgkmcnt(0)
	s_load_dword s7, s[10:11], 0x0
	s_waitcnt lgkmcnt(0)
	s_cmp_gt_u32 s3, s7
	s_cbranch_scc1 .LBB198_30
; %bb.2:
	v_add_u32_e32 v17, s3, v1
	v_mov_b32_e32 v18, 0
	v_lshlrev_b64 v[2:3], 2, v[17:18]
	v_mov_b32_e32 v4, s1
	v_add_co_u32_e32 v2, vcc, s0, v2
	v_addc_co_u32_e32 v3, vcc, v4, v3, vcc
	global_load_dword v21, v[2:3], off
	s_load_dwordx8 s[8:15], s[4:5], 0x30
	s_load_dwordx2 s[16:17], s[4:5], 0x10
	s_waitcnt lgkmcnt(0)
	s_lshl_b32 s15, s6, 7
	v_mov_b32_e32 v47, v18
	v_mov_b32_e32 v50, v18
	s_cmp_lt_i32 s9, 32
	v_mov_b32_e32 v22, v18
	s_cbranch_scc1 .LBB198_21
; %bb.3:
	s_ashr_i32 s0, s9, 31
	s_lshr_b32 s0, s0, 27
	s_load_dwordx4 s[4:7], s[4:5], 0x0
	s_add_i32 s0, s9, s0
	s_ashr_i32 s20, s0, 5
	s_ashr_i32 s0, s12, 31
	s_lshr_b32 s0, s0, 27
	s_add_i32 s0, s12, s0
	s_mul_i32 s2, s2, s8
	s_ashr_i32 s12, s0, 5
	s_ashr_i32 s0, s2, 31
	s_waitcnt lgkmcnt(0)
	s_add_u32 s1, s4, s2
	s_mul_i32 s2, s20, s15
	s_addc_u32 s0, s5, s0
	s_mul_hi_i32 s3, s2, 18
	s_mul_i32 s2, s2, 18
	s_add_u32 s8, s1, s2
	s_addc_u32 s21, s0, s3
	s_not_b32 s0, s15
	s_add_i32 s2, s10, s0
	v_lshlrev_b32_e32 v19, 2, v0
	v_min_i32_e32 v2, s2, v1
	s_movk_i32 s18, 0x84
	v_mul_lo_u32 v25, v2, s20
	v_mad_u64_u32 v[2:3], s[0:1], v2, s18, v[19:20]
	v_add_u32_e32 v3, 8, v1
	v_min_i32_e32 v3, s2, v3
	v_mul_lo_u32 v26, v3, s20
	v_mad_u64_u32 v[3:4], s[0:1], v3, s18, v[19:20]
	v_add_u32_e32 v4, 16, v1
	v_min_i32_e32 v4, s2, v4
	;; [unrolled: 4-line block ×15, first 2 shown]
	v_mul_lo_u32 v40, v17, s20
	v_mad_u64_u32 v[17:18], s[0:1], v17, s18, v[19:20]
	v_lshrrev_b32_e32 v42, 3, v0
	v_lshl_add_u32 v18, v1, 2, v42
	v_min_i32_e32 v20, s2, v18
	v_ashrrev_i32_e32 v44, 31, v20
	v_lshrrev_b32_e32 v44, 30, v44
	v_mul_lo_u32 v43, v20, s20
	v_add_u32_e32 v44, v20, v44
	v_lshlrev_b32_e32 v65, 5, v20
	v_add_u32_e32 v20, 32, v18
	v_min_i32_e32 v20, s2, v20
	v_and_b32_e32 v41, 7, v0
	v_ashrrev_i32_e32 v45, 31, v20
	v_and_b32_e32 v44, -4, v44
	v_lshlrev_b32_e32 v47, 2, v41
	s_movk_i32 s0, 0x4200
	v_lshrrev_b32_e32 v45, 30, v45
	v_add3_u32 v50, v44, v47, s0
	v_mul_lo_u32 v44, v20, s20
	v_add_u32_e32 v45, v20, v45
	v_lshlrev_b32_e32 v67, 5, v20
	v_add_u32_e32 v20, 64, v18
	v_min_i32_e32 v20, s2, v20
	v_ashrrev_i32_e32 v46, 31, v20
	v_add_u32_e32 v18, 0x60, v18
	v_and_b32_e32 v45, -4, v45
	v_lshrrev_b32_e32 v46, 30, v46
	v_min_i32_e32 v18, s2, v18
	v_add3_u32 v66, v45, v47, s0
	v_mul_lo_u32 v45, v20, s20
	v_add_u32_e32 v46, v20, v46
	v_lshlrev_b32_e32 v69, 5, v20
	v_ashrrev_i32_e32 v20, 31, v18
	v_lshrrev_b32_e32 v20, 30, v20
	v_add_u32_e32 v20, v18, v20
	v_and_b32_e32 v46, -4, v46
	v_and_b32_e32 v20, -4, v20
	s_abs_i32 s2, s14
	v_add3_u32 v68, v46, v47, s0
	v_add3_u32 v47, v20, v47, s0
	v_cvt_f32_u32_e32 v20, s2
	s_sub_i32 s0, 0, s2
	v_mov_b32_e32 v48, 0x5280
	v_mov_b32_e32 v51, 0x5680
	v_rcp_iflag_f32_e32 v20, v20
	v_lshl_add_u32 v48, v1, 7, v48
	v_lshl_add_u32 v1, v1, 4, v51
	v_and_b32_e32 v24, 12, v19
	v_mul_f32_e32 v20, 0x4f7ffffe, v20
	v_cvt_u32_f32_e32 v20, v20
	v_and_b32_e32 v55, 28, v19
	v_add_u32_e32 v51, v1, v19
	s_waitcnt vmcnt(0)
	v_xor_b32_e32 v59, s14, v21
	v_mul_lo_u32 v52, s0, v20
	v_ashrrev_i32_e32 v59, 31, v59
	v_mul_lo_u32 v46, v18, s20
	v_add_u32_e32 v58, 32, v0
	v_mul_hi_u32 v19, v20, v52
	v_sub_u32_e32 v52, 0, v21
	v_max_i32_e32 v54, v21, v52
	v_add_u32_e32 v57, 64, v0
	v_add_u32_e32 v19, v20, v19
	v_mul_hi_u32 v19, v54, v19
	v_add_u32_e32 v56, 0x60, v0
	v_lshrrev_b32_e32 v53, 3, v58
	v_and_b32_e32 v56, 0x1fc, v56
	v_mul_lo_u32 v20, v19, s2
	v_and_b32_e32 v57, 0x1fc, v57
	v_and_b32_e32 v58, 0x1fc, v58
	;; [unrolled: 1-line block ×3, first 2 shown]
	v_sub_u32_e32 v20, v54, v20
	v_add_u32_e32 v54, 1, v19
	v_cmp_le_u32_e64 s[0:1], s2, v20
	v_cndmask_b32_e64 v19, v19, v54, s[0:1]
	v_subrev_u32_e32 v54, s2, v20
	v_cndmask_b32_e64 v20, v20, v54, s[0:1]
	v_add_u32_e32 v54, 1, v19
	v_cmp_le_u32_e64 s[0:1], s2, v20
	v_cndmask_b32_e64 v19, v19, v54, s[0:1]
	v_xor_b32_e32 v19, v19, v59
	v_sub_u32_e32 v19, v19, v59
	v_mul_lo_u32 v54, v19, s12
	v_lshlrev_b32_e32 v59, 5, v0
	v_lshlrev_b32_e32 v18, 5, v18
	v_and_b32_e32 v49, 31, v0
	v_cmp_gt_u32_e32 vcc, 4, v0
	v_cmp_gt_i32_e64 s[0:1], s11, v19
	v_mov_b32_e32 v20, s7
	v_add_co_u32_e64 v19, s[2:3], s6, v55
	v_add_u32_e32 v61, v59, v56
	v_add_u32_e32 v62, v59, v57
	v_add_u32_e32 v63, v59, v58
	v_add_u32_e32 v64, v59, v60
	v_lshrrev_b32_e32 v23, 2, v0
	v_mov_b32_e32 v22, 0
	v_lshl_or_b32 v49, v49, 2, v48
	v_mul_u32_u24_e32 v52, 0x84, v0
	s_mov_b32 s10, 0
	v_addc_co_u32_e64 v20, s[2:3], 0, v20, s[2:3]
	s_and_b64 s[4:5], vcc, s[0:1]
	v_ashrrev_i32_e32 v55, 31, v54
	v_add_u32_e32 v56, 0x4e00, v61
	v_add_u32_e32 v57, 0x4a00, v62
	;; [unrolled: 1-line block ×4, first 2 shown]
	v_mad_u32_u24 v60, v0, s18, 64
	v_add_u32_e32 v61, 0x4e10, v61
	v_add_u32_e32 v62, 0x4a10, v62
	;; [unrolled: 1-line block ×8, first 2 shown]
	v_mov_b32_e32 v50, 0
	v_mov_b32_e32 v47, 0
	v_mov_b32_e32 v18, 0
	s_branch .LBB198_5
.LBB198_4:                              ;   in Loop: Header=BB198_5 Depth=1
	s_add_i32 s10, s10, 8
	s_cmp_ge_i32 s10, s20
	s_cbranch_scc1 .LBB198_21
.LBB198_5:                              ; =>This Loop Header: Depth=1
                                        ;     Child Loop BB198_11 Depth 2
                                        ;     Child Loop BB198_19 Depth 2
	s_mul_i32 s3, s10, 18
	s_mul_hi_u32 s2, s10, 18
	s_add_u32 s18, s8, s3
	s_addc_u32 s19, s21, s2
	v_mad_u64_u32 v[69:70], s[2:3], v23, 18, s[18:19]
	v_mad_i64_i32 v[71:72], s[2:3], v25, 18, v[69:70]
	v_mad_i64_i32 v[73:74], s[2:3], v26, 18, v[69:70]
	v_add_co_u32_e64 v71, s[2:3], v71, v24
	v_addc_co_u32_e64 v72, s[2:3], 0, v72, s[2:3]
	v_add_co_u32_e64 v73, s[2:3], v73, v24
	v_addc_co_u32_e64 v74, s[2:3], 0, v74, s[2:3]
	v_mad_i64_i32 v[75:76], s[2:3], v27, 18, v[69:70]
	v_mad_i64_i32 v[77:78], s[2:3], v28, 18, v[69:70]
	v_add_co_u32_e64 v75, s[2:3], v75, v24
	v_addc_co_u32_e64 v76, s[2:3], 0, v76, s[2:3]
	v_add_co_u32_e64 v77, s[2:3], v77, v24
	v_addc_co_u32_e64 v78, s[2:3], 0, v78, s[2:3]
	v_mad_i64_i32 v[79:80], s[2:3], v29, 18, v[69:70]
	v_mad_i64_i32 v[81:82], s[2:3], v30, 18, v[69:70]
	v_add_co_u32_e64 v79, s[2:3], v79, v24
	v_addc_co_u32_e64 v80, s[2:3], 0, v80, s[2:3]
	v_add_co_u32_e64 v81, s[2:3], v81, v24
	v_addc_co_u32_e64 v82, s[2:3], 0, v82, s[2:3]
	v_mad_i64_i32 v[83:84], s[2:3], v31, 18, v[69:70]
	v_mad_i64_i32 v[85:86], s[2:3], v32, 18, v[69:70]
	v_add_co_u32_e64 v83, s[2:3], v83, v24
	v_addc_co_u32_e64 v84, s[2:3], 0, v84, s[2:3]
	v_add_co_u32_e64 v85, s[2:3], v85, v24
	v_addc_co_u32_e64 v86, s[2:3], 0, v86, s[2:3]
	global_load_dword v87, v[71:72], off offset:2
	global_load_dword v88, v[73:74], off offset:2
	;; [unrolled: 1-line block ×8, first 2 shown]
	v_mad_i64_i32 v[71:72], s[2:3], v33, 18, v[69:70]
	v_mad_i64_i32 v[73:74], s[2:3], v34, 18, v[69:70]
	v_add_co_u32_e64 v71, s[2:3], v71, v24
	v_addc_co_u32_e64 v72, s[2:3], 0, v72, s[2:3]
	v_add_co_u32_e64 v73, s[2:3], v73, v24
	v_addc_co_u32_e64 v74, s[2:3], 0, v74, s[2:3]
	v_mad_i64_i32 v[75:76], s[2:3], v35, 18, v[69:70]
	v_mad_i64_i32 v[77:78], s[2:3], v36, 18, v[69:70]
	v_add_co_u32_e64 v75, s[2:3], v75, v24
	v_addc_co_u32_e64 v76, s[2:3], 0, v76, s[2:3]
	v_add_co_u32_e64 v77, s[2:3], v77, v24
	v_addc_co_u32_e64 v78, s[2:3], 0, v78, s[2:3]
	;; [unrolled: 6-line block ×4, first 2 shown]
	v_mad_u64_u32 v[85:86], s[2:3], v41, 18, s[18:19]
	global_load_dword v95, v[71:72], off offset:2
	global_load_dword v96, v[73:74], off offset:2
	s_nop 0
	global_load_dword v75, v[75:76], off offset:2
	s_nop 0
	;; [unrolled: 2-line block ×3, first 2 shown]
	global_load_dword v77, v[79:80], off offset:2
	global_load_dword v78, v[81:82], off offset:2
	s_nop 0
	global_load_dword v79, v[83:84], off offset:2
	global_load_dword v80, v[69:70], off offset:2
	s_lshl_b32 s18, s10, 5
	v_mad_i64_i32 v[69:70], s[2:3], v43, 18, v[85:86]
	v_mad_i64_i32 v[71:72], s[2:3], v44, 18, v[85:86]
	;; [unrolled: 1-line block ×3, first 2 shown]
	global_load_ushort v81, v[69:70], off
	s_nop 0
	global_load_ushort v71, v[71:72], off
	v_mad_i64_i32 v[69:70], s[2:3], v46, 18, v[85:86]
	global_load_ushort v72, v[73:74], off
	s_nop 0
	global_load_ushort v69, v[69:70], off
	s_cmp_lt_i32 s18, s9
	s_waitcnt vmcnt(19)
	ds_write_b32 v2, v87
	s_waitcnt vmcnt(18)
	ds_write_b32 v3, v88
	;; [unrolled: 2-line block ×16, first 2 shown]
	s_waitcnt vmcnt(3)
	v_cvt_f32_f16_e32 v70, v81
	s_waitcnt vmcnt(2)
	v_cvt_f32_f16_e32 v71, v71
	ds_write_b32 v65, v70
	ds_write_b32 v66, v71
	s_waitcnt vmcnt(1)
	v_cvt_f32_f16_e32 v72, v72
	s_waitcnt vmcnt(0)
	v_cvt_f32_f16_e32 v69, v69
	ds_write_b32 v67, v72
	ds_write_b32 v68, v69
	s_cbranch_scc0 .LBB198_4
; %bb.6:                                ;   in Loop: Header=BB198_5 Depth=1
	v_add_u32_e32 v69, s10, v42
	v_cmp_gt_i32_e64 s[2:3], s12, v69
	s_and_b64 s[22:23], s[0:1], s[2:3]
	s_and_saveexec_b64 s[2:3], s[22:23]
	s_cbranch_execz .LBB198_8
; %bb.7:                                ;   in Loop: Header=BB198_5 Depth=1
	v_add_u32_e32 v69, v54, v69
	v_mad_i64_i32 v[69:70], s[22:23], v69, 36, v[19:20]
	global_load_dword v69, v[69:70], off offset:4
	s_waitcnt vmcnt(0)
	ds_write_b32 v49, v69
.LBB198_8:                              ;   in Loop: Header=BB198_5 Depth=1
	s_or_b64 exec, exec, s[2:3]
	v_add_u32_e32 v69, s10, v0
	v_cmp_gt_i32_e64 s[2:3], s12, v69
	s_and_b64 s[22:23], s[4:5], s[2:3]
	s_and_saveexec_b64 s[2:3], s[22:23]
	s_cbranch_execz .LBB198_10
; %bb.9:                                ;   in Loop: Header=BB198_5 Depth=1
	v_add_u32_e32 v70, v54, v69
	v_mad_i64_i32 v[70:71], s[22:23], v70, 36, s[6:7]
	global_load_dword v70, v[70:71], off
	s_waitcnt vmcnt(0)
	ds_write_b32 v51, v70
.LBB198_10:                             ;   in Loop: Header=BB198_5 Depth=1
	s_or_b64 exec, exec, s[2:3]
	s_mov_b32 s2, -4
	v_mov_b32_e32 v70, v48
	v_mov_b32_e32 v71, v1
	;; [unrolled: 1-line block ×7, first 2 shown]
	s_waitcnt lgkmcnt(0)
	s_barrier
.LBB198_11:                             ;   Parent Loop BB198_5 Depth=1
                                        ; =>  This Inner Loop Header: Depth=2
	v_add_u32_e32 v89, 0x1080, v76
	v_add_u32_e32 v91, 0x1088, v76
	;; [unrolled: 1-line block ×6, first 2 shown]
	ds_read_b128 v[77:80], v70
	ds_read_b128 v[81:84], v70 offset:16
	ds_read2_b32 v[85:86], v76 offset0:2 offset1:3
	ds_read_b32 v101, v71
	ds_read_b32 v102, v72
	ds_read2_b32 v[87:88], v76 offset1:1
	ds_read_b32 v103, v73
	ds_read_b32 v104, v74
	ds_read_b32 v105, v75
	ds_read2_b32 v[89:90], v89 offset1:1
	ds_read2_b32 v[91:92], v91 offset1:1
	ds_read2_b32 v[93:94], v93 offset1:1
	ds_read2_b32 v[95:96], v95 offset1:1
	ds_read2_b32 v[97:98], v97 offset1:1
	ds_read2_b32 v[99:100], v99 offset1:1
	s_waitcnt lgkmcnt(9)
	v_and_b32_e32 v107, 0xf0f0f0f, v87
	v_lshrrev_b32_e32 v87, 4, v87
	v_and_b32_e32 v87, 0xf0f0f0f, v87
	v_dot4_i32_i8 v107, v107, v77, 0
	s_waitcnt lgkmcnt(5)
	v_and_b32_e32 v111, 0xf0f0f0f, v89
	v_lshrrev_b32_e32 v89, 4, v89
	s_waitcnt lgkmcnt(3)
	v_and_b32_e32 v115, 0xf0f0f0f, v93
	v_lshrrev_b32_e32 v93, 4, v93
	;; [unrolled: 3-line block ×3, first 2 shown]
	v_and_b32_e32 v108, 0xf0f0f0f, v88
	v_lshrrev_b32_e32 v88, 4, v88
	v_dot4_i32_i8 v87, v87, v81, v107
	v_and_b32_e32 v89, 0xf0f0f0f, v89
	v_dot4_i32_i8 v107, v111, v77, 0
	v_and_b32_e32 v93, 0xf0f0f0f, v93
	;; [unrolled: 2-line block ×4, first 2 shown]
	v_and_b32_e32 v112, 0xf0f0f0f, v90
	v_lshrrev_b32_e32 v90, 4, v90
	v_and_b32_e32 v116, 0xf0f0f0f, v94
	v_lshrrev_b32_e32 v94, 4, v94
	;; [unrolled: 2-line block ×3, first 2 shown]
	v_dot4_i32_i8 v87, v108, v78, v87
	v_dot4_i32_i8 v89, v89, v81, v107
	;; [unrolled: 1-line block ×4, first 2 shown]
	v_and_b32_e32 v109, 0xf0f0f0f, v85
	v_lshrrev_b32_e32 v85, 4, v85
	v_and_b32_e32 v90, 0xf0f0f0f, v90
	v_and_b32_e32 v94, 0xf0f0f0f, v94
	;; [unrolled: 1-line block ×3, first 2 shown]
	v_dot4_i32_i8 v87, v88, v82, v87
	v_dot4_i32_i8 v88, v112, v78, v89
	;; [unrolled: 1-line block ×4, first 2 shown]
	v_and_b32_e32 v85, 0xf0f0f0f, v85
	v_and_b32_e32 v113, 0xf0f0f0f, v91
	v_lshrrev_b32_e32 v91, 4, v91
	v_and_b32_e32 v117, 0xf0f0f0f, v95
	v_lshrrev_b32_e32 v95, 4, v95
	s_waitcnt lgkmcnt(0)
	v_and_b32_e32 v121, 0xf0f0f0f, v99
	v_lshrrev_b32_e32 v99, 4, v99
	v_dot4_i32_i8 v78, v109, v79, v87
	v_dot4_i32_i8 v87, v90, v82, v88
	;; [unrolled: 1-line block ×4, first 2 shown]
	v_and_b32_e32 v110, 0xf0f0f0f, v86
	v_lshrrev_b32_e32 v86, 4, v86
	v_and_b32_e32 v91, 0xf0f0f0f, v91
	v_and_b32_e32 v95, 0xf0f0f0f, v95
	;; [unrolled: 1-line block ×3, first 2 shown]
	v_dot4_i32_i8 v78, v85, v83, v78
	v_dot4_i32_i8 v82, v113, v79, v87
	;; [unrolled: 1-line block ×4, first 2 shown]
	v_and_b32_e32 v86, 0xf0f0f0f, v86
	v_and_b32_e32 v114, 0xf0f0f0f, v92
	v_lshrrev_b32_e32 v92, 4, v92
	v_and_b32_e32 v118, 0xf0f0f0f, v96
	v_lshrrev_b32_e32 v96, 4, v96
	;; [unrolled: 2-line block ×3, first 2 shown]
	v_dot4_i32_i8 v78, v110, v80, v78
	v_dot4_i32_i8 v79, v91, v83, v82
	;; [unrolled: 1-line block ×4, first 2 shown]
	v_cvt_f32_f16_sdwa v106, v101 dst_sel:DWORD dst_unused:UNUSED_PAD src0_sel:WORD_1
	v_and_b32_e32 v92, 0xf0f0f0f, v92
	v_and_b32_e32 v96, 0xf0f0f0f, v96
	;; [unrolled: 1-line block ×3, first 2 shown]
	v_dot4_i32_i8 v78, v86, v84, v78
	v_dot4_i32_i8 v79, v114, v80, v79
	;; [unrolled: 1-line block ×4, first 2 shown]
	v_cvt_f32_i32_e32 v78, v78
	v_dot4_i32_i8 v79, v92, v84, v79
	v_dot4_i32_i8 v80, v96, v84, v82
	;; [unrolled: 1-line block ×3, first 2 shown]
	v_cvt_f32_i32_e32 v79, v79
	v_cvt_f32_i32_e32 v80, v80
	;; [unrolled: 1-line block ×3, first 2 shown]
	v_mul_f32_e32 v81, 0xc1000000, v106
	v_fma_mix_f32 v78, v101, v78, v81 op_sel_hi:[1,0,0]
	s_add_i32 s2, s2, 4
	v_fmac_f32_e32 v22, v102, v78
	v_fma_mix_f32 v78, v101, v79, v81 op_sel_hi:[1,0,0]
	v_fma_mix_f32 v79, v101, v80, v81 op_sel_hi:[1,0,0]
	;; [unrolled: 1-line block ×3, first 2 shown]
	v_add_u32_e32 v76, 16, v76
	v_add_u32_e32 v75, 4, v75
	;; [unrolled: 1-line block ×7, first 2 shown]
	s_cmp_lt_u32 s2, 12
	v_fmac_f32_e32 v50, v103, v78
	v_fmac_f32_e32 v47, v104, v79
	;; [unrolled: 1-line block ×3, first 2 shown]
	s_cbranch_scc1 .LBB198_11
; %bb.12:                               ;   in Loop: Header=BB198_5 Depth=1
	s_bitset1_b32 s18, 7
	s_cmp_ge_i32 s18, s9
	s_barrier
	s_cbranch_scc1 .LBB198_4
; %bb.13:                               ;   in Loop: Header=BB198_5 Depth=1
	v_add_u32_e32 v70, s10, v53
	v_cmp_gt_i32_e64 s[2:3], s12, v70
	s_and_b64 s[18:19], s[0:1], s[2:3]
	s_and_saveexec_b64 s[2:3], s[18:19]
	s_cbranch_execz .LBB198_15
; %bb.14:                               ;   in Loop: Header=BB198_5 Depth=1
	v_add_u32_e32 v70, v54, v70
	v_mad_i64_i32 v[70:71], s[18:19], v70, 36, v[19:20]
	global_load_dword v70, v[70:71], off offset:4
	s_waitcnt vmcnt(0)
	ds_write_b32 v49, v70
.LBB198_15:                             ;   in Loop: Header=BB198_5 Depth=1
	s_or_b64 exec, exec, s[2:3]
	s_and_saveexec_b64 s[18:19], vcc
	s_cbranch_execz .LBB198_18
; %bb.16:                               ;   in Loop: Header=BB198_5 Depth=1
	v_or_b32_e32 v70, 4, v69
	v_cmp_gt_i32_e64 s[2:3], s12, v70
	s_and_b64 s[2:3], s[0:1], s[2:3]
	s_and_b64 exec, exec, s[2:3]
	s_cbranch_execz .LBB198_18
; %bb.17:                               ;   in Loop: Header=BB198_5 Depth=1
	v_ashrrev_i32_e32 v70, 31, v69
	v_add_co_u32_e64 v69, s[2:3], v54, v69
	v_addc_co_u32_e64 v71, s[2:3], v55, v70, s[2:3]
	v_mad_u64_u32 v[69:70], s[2:3], v69, 36, s[6:7]
	v_mad_i32_i24 v70, v71, 36, v70
	global_load_dword v69, v[69:70], off offset:144
	s_waitcnt vmcnt(0)
	ds_write_b32 v51, v69
.LBB198_18:                             ;   in Loop: Header=BB198_5 Depth=1
	s_or_b64 exec, exec, s[18:19]
	s_mov_b32 s2, 12
	v_mov_b32_e32 v69, v1
	v_mov_b32_e32 v70, v48
	;; [unrolled: 1-line block ×7, first 2 shown]
	s_waitcnt lgkmcnt(0)
	s_barrier
.LBB198_19:                             ;   Parent Loop BB198_5 Depth=1
                                        ; =>  This Inner Loop Header: Depth=2
	v_add_u32_e32 v88, 0x1080, v75
	v_add_u32_e32 v90, 0x1088, v75
	v_add_u32_e32 v92, 0x2100, v75
	v_add_u32_e32 v94, 0x2108, v75
	v_add_u32_e32 v96, 0x3180, v75
	v_add_u32_e32 v98, 0x3188, v75
	ds_read_b128 v[76:79], v70
	ds_read_b128 v[80:83], v70 offset:16
	ds_read_b32 v100, v69
	ds_read2_b32 v[84:85], v75 offset0:2 offset1:3
	ds_read_b32 v101, v71
	ds_read2_b32 v[86:87], v75 offset1:1
	ds_read_b32 v102, v72
	ds_read_b32 v103, v73
	;; [unrolled: 1-line block ×3, first 2 shown]
	ds_read2_b32 v[88:89], v88 offset1:1
	ds_read2_b32 v[90:91], v90 offset1:1
	;; [unrolled: 1-line block ×6, first 2 shown]
	s_waitcnt lgkmcnt(9)
	v_and_b32_e32 v106, 0xf0f0f0f, v86
	v_lshrrev_b32_e32 v86, 4, v86
	v_and_b32_e32 v86, 0xf0f0f0f, v86
	v_dot4_i32_i8 v106, v106, v76, 0
	s_waitcnt lgkmcnt(5)
	v_and_b32_e32 v110, 0xf0f0f0f, v88
	v_lshrrev_b32_e32 v88, 4, v88
	s_waitcnt lgkmcnt(3)
	v_and_b32_e32 v114, 0xf0f0f0f, v92
	v_lshrrev_b32_e32 v92, 4, v92
	;; [unrolled: 3-line block ×3, first 2 shown]
	v_and_b32_e32 v107, 0xf0f0f0f, v87
	v_lshrrev_b32_e32 v87, 4, v87
	v_dot4_i32_i8 v86, v86, v80, v106
	v_and_b32_e32 v88, 0xf0f0f0f, v88
	v_dot4_i32_i8 v106, v110, v76, 0
	v_and_b32_e32 v92, 0xf0f0f0f, v92
	;; [unrolled: 2-line block ×4, first 2 shown]
	v_and_b32_e32 v111, 0xf0f0f0f, v89
	v_lshrrev_b32_e32 v89, 4, v89
	v_and_b32_e32 v115, 0xf0f0f0f, v93
	v_lshrrev_b32_e32 v93, 4, v93
	;; [unrolled: 2-line block ×3, first 2 shown]
	v_dot4_i32_i8 v86, v107, v77, v86
	v_dot4_i32_i8 v88, v88, v80, v106
	;; [unrolled: 1-line block ×4, first 2 shown]
	v_and_b32_e32 v108, 0xf0f0f0f, v84
	v_lshrrev_b32_e32 v84, 4, v84
	v_and_b32_e32 v89, 0xf0f0f0f, v89
	v_and_b32_e32 v93, 0xf0f0f0f, v93
	;; [unrolled: 1-line block ×3, first 2 shown]
	v_dot4_i32_i8 v86, v87, v81, v86
	v_dot4_i32_i8 v87, v111, v77, v88
	;; [unrolled: 1-line block ×4, first 2 shown]
	v_and_b32_e32 v84, 0xf0f0f0f, v84
	v_and_b32_e32 v112, 0xf0f0f0f, v90
	v_lshrrev_b32_e32 v90, 4, v90
	v_and_b32_e32 v116, 0xf0f0f0f, v94
	v_lshrrev_b32_e32 v94, 4, v94
	s_waitcnt lgkmcnt(0)
	v_and_b32_e32 v120, 0xf0f0f0f, v98
	v_lshrrev_b32_e32 v98, 4, v98
	v_dot4_i32_i8 v77, v108, v78, v86
	v_dot4_i32_i8 v86, v89, v81, v87
	;; [unrolled: 1-line block ×4, first 2 shown]
	v_and_b32_e32 v109, 0xf0f0f0f, v85
	v_lshrrev_b32_e32 v85, 4, v85
	v_and_b32_e32 v90, 0xf0f0f0f, v90
	v_and_b32_e32 v94, 0xf0f0f0f, v94
	;; [unrolled: 1-line block ×3, first 2 shown]
	v_dot4_i32_i8 v77, v84, v82, v77
	v_dot4_i32_i8 v81, v112, v78, v86
	;; [unrolled: 1-line block ×4, first 2 shown]
	v_and_b32_e32 v85, 0xf0f0f0f, v85
	v_and_b32_e32 v113, 0xf0f0f0f, v91
	v_lshrrev_b32_e32 v91, 4, v91
	v_and_b32_e32 v117, 0xf0f0f0f, v95
	v_lshrrev_b32_e32 v95, 4, v95
	;; [unrolled: 2-line block ×3, first 2 shown]
	v_dot4_i32_i8 v77, v109, v79, v77
	v_dot4_i32_i8 v78, v90, v82, v81
	;; [unrolled: 1-line block ×4, first 2 shown]
	v_cvt_f32_f16_sdwa v105, v100 dst_sel:DWORD dst_unused:UNUSED_PAD src0_sel:WORD_1
	v_and_b32_e32 v91, 0xf0f0f0f, v91
	v_and_b32_e32 v95, 0xf0f0f0f, v95
	;; [unrolled: 1-line block ×3, first 2 shown]
	v_dot4_i32_i8 v77, v85, v83, v77
	v_dot4_i32_i8 v78, v113, v79, v78
	;; [unrolled: 1-line block ×4, first 2 shown]
	v_cvt_f32_i32_e32 v77, v77
	v_dot4_i32_i8 v78, v91, v83, v78
	v_dot4_i32_i8 v79, v95, v83, v81
	v_dot4_i32_i8 v76, v99, v83, v76
	v_cvt_f32_i32_e32 v78, v78
	v_cvt_f32_i32_e32 v79, v79
	;; [unrolled: 1-line block ×3, first 2 shown]
	v_mul_f32_e32 v80, 0xc1000000, v105
	v_fma_mix_f32 v77, v100, v77, v80 op_sel_hi:[1,0,0]
	s_add_i32 s2, s2, 4
	v_fmac_f32_e32 v22, v101, v77
	v_fma_mix_f32 v77, v100, v78, v80 op_sel_hi:[1,0,0]
	v_fma_mix_f32 v78, v100, v79, v80 op_sel_hi:[1,0,0]
	;; [unrolled: 1-line block ×3, first 2 shown]
	v_add_u32_e32 v75, 16, v75
	v_add_u32_e32 v74, 4, v74
	;; [unrolled: 1-line block ×7, first 2 shown]
	s_cmp_lt_u32 s2, 28
	v_fmac_f32_e32 v50, v102, v77
	v_fmac_f32_e32 v47, v103, v78
	;; [unrolled: 1-line block ×3, first 2 shown]
	s_cbranch_scc1 .LBB198_19
; %bb.20:                               ;   in Loop: Header=BB198_5 Depth=1
	s_barrier
	s_branch .LBB198_4
.LBB198_21:
	s_mul_i32 s0, s14, s11
	s_waitcnt vmcnt(0)
	v_cmp_gt_i32_e32 vcc, s0, v21
	s_and_saveexec_b64 s[0:1], vcc
	s_cbranch_execz .LBB198_30
; %bb.22:
	v_mul_lo_u32 v1, v21, s13
	v_add_u32_e32 v0, s15, v0
	v_cmp_gt_u32_e32 vcc, s13, v0
	s_and_saveexec_b64 s[0:1], vcc
	s_cbranch_execz .LBB198_24
; %bb.23:
	v_add_u32_e32 v2, v1, v0
	v_mov_b32_e32 v3, 0
	v_lshlrev_b64 v[2:3], 1, v[2:3]
	v_cvt_f16_f32_e32 v5, v22
	v_mov_b32_e32 v4, s17
	v_add_co_u32_e32 v2, vcc, s16, v2
	v_addc_co_u32_e32 v3, vcc, v4, v3, vcc
	global_store_short v[2:3], v5, off
.LBB198_24:
	s_or_b64 exec, exec, s[0:1]
	v_add_u32_e32 v2, 32, v0
	v_cmp_gt_u32_e32 vcc, s13, v2
	s_and_saveexec_b64 s[0:1], vcc
	s_cbranch_execz .LBB198_26
; %bb.25:
	v_add_u32_e32 v2, v1, v2
	v_mov_b32_e32 v3, 0
	v_lshlrev_b64 v[2:3], 1, v[2:3]
	v_cvt_f16_f32_e32 v5, v50
	v_mov_b32_e32 v4, s17
	v_add_co_u32_e32 v2, vcc, s16, v2
	v_addc_co_u32_e32 v3, vcc, v4, v3, vcc
	global_store_short v[2:3], v5, off
.LBB198_26:
	s_or_b64 exec, exec, s[0:1]
	;; [unrolled: 15-line block ×3, first 2 shown]
	v_add_u32_e32 v0, 0x60, v0
	v_cmp_gt_u32_e32 vcc, s13, v0
	s_and_b64 exec, exec, vcc
	s_cbranch_execz .LBB198_30
; %bb.29:
	v_add_u32_e32 v0, v1, v0
	v_mov_b32_e32 v1, 0
	v_lshlrev_b64 v[0:1], 1, v[0:1]
	v_cvt_f16_f32_e32 v3, v18
	v_mov_b32_e32 v2, s17
	v_add_co_u32_e32 v0, vcc, s16, v0
	v_addc_co_u32_e32 v1, vcc, v2, v1, vcc
	global_store_short v[0:1], v3, off
.LBB198_30:
	s_endpgm
	.section	.rodata,"a",@progbits
	.p2align	6, 0x0
	.amdhsa_kernel _ZL8moe_q4_0IN3c104HalfELb1EEvPKvS3_PT_PKiS7_S7_iiiiiii
		.amdhsa_group_segment_fixed_size 22272
		.amdhsa_private_segment_fixed_size 0
		.amdhsa_kernarg_size 76
		.amdhsa_user_sgpr_count 6
		.amdhsa_user_sgpr_private_segment_buffer 1
		.amdhsa_user_sgpr_dispatch_ptr 0
		.amdhsa_user_sgpr_queue_ptr 0
		.amdhsa_user_sgpr_kernarg_segment_ptr 1
		.amdhsa_user_sgpr_dispatch_id 0
		.amdhsa_user_sgpr_flat_scratch_init 0
		.amdhsa_user_sgpr_private_segment_size 0
		.amdhsa_uses_dynamic_stack 0
		.amdhsa_system_sgpr_private_segment_wavefront_offset 0
		.amdhsa_system_sgpr_workgroup_id_x 1
		.amdhsa_system_sgpr_workgroup_id_y 1
		.amdhsa_system_sgpr_workgroup_id_z 0
		.amdhsa_system_sgpr_workgroup_info 0
		.amdhsa_system_vgpr_workitem_id 1
		.amdhsa_next_free_vgpr 123
		.amdhsa_next_free_sgpr 98
		.amdhsa_reserve_vcc 1
		.amdhsa_reserve_flat_scratch 0
		.amdhsa_float_round_mode_32 0
		.amdhsa_float_round_mode_16_64 0
		.amdhsa_float_denorm_mode_32 3
		.amdhsa_float_denorm_mode_16_64 3
		.amdhsa_dx10_clamp 1
		.amdhsa_ieee_mode 1
		.amdhsa_fp16_overflow 0
		.amdhsa_exception_fp_ieee_invalid_op 0
		.amdhsa_exception_fp_denorm_src 0
		.amdhsa_exception_fp_ieee_div_zero 0
		.amdhsa_exception_fp_ieee_overflow 0
		.amdhsa_exception_fp_ieee_underflow 0
		.amdhsa_exception_fp_ieee_inexact 0
		.amdhsa_exception_int_div_zero 0
	.end_amdhsa_kernel
	.section	.text._ZL8moe_q4_0IN3c104HalfELb1EEvPKvS3_PT_PKiS7_S7_iiiiiii,"axG",@progbits,_ZL8moe_q4_0IN3c104HalfELb1EEvPKvS3_PT_PKiS7_S7_iiiiiii,comdat
.Lfunc_end198:
	.size	_ZL8moe_q4_0IN3c104HalfELb1EEvPKvS3_PT_PKiS7_S7_iiiiiii, .Lfunc_end198-_ZL8moe_q4_0IN3c104HalfELb1EEvPKvS3_PT_PKiS7_S7_iiiiiii
                                        ; -- End function
	.set _ZL8moe_q4_0IN3c104HalfELb1EEvPKvS3_PT_PKiS7_S7_iiiiiii.num_vgpr, 123
	.set _ZL8moe_q4_0IN3c104HalfELb1EEvPKvS3_PT_PKiS7_S7_iiiiiii.num_agpr, 0
	.set _ZL8moe_q4_0IN3c104HalfELb1EEvPKvS3_PT_PKiS7_S7_iiiiiii.numbered_sgpr, 24
	.set _ZL8moe_q4_0IN3c104HalfELb1EEvPKvS3_PT_PKiS7_S7_iiiiiii.num_named_barrier, 0
	.set _ZL8moe_q4_0IN3c104HalfELb1EEvPKvS3_PT_PKiS7_S7_iiiiiii.private_seg_size, 0
	.set _ZL8moe_q4_0IN3c104HalfELb1EEvPKvS3_PT_PKiS7_S7_iiiiiii.uses_vcc, 1
	.set _ZL8moe_q4_0IN3c104HalfELb1EEvPKvS3_PT_PKiS7_S7_iiiiiii.uses_flat_scratch, 0
	.set _ZL8moe_q4_0IN3c104HalfELb1EEvPKvS3_PT_PKiS7_S7_iiiiiii.has_dyn_sized_stack, 0
	.set _ZL8moe_q4_0IN3c104HalfELb1EEvPKvS3_PT_PKiS7_S7_iiiiiii.has_recursion, 0
	.set _ZL8moe_q4_0IN3c104HalfELb1EEvPKvS3_PT_PKiS7_S7_iiiiiii.has_indirect_call, 0
	.section	.AMDGPU.csdata,"",@progbits
; Kernel info:
; codeLenInByte = 4648
; TotalNumSgprs: 28
; NumVgprs: 123
; ScratchSize: 0
; MemoryBound: 0
; FloatMode: 240
; IeeeMode: 1
; LDSByteSize: 22272 bytes/workgroup (compile time only)
; SGPRBlocks: 12
; VGPRBlocks: 30
; NumSGPRsForWavesPerEU: 102
; NumVGPRsForWavesPerEU: 123
; Occupancy: 2
; WaveLimiterHint : 1
; COMPUTE_PGM_RSRC2:SCRATCH_EN: 0
; COMPUTE_PGM_RSRC2:USER_SGPR: 6
; COMPUTE_PGM_RSRC2:TRAP_HANDLER: 0
; COMPUTE_PGM_RSRC2:TGID_X_EN: 1
; COMPUTE_PGM_RSRC2:TGID_Y_EN: 1
; COMPUTE_PGM_RSRC2:TGID_Z_EN: 0
; COMPUTE_PGM_RSRC2:TIDIG_COMP_CNT: 1
	.section	.text._ZL8moe_q4_1IN3c104HalfELb0EEvPKvS3_PT_PKiS7_S7_iiiiiii,"axG",@progbits,_ZL8moe_q4_1IN3c104HalfELb0EEvPKvS3_PT_PKiS7_S7_iiiiiii,comdat
	.globl	_ZL8moe_q4_1IN3c104HalfELb0EEvPKvS3_PT_PKiS7_S7_iiiiiii ; -- Begin function _ZL8moe_q4_1IN3c104HalfELb0EEvPKvS3_PT_PKiS7_S7_iiiiiii
	.p2align	8
	.type	_ZL8moe_q4_1IN3c104HalfELb0EEvPKvS3_PT_PKiS7_S7_iiiiiii,@function
_ZL8moe_q4_1IN3c104HalfELb0EEvPKvS3_PT_PKiS7_S7_iiiiiii: ; @_ZL8moe_q4_1IN3c104HalfELb0EEvPKvS3_PT_PKiS7_S7_iiiiiii
; %bb.0:
	s_load_dwordx4 s[0:3], s[4:5], 0x18
	s_mov_b32 s8, s7
	s_mov_b32 s9, 0
	s_lshl_b64 s[10:11], s[8:9], 2
	s_waitcnt lgkmcnt(0)
	s_add_u32 s2, s2, s10
	s_addc_u32 s3, s3, s11
	s_load_dword s2, s[2:3], 0x0
	s_waitcnt lgkmcnt(0)
	s_cmpk_gt_u32 s2, 0xff
	s_cbranch_scc1 .LBB199_30
; %bb.1:
	s_load_dwordx2 s[10:11], s[4:5], 0x28
	s_lshl_b32 s3, s8, 3
	s_waitcnt lgkmcnt(0)
	s_load_dword s7, s[10:11], 0x0
	s_waitcnt lgkmcnt(0)
	s_cmp_gt_u32 s3, s7
	s_cbranch_scc1 .LBB199_30
; %bb.2:
	v_add_u32_e32 v2, s3, v1
	v_mov_b32_e32 v3, 0
	v_lshlrev_b64 v[4:5], 2, v[2:3]
	v_mov_b32_e32 v2, s1
	v_add_co_u32_e32 v4, vcc, s0, v4
	v_addc_co_u32_e32 v5, vcc, v2, v5, vcc
	global_load_dword v4, v[4:5], off
	s_load_dwordx2 s[14:15], s[4:5], 0x30
	s_load_dwordx2 s[12:13], s[4:5], 0x10
	s_load_dwordx4 s[8:11], s[4:5], 0x3c
	s_lshl_b32 s18, s6, 7
	v_mov_b32_e32 v46, v3
	s_waitcnt lgkmcnt(0)
	s_cmp_lt_i32 s15, 32
	v_mov_b32_e32 v49, v3
	v_mov_b32_e32 v5, v3
	s_cbranch_scc1 .LBB199_21
; %bb.3:
	s_load_dwordx4 s[4:7], s[4:5], 0x0
	s_ashr_i32 s0, s15, 31
	s_ashr_i32 s1, s9, 31
	s_lshr_b32 s0, s0, 27
	s_lshr_b32 s1, s1, 27
	s_add_i32 s0, s15, s0
	s_add_i32 s1, s9, s1
	s_mul_i32 s2, s2, s14
	s_ashr_i32 s19, s0, 5
	s_ashr_i32 s9, s1, 5
	;; [unrolled: 1-line block ×3, first 2 shown]
	s_waitcnt lgkmcnt(0)
	s_add_u32 s2, s4, s2
	s_mul_i32 s3, s19, s18
	v_mul_lo_u32 v8, s19, v1
	s_addc_u32 s1, s5, s1
	s_mul_hi_i32 s4, s3, 20
	s_mul_i32 s3, s3, 20
	s_add_u32 s14, s2, s3
	s_addc_u32 s20, s1, s4
	s_lshl_b32 s1, s19, 3
	v_add_u32_e32 v10, s1, v8
	v_add_u32_e32 v12, s1, v10
	;; [unrolled: 1-line block ×12, first 2 shown]
	v_lshrrev_b32_e32 v41, 3, v0
	v_add_u32_e32 v34, s1, v32
	v_lshl_add_u32 v3, v1, 2, v41
	v_add_u32_e32 v36, s1, v34
	v_and_b32_e32 v40, 7, v0
	v_add_u32_e32 v44, 32, v3
	v_add_u32_e32 v38, s1, v36
	v_lshlrev_b32_e32 v46, 2, v40
	s_movk_i32 s1, 0x4200
	v_and_b32_e32 v45, 0xffc, v44
	v_add3_u32 v66, v45, v46, s1
	v_add_u32_e32 v45, 64, v3
	v_mul_lo_u32 v42, s19, v3
	v_and_b32_e32 v43, 0x7fc, v3
	v_lshlrev_b32_e32 v65, 5, v3
	v_and_b32_e32 v47, 0xffc, v45
	v_add_u32_e32 v3, 0x60, v3
	v_add3_u32 v68, v47, v46, s1
	v_and_b32_e32 v47, 0xffc, v3
	s_abs_i32 s2, s11
	v_add3_u32 v49, v43, v46, s1
	v_add3_u32 v46, v47, v46, s1
	v_cvt_f32_u32_e32 v47, s2
	s_andn2_b32 s0, s0, 31
	v_add_u32_e32 v43, s0, v42
	v_lshlrev_b32_e32 v67, 5, v44
	v_rcp_iflag_f32_e32 v50, v47
	v_add_u32_e32 v44, s0, v43
	v_lshlrev_b32_e32 v69, 5, v45
	v_add_u32_e32 v45, s0, v44
	v_mul_f32_e32 v50, 0x4f7ffffe, v50
	v_cvt_u32_f32_e32 v52, v50
	s_sub_i32 s0, 0, s2
	v_lshlrev_b32_e32 v2, 2, v0
	s_movk_i32 s16, 0x84
	v_mul_lo_u32 v53, s0, v52
	v_mov_b32_e32 v47, 0x5280
	v_mov_b32_e32 v50, 0x5680
	v_mad_u32_u24 v9, v1, s16, v2
	v_lshl_add_u32 v47, v1, 7, v47
	v_lshl_add_u32 v50, v1, 4, v50
	v_mul_hi_u32 v1, v52, v53
	v_and_b32_e32 v7, 12, v2
	v_and_b32_e32 v55, 28, v2
	v_add_u32_e32 v51, v50, v2
	s_waitcnt vmcnt(0)
	v_sub_u32_e32 v2, 0, v4
	v_max_i32_e32 v2, v4, v2
	v_add_u32_e32 v1, v52, v1
	v_mul_hi_u32 v1, v2, v1
	v_xor_b32_e32 v59, s11, v4
	v_ashrrev_i32_e32 v59, 31, v59
	v_add_u32_e32 v58, 32, v0
	v_mul_lo_u32 v54, v1, s2
	v_add_u32_e32 v57, 64, v0
	v_add_u32_e32 v56, 0x60, v0
	v_lshrrev_b32_e32 v53, 3, v58
	v_sub_u32_e32 v2, v2, v54
	v_add_u32_e32 v54, 1, v1
	v_cmp_le_u32_e64 s[0:1], s2, v2
	v_cndmask_b32_e64 v1, v1, v54, s[0:1]
	v_subrev_u32_e32 v54, s2, v2
	v_cndmask_b32_e64 v2, v2, v54, s[0:1]
	v_add_u32_e32 v54, 1, v1
	v_cmp_le_u32_e64 s[0:1], s2, v2
	v_cndmask_b32_e64 v1, v1, v54, s[0:1]
	v_xor_b32_e32 v1, v1, v59
	v_sub_u32_e32 v1, v1, v59
	v_mul_lo_u32 v54, v1, s9
	v_lshlrev_b32_e32 v59, 5, v0
	v_and_b32_e32 v56, 0x1fc, v56
	v_and_b32_e32 v57, 0x1fc, v57
	;; [unrolled: 1-line block ×4, first 2 shown]
	v_lshlrev_b32_e32 v3, 5, v3
	v_and_b32_e32 v48, 31, v0
	v_cmp_gt_u32_e32 vcc, 4, v0
	v_cmp_gt_i32_e64 s[0:1], s8, v1
	v_mov_b32_e32 v2, s7
	v_add_co_u32_e64 v1, s[2:3], s6, v55
	v_add_u32_e32 v61, v59, v56
	v_add_u32_e32 v62, v59, v57
	;; [unrolled: 1-line block ×4, first 2 shown]
	v_lshrrev_b32_e32 v6, 2, v0
	v_mov_b32_e32 v5, 0
	v_add_u32_e32 v11, 0x420, v9
	v_add_u32_e32 v13, 0x840, v9
	;; [unrolled: 1-line block ×15, first 2 shown]
	v_lshl_or_b32 v48, v48, 2, v47
	v_mul_u32_u24_e32 v52, 0x84, v0
	s_mov_b32 s21, 0
	v_addc_co_u32_e64 v2, s[2:3], 0, v2, s[2:3]
	s_and_b64 s[4:5], vcc, s[0:1]
	v_ashrrev_i32_e32 v55, 31, v54
	v_add_u32_e32 v56, 0x4e00, v61
	v_add_u32_e32 v57, 0x4a00, v62
	;; [unrolled: 1-line block ×4, first 2 shown]
	v_mad_u32_u24 v60, v0, s16, 64
	v_add_u32_e32 v61, 0x4e10, v61
	v_add_u32_e32 v62, 0x4a10, v62
	;; [unrolled: 1-line block ×8, first 2 shown]
	v_mov_b32_e32 v49, 0
	v_mov_b32_e32 v46, 0
	;; [unrolled: 1-line block ×3, first 2 shown]
	s_branch .LBB199_5
.LBB199_4:                              ;   in Loop: Header=BB199_5 Depth=1
	s_add_i32 s21, s21, 8
	s_cmp_ge_i32 s21, s19
	s_cbranch_scc1 .LBB199_21
.LBB199_5:                              ; =>This Loop Header: Depth=1
                                        ;     Child Loop BB199_11 Depth 2
                                        ;     Child Loop BB199_19 Depth 2
	s_mul_i32 s3, s21, 20
	s_mul_hi_u32 s2, s21, 20
	s_add_u32 s16, s14, s3
	s_addc_u32 s17, s20, s2
	v_mad_u64_u32 v[69:70], s[2:3], v6, 20, s[16:17]
	v_mad_u64_u32 v[71:72], s[2:3], v8, 20, v[69:70]
	v_mad_u64_u32 v[73:74], s[2:3], v10, 20, v[69:70]
	v_add_co_u32_e64 v71, s[2:3], v71, v7
	v_addc_co_u32_e64 v72, s[2:3], 0, v72, s[2:3]
	v_add_co_u32_e64 v73, s[2:3], v73, v7
	v_addc_co_u32_e64 v74, s[2:3], 0, v74, s[2:3]
	v_mad_u64_u32 v[75:76], s[2:3], v12, 20, v[69:70]
	v_mad_u64_u32 v[77:78], s[2:3], v14, 20, v[69:70]
	v_add_co_u32_e64 v75, s[2:3], v75, v7
	v_addc_co_u32_e64 v76, s[2:3], 0, v76, s[2:3]
	v_add_co_u32_e64 v77, s[2:3], v77, v7
	v_addc_co_u32_e64 v78, s[2:3], 0, v78, s[2:3]
	v_mad_u64_u32 v[79:80], s[2:3], v16, 20, v[69:70]
	v_mad_u64_u32 v[81:82], s[2:3], v18, 20, v[69:70]
	;; [unrolled: 6-line block ×3, first 2 shown]
	v_add_co_u32_e64 v83, s[2:3], v83, v7
	v_addc_co_u32_e64 v84, s[2:3], 0, v84, s[2:3]
	v_add_co_u32_e64 v85, s[2:3], v85, v7
	v_addc_co_u32_e64 v86, s[2:3], 0, v86, s[2:3]
	global_load_dword v87, v[71:72], off offset:4
	global_load_dword v88, v[73:74], off offset:4
	global_load_dword v89, v[75:76], off offset:4
	global_load_dword v90, v[77:78], off offset:4
	global_load_dword v91, v[79:80], off offset:4
	global_load_dword v92, v[81:82], off offset:4
	global_load_dword v93, v[83:84], off offset:4
	global_load_dword v94, v[85:86], off offset:4
	v_mad_u64_u32 v[71:72], s[2:3], v24, 20, v[69:70]
	v_mad_u64_u32 v[73:74], s[2:3], v26, 20, v[69:70]
	v_add_co_u32_e64 v71, s[2:3], v71, v7
	v_addc_co_u32_e64 v72, s[2:3], 0, v72, s[2:3]
	v_add_co_u32_e64 v73, s[2:3], v73, v7
	v_addc_co_u32_e64 v74, s[2:3], 0, v74, s[2:3]
	v_mad_u64_u32 v[75:76], s[2:3], v28, 20, v[69:70]
	v_mad_u64_u32 v[77:78], s[2:3], v30, 20, v[69:70]
	v_add_co_u32_e64 v75, s[2:3], v75, v7
	v_addc_co_u32_e64 v76, s[2:3], 0, v76, s[2:3]
	v_add_co_u32_e64 v77, s[2:3], v77, v7
	v_addc_co_u32_e64 v78, s[2:3], 0, v78, s[2:3]
	;; [unrolled: 6-line block ×4, first 2 shown]
	v_mad_u64_u32 v[85:86], s[2:3], v40, 20, s[16:17]
	global_load_dword v95, v[71:72], off offset:4
	global_load_dword v96, v[73:74], off offset:4
	global_load_dword v97, v[75:76], off offset:4
	s_nop 0
	global_load_dword v77, v[77:78], off offset:4
	s_nop 0
	global_load_dword v78, v[79:80], off offset:4
	;; [unrolled: 2-line block ×3, first 2 shown]
	global_load_dword v80, v[83:84], off offset:4
	s_nop 0
	global_load_dword v81, v[69:70], off offset:4
	s_lshl_b32 s16, s21, 5
	v_mad_u64_u32 v[69:70], s[2:3], v42, 20, v[85:86]
	v_mad_u64_u32 v[71:72], s[2:3], v43, 20, v[85:86]
	v_mad_u64_u32 v[73:74], s[2:3], v44, 20, v[85:86]
	v_mad_u64_u32 v[75:76], s[2:3], v45, 20, v[85:86]
	global_load_dword v69, v[69:70], off
	s_nop 0
	global_load_dword v70, v[71:72], off
	s_nop 0
	global_load_dword v71, v[73:74], off
	global_load_dword v72, v[75:76], off
	s_cmp_lt_i32 s16, s15
	s_waitcnt vmcnt(19)
	ds_write_b32 v9, v87
	s_waitcnt vmcnt(18)
	ds_write_b32 v11, v88
	;; [unrolled: 2-line block ×20, first 2 shown]
	s_cbranch_scc0 .LBB199_4
; %bb.6:                                ;   in Loop: Header=BB199_5 Depth=1
	v_add_u32_e32 v69, s21, v41
	v_cmp_gt_i32_e64 s[2:3], s9, v69
	s_and_b64 s[22:23], s[0:1], s[2:3]
	s_and_saveexec_b64 s[2:3], s[22:23]
	s_cbranch_execz .LBB199_8
; %bb.7:                                ;   in Loop: Header=BB199_5 Depth=1
	v_add_u32_e32 v69, v54, v69
	v_mad_i64_i32 v[69:70], s[22:23], v69, 36, v[1:2]
	global_load_dword v69, v[69:70], off offset:4
	s_waitcnt vmcnt(0)
	ds_write_b32 v48, v69
.LBB199_8:                              ;   in Loop: Header=BB199_5 Depth=1
	s_or_b64 exec, exec, s[2:3]
	v_add_u32_e32 v69, s21, v0
	v_cmp_gt_i32_e64 s[2:3], s9, v69
	s_and_b64 s[22:23], s[4:5], s[2:3]
	s_and_saveexec_b64 s[2:3], s[22:23]
	s_cbranch_execz .LBB199_10
; %bb.9:                                ;   in Loop: Header=BB199_5 Depth=1
	v_add_u32_e32 v70, v54, v69
	v_mad_i64_i32 v[70:71], s[22:23], v70, 36, s[6:7]
	global_load_dword v70, v[70:71], off
	s_waitcnt vmcnt(0)
	ds_write_b32 v51, v70
.LBB199_10:                             ;   in Loop: Header=BB199_5 Depth=1
	s_or_b64 exec, exec, s[2:3]
	s_mov_b32 s2, -4
	v_mov_b32_e32 v70, v47
	v_mov_b32_e32 v71, v50
	;; [unrolled: 1-line block ×7, first 2 shown]
	s_waitcnt lgkmcnt(0)
	s_barrier
.LBB199_11:                             ;   Parent Loop BB199_5 Depth=1
                                        ; =>  This Inner Loop Header: Depth=2
	ds_read_b128 v[77:80], v70
	ds_read_b128 v[81:84], v70 offset:16
	ds_read2_b32 v[85:86], v76 offset0:2 offset1:3
	v_add_u32_e32 v89, 0x1080, v76
	v_add_u32_e32 v91, 0x1088, v76
	;; [unrolled: 1-line block ×5, first 2 shown]
	ds_read_b32 v101, v71
	ds_read_b32 v102, v72
	ds_read2_b32 v[87:88], v76 offset1:1
	ds_read_b32 v103, v73
	ds_read_b32 v104, v74
	;; [unrolled: 1-line block ×3, first 2 shown]
	v_add_u32_e32 v99, 0x3188, v76
	ds_read2_b32 v[89:90], v89 offset1:1
	ds_read2_b32 v[91:92], v91 offset1:1
	ds_read2_b32 v[93:94], v93 offset1:1
	ds_read2_b32 v[95:96], v95 offset1:1
	ds_read2_b32 v[97:98], v97 offset1:1
	ds_read2_b32 v[99:100], v99 offset1:1
	s_waitcnt lgkmcnt(9)
	v_and_b32_e32 v106, 0xf0f0f0f, v87
	v_lshrrev_b32_e32 v87, 4, v87
	v_pk_mul_f16 v102, v101, v102
	s_waitcnt lgkmcnt(8)
	v_pk_mul_f16 v103, v101, v103
	s_waitcnt lgkmcnt(7)
	;; [unrolled: 2-line block ×3, first 2 shown]
	v_pk_mul_f16 v101, v101, v105
	v_and_b32_e32 v87, 0xf0f0f0f, v87
	v_dot4_i32_i8 v105, v106, v77, 0
	s_waitcnt lgkmcnt(5)
	v_and_b32_e32 v106, 0xf0f0f0f, v89
	v_lshrrev_b32_e32 v89, 4, v89
	s_waitcnt lgkmcnt(3)
	v_and_b32_e32 v113, 0xf0f0f0f, v93
	v_lshrrev_b32_e32 v93, 4, v93
	;; [unrolled: 3-line block ×3, first 2 shown]
	v_and_b32_e32 v107, 0xf0f0f0f, v88
	v_lshrrev_b32_e32 v88, 4, v88
	v_dot4_i32_i8 v87, v87, v81, v105
	v_and_b32_e32 v89, 0xf0f0f0f, v89
	v_dot4_i32_i8 v105, v106, v77, 0
	v_and_b32_e32 v93, 0xf0f0f0f, v93
	;; [unrolled: 2-line block ×4, first 2 shown]
	v_and_b32_e32 v110, 0xf0f0f0f, v90
	v_lshrrev_b32_e32 v90, 4, v90
	v_and_b32_e32 v114, 0xf0f0f0f, v94
	v_lshrrev_b32_e32 v94, 4, v94
	;; [unrolled: 2-line block ×3, first 2 shown]
	v_dot4_i32_i8 v87, v107, v78, v87
	v_dot4_i32_i8 v89, v89, v81, v105
	;; [unrolled: 1-line block ×4, first 2 shown]
	v_and_b32_e32 v108, 0xf0f0f0f, v85
	v_lshrrev_b32_e32 v85, 4, v85
	v_and_b32_e32 v90, 0xf0f0f0f, v90
	v_and_b32_e32 v94, 0xf0f0f0f, v94
	;; [unrolled: 1-line block ×3, first 2 shown]
	v_dot4_i32_i8 v81, v88, v82, v87
	v_dot4_i32_i8 v87, v110, v78, v89
	;; [unrolled: 1-line block ×4, first 2 shown]
	v_and_b32_e32 v85, 0xf0f0f0f, v85
	v_and_b32_e32 v111, 0xf0f0f0f, v91
	v_lshrrev_b32_e32 v91, 4, v91
	v_and_b32_e32 v115, 0xf0f0f0f, v95
	v_lshrrev_b32_e32 v95, 4, v95
	s_waitcnt lgkmcnt(0)
	v_and_b32_e32 v119, 0xf0f0f0f, v99
	v_lshrrev_b32_e32 v99, 4, v99
	v_dot4_i32_i8 v78, v108, v79, v81
	v_dot4_i32_i8 v81, v90, v82, v87
	;; [unrolled: 1-line block ×4, first 2 shown]
	v_and_b32_e32 v109, 0xf0f0f0f, v86
	v_lshrrev_b32_e32 v86, 4, v86
	v_and_b32_e32 v91, 0xf0f0f0f, v91
	v_and_b32_e32 v95, 0xf0f0f0f, v95
	;; [unrolled: 1-line block ×3, first 2 shown]
	v_dot4_i32_i8 v78, v85, v83, v78
	v_dot4_i32_i8 v81, v111, v79, v81
	v_dot4_i32_i8 v82, v115, v79, v87
	v_dot4_i32_i8 v77, v119, v79, v77
	v_and_b32_e32 v86, 0xf0f0f0f, v86
	v_and_b32_e32 v112, 0xf0f0f0f, v92
	v_lshrrev_b32_e32 v92, 4, v92
	v_and_b32_e32 v116, 0xf0f0f0f, v96
	v_lshrrev_b32_e32 v96, 4, v96
	;; [unrolled: 2-line block ×3, first 2 shown]
	v_dot4_i32_i8 v78, v109, v80, v78
	v_dot4_i32_i8 v79, v91, v83, v81
	;; [unrolled: 1-line block ×4, first 2 shown]
	v_and_b32_e32 v92, 0xf0f0f0f, v92
	v_and_b32_e32 v96, 0xf0f0f0f, v96
	;; [unrolled: 1-line block ×3, first 2 shown]
	v_dot4_i32_i8 v78, v86, v84, v78
	v_dot4_i32_i8 v79, v112, v80, v79
	;; [unrolled: 1-line block ×4, first 2 shown]
	v_cvt_f32_i32_e32 v78, v78
	v_dot4_i32_i8 v79, v92, v84, v79
	v_dot4_i32_i8 v80, v96, v84, v81
	;; [unrolled: 1-line block ×3, first 2 shown]
	v_cvt_f32_i32_e32 v79, v79
	v_cvt_f32_i32_e32 v80, v80
	;; [unrolled: 1-line block ×3, first 2 shown]
	v_fma_mix_f32 v78, v102, v78, v102 op_sel:[0,0,1] op_sel_hi:[1,0,1]
	s_add_i32 s2, s2, 4
	v_add_f32_e32 v5, v5, v78
	v_fma_mix_f32 v78, v103, v79, v103 op_sel:[0,0,1] op_sel_hi:[1,0,1]
	v_fma_mix_f32 v79, v104, v80, v104 op_sel:[0,0,1] op_sel_hi:[1,0,1]
	v_fma_mix_f32 v77, v101, v77, v101 op_sel:[0,0,1] op_sel_hi:[1,0,1]
	v_add_u32_e32 v76, 16, v76
	v_add_u32_e32 v75, 4, v75
	;; [unrolled: 1-line block ×7, first 2 shown]
	s_cmp_lt_u32 s2, 12
	v_add_f32_e32 v49, v49, v78
	v_add_f32_e32 v46, v46, v79
	;; [unrolled: 1-line block ×3, first 2 shown]
	s_cbranch_scc1 .LBB199_11
; %bb.12:                               ;   in Loop: Header=BB199_5 Depth=1
	s_bitset1_b32 s16, 7
	s_cmp_ge_i32 s16, s15
	s_barrier
	s_cbranch_scc1 .LBB199_4
; %bb.13:                               ;   in Loop: Header=BB199_5 Depth=1
	v_add_u32_e32 v70, s21, v53
	v_cmp_gt_i32_e64 s[2:3], s9, v70
	s_and_b64 s[16:17], s[0:1], s[2:3]
	s_and_saveexec_b64 s[2:3], s[16:17]
	s_cbranch_execz .LBB199_15
; %bb.14:                               ;   in Loop: Header=BB199_5 Depth=1
	v_add_u32_e32 v70, v54, v70
	v_mad_i64_i32 v[70:71], s[16:17], v70, 36, v[1:2]
	global_load_dword v70, v[70:71], off offset:4
	s_waitcnt vmcnt(0)
	ds_write_b32 v48, v70
.LBB199_15:                             ;   in Loop: Header=BB199_5 Depth=1
	s_or_b64 exec, exec, s[2:3]
	s_and_saveexec_b64 s[16:17], vcc
	s_cbranch_execz .LBB199_18
; %bb.16:                               ;   in Loop: Header=BB199_5 Depth=1
	v_or_b32_e32 v70, 4, v69
	v_cmp_gt_i32_e64 s[2:3], s9, v70
	s_and_b64 s[2:3], s[0:1], s[2:3]
	s_and_b64 exec, exec, s[2:3]
	s_cbranch_execz .LBB199_18
; %bb.17:                               ;   in Loop: Header=BB199_5 Depth=1
	v_ashrrev_i32_e32 v70, 31, v69
	v_add_co_u32_e64 v69, s[2:3], v54, v69
	v_addc_co_u32_e64 v71, s[2:3], v55, v70, s[2:3]
	v_mad_u64_u32 v[69:70], s[2:3], v69, 36, s[6:7]
	v_mad_i32_i24 v70, v71, 36, v70
	global_load_dword v69, v[69:70], off offset:144
	s_waitcnt vmcnt(0)
	ds_write_b32 v51, v69
.LBB199_18:                             ;   in Loop: Header=BB199_5 Depth=1
	s_or_b64 exec, exec, s[16:17]
	s_mov_b32 s2, 12
	v_mov_b32_e32 v69, v50
	v_mov_b32_e32 v70, v47
	;; [unrolled: 1-line block ×7, first 2 shown]
	s_waitcnt lgkmcnt(0)
	s_barrier
.LBB199_19:                             ;   Parent Loop BB199_5 Depth=1
                                        ; =>  This Inner Loop Header: Depth=2
	ds_read_b128 v[76:79], v70
	ds_read_b128 v[80:83], v70 offset:16
	ds_read_b32 v100, v69
	ds_read2_b32 v[84:85], v75 offset0:2 offset1:3
	v_add_u32_e32 v88, 0x1080, v75
	v_add_u32_e32 v90, 0x1088, v75
	;; [unrolled: 1-line block ×5, first 2 shown]
	ds_read_b32 v101, v71
	ds_read2_b32 v[86:87], v75 offset1:1
	ds_read_b32 v102, v72
	ds_read_b32 v103, v73
	;; [unrolled: 1-line block ×3, first 2 shown]
	v_add_u32_e32 v98, 0x3188, v75
	ds_read2_b32 v[88:89], v88 offset1:1
	ds_read2_b32 v[90:91], v90 offset1:1
	;; [unrolled: 1-line block ×6, first 2 shown]
	s_waitcnt lgkmcnt(9)
	v_and_b32_e32 v105, 0xf0f0f0f, v86
	v_lshrrev_b32_e32 v86, 4, v86
	v_pk_mul_f16 v101, v100, v101
	s_waitcnt lgkmcnt(8)
	v_pk_mul_f16 v102, v100, v102
	s_waitcnt lgkmcnt(7)
	;; [unrolled: 2-line block ×3, first 2 shown]
	v_pk_mul_f16 v100, v100, v104
	v_and_b32_e32 v86, 0xf0f0f0f, v86
	v_dot4_i32_i8 v104, v105, v76, 0
	s_waitcnt lgkmcnt(5)
	v_and_b32_e32 v105, 0xf0f0f0f, v88
	v_lshrrev_b32_e32 v88, 4, v88
	s_waitcnt lgkmcnt(3)
	v_and_b32_e32 v112, 0xf0f0f0f, v92
	v_lshrrev_b32_e32 v92, 4, v92
	;; [unrolled: 3-line block ×3, first 2 shown]
	v_and_b32_e32 v106, 0xf0f0f0f, v87
	v_lshrrev_b32_e32 v87, 4, v87
	v_dot4_i32_i8 v86, v86, v80, v104
	v_and_b32_e32 v88, 0xf0f0f0f, v88
	v_dot4_i32_i8 v104, v105, v76, 0
	v_and_b32_e32 v92, 0xf0f0f0f, v92
	;; [unrolled: 2-line block ×4, first 2 shown]
	v_and_b32_e32 v109, 0xf0f0f0f, v89
	v_lshrrev_b32_e32 v89, 4, v89
	v_and_b32_e32 v113, 0xf0f0f0f, v93
	v_lshrrev_b32_e32 v93, 4, v93
	;; [unrolled: 2-line block ×3, first 2 shown]
	v_dot4_i32_i8 v86, v106, v77, v86
	v_dot4_i32_i8 v88, v88, v80, v104
	;; [unrolled: 1-line block ×4, first 2 shown]
	v_and_b32_e32 v107, 0xf0f0f0f, v84
	v_lshrrev_b32_e32 v84, 4, v84
	v_and_b32_e32 v89, 0xf0f0f0f, v89
	v_and_b32_e32 v93, 0xf0f0f0f, v93
	;; [unrolled: 1-line block ×3, first 2 shown]
	v_dot4_i32_i8 v80, v87, v81, v86
	v_dot4_i32_i8 v86, v109, v77, v88
	;; [unrolled: 1-line block ×4, first 2 shown]
	v_and_b32_e32 v84, 0xf0f0f0f, v84
	v_and_b32_e32 v110, 0xf0f0f0f, v90
	v_lshrrev_b32_e32 v90, 4, v90
	v_and_b32_e32 v114, 0xf0f0f0f, v94
	v_lshrrev_b32_e32 v94, 4, v94
	s_waitcnt lgkmcnt(0)
	v_and_b32_e32 v118, 0xf0f0f0f, v98
	v_lshrrev_b32_e32 v98, 4, v98
	v_dot4_i32_i8 v77, v107, v78, v80
	v_dot4_i32_i8 v80, v89, v81, v86
	;; [unrolled: 1-line block ×4, first 2 shown]
	v_and_b32_e32 v108, 0xf0f0f0f, v85
	v_lshrrev_b32_e32 v85, 4, v85
	v_and_b32_e32 v90, 0xf0f0f0f, v90
	v_and_b32_e32 v94, 0xf0f0f0f, v94
	;; [unrolled: 1-line block ×3, first 2 shown]
	v_dot4_i32_i8 v77, v84, v82, v77
	v_dot4_i32_i8 v80, v110, v78, v80
	;; [unrolled: 1-line block ×4, first 2 shown]
	v_and_b32_e32 v85, 0xf0f0f0f, v85
	v_and_b32_e32 v111, 0xf0f0f0f, v91
	v_lshrrev_b32_e32 v91, 4, v91
	v_and_b32_e32 v115, 0xf0f0f0f, v95
	v_lshrrev_b32_e32 v95, 4, v95
	;; [unrolled: 2-line block ×3, first 2 shown]
	v_dot4_i32_i8 v77, v108, v79, v77
	v_dot4_i32_i8 v78, v90, v82, v80
	;; [unrolled: 1-line block ×4, first 2 shown]
	v_and_b32_e32 v91, 0xf0f0f0f, v91
	v_and_b32_e32 v95, 0xf0f0f0f, v95
	;; [unrolled: 1-line block ×3, first 2 shown]
	v_dot4_i32_i8 v77, v85, v83, v77
	v_dot4_i32_i8 v78, v111, v79, v78
	;; [unrolled: 1-line block ×4, first 2 shown]
	v_cvt_f32_i32_e32 v77, v77
	v_dot4_i32_i8 v78, v91, v83, v78
	v_dot4_i32_i8 v79, v95, v83, v80
	v_dot4_i32_i8 v76, v99, v83, v76
	v_cvt_f32_i32_e32 v78, v78
	v_cvt_f32_i32_e32 v79, v79
	;; [unrolled: 1-line block ×3, first 2 shown]
	v_fma_mix_f32 v77, v101, v77, v101 op_sel:[0,0,1] op_sel_hi:[1,0,1]
	s_add_i32 s2, s2, 4
	v_add_f32_e32 v5, v5, v77
	v_fma_mix_f32 v77, v102, v78, v102 op_sel:[0,0,1] op_sel_hi:[1,0,1]
	v_fma_mix_f32 v78, v103, v79, v103 op_sel:[0,0,1] op_sel_hi:[1,0,1]
	;; [unrolled: 1-line block ×3, first 2 shown]
	v_add_u32_e32 v75, 16, v75
	v_add_u32_e32 v74, 4, v74
	v_add_u32_e32 v73, 4, v73
	v_add_u32_e32 v72, 4, v72
	v_add_u32_e32 v71, 4, v71
	v_add_u32_e32 v70, 32, v70
	v_add_u32_e32 v69, 4, v69
	s_cmp_lt_u32 s2, 28
	v_add_f32_e32 v49, v49, v77
	v_add_f32_e32 v46, v46, v78
	;; [unrolled: 1-line block ×3, first 2 shown]
	s_cbranch_scc1 .LBB199_19
; %bb.20:                               ;   in Loop: Header=BB199_5 Depth=1
	s_barrier
	s_branch .LBB199_4
.LBB199_21:
	s_mul_i32 s0, s11, s8
	s_waitcnt vmcnt(0)
	v_cmp_gt_i32_e32 vcc, s0, v4
	s_and_saveexec_b64 s[0:1], vcc
	s_cbranch_execz .LBB199_30
; %bb.22:
	v_mul_lo_u32 v1, v4, s10
	v_add_u32_e32 v0, s18, v0
	v_cmp_gt_u32_e32 vcc, s10, v0
	s_and_saveexec_b64 s[0:1], vcc
	s_cbranch_execz .LBB199_24
; %bb.23:
	v_add_u32_e32 v6, v1, v0
	v_mov_b32_e32 v7, 0
	v_lshlrev_b64 v[6:7], 1, v[6:7]
	v_cvt_f16_f32_e32 v8, v5
	v_mov_b32_e32 v2, s13
	v_add_co_u32_e32 v4, vcc, s12, v6
	v_addc_co_u32_e32 v5, vcc, v2, v7, vcc
	global_store_short v[4:5], v8, off
.LBB199_24:
	s_or_b64 exec, exec, s[0:1]
	v_add_u32_e32 v2, 32, v0
	v_cmp_gt_u32_e32 vcc, s10, v2
	s_and_saveexec_b64 s[0:1], vcc
	s_cbranch_execz .LBB199_26
; %bb.25:
	v_add_u32_e32 v4, v1, v2
	v_mov_b32_e32 v5, 0
	v_lshlrev_b64 v[4:5], 1, v[4:5]
	v_cvt_f16_f32_e32 v6, v49
	v_mov_b32_e32 v2, s13
	v_add_co_u32_e32 v4, vcc, s12, v4
	v_addc_co_u32_e32 v5, vcc, v2, v5, vcc
	global_store_short v[4:5], v6, off
.LBB199_26:
	s_or_b64 exec, exec, s[0:1]
	v_add_u32_e32 v2, 64, v0
	v_cmp_gt_u32_e32 vcc, s10, v2
	s_and_saveexec_b64 s[0:1], vcc
	s_cbranch_execz .LBB199_28
; %bb.27:
	v_add_u32_e32 v4, v1, v2
	v_mov_b32_e32 v5, 0
	v_lshlrev_b64 v[4:5], 1, v[4:5]
	v_cvt_f16_f32_e32 v6, v46
	v_mov_b32_e32 v2, s13
	v_add_co_u32_e32 v4, vcc, s12, v4
	v_addc_co_u32_e32 v5, vcc, v2, v5, vcc
	global_store_short v[4:5], v6, off
.LBB199_28:
	s_or_b64 exec, exec, s[0:1]
	v_add_u32_e32 v0, 0x60, v0
	v_cmp_gt_u32_e32 vcc, s10, v0
	s_and_b64 exec, exec, vcc
	s_cbranch_execz .LBB199_30
; %bb.29:
	v_add_u32_e32 v0, v1, v0
	v_mov_b32_e32 v1, 0
	v_lshlrev_b64 v[0:1], 1, v[0:1]
	v_cvt_f16_f32_e32 v3, v3
	v_mov_b32_e32 v2, s13
	v_add_co_u32_e32 v0, vcc, s12, v0
	v_addc_co_u32_e32 v1, vcc, v2, v1, vcc
	global_store_short v[0:1], v3, off
.LBB199_30:
	s_endpgm
	.section	.rodata,"a",@progbits
	.p2align	6, 0x0
	.amdhsa_kernel _ZL8moe_q4_1IN3c104HalfELb0EEvPKvS3_PT_PKiS7_S7_iiiiiii
		.amdhsa_group_segment_fixed_size 22272
		.amdhsa_private_segment_fixed_size 0
		.amdhsa_kernarg_size 76
		.amdhsa_user_sgpr_count 6
		.amdhsa_user_sgpr_private_segment_buffer 1
		.amdhsa_user_sgpr_dispatch_ptr 0
		.amdhsa_user_sgpr_queue_ptr 0
		.amdhsa_user_sgpr_kernarg_segment_ptr 1
		.amdhsa_user_sgpr_dispatch_id 0
		.amdhsa_user_sgpr_flat_scratch_init 0
		.amdhsa_user_sgpr_private_segment_size 0
		.amdhsa_uses_dynamic_stack 0
		.amdhsa_system_sgpr_private_segment_wavefront_offset 0
		.amdhsa_system_sgpr_workgroup_id_x 1
		.amdhsa_system_sgpr_workgroup_id_y 1
		.amdhsa_system_sgpr_workgroup_id_z 0
		.amdhsa_system_sgpr_workgroup_info 0
		.amdhsa_system_vgpr_workitem_id 1
		.amdhsa_next_free_vgpr 121
		.amdhsa_next_free_sgpr 98
		.amdhsa_reserve_vcc 1
		.amdhsa_reserve_flat_scratch 0
		.amdhsa_float_round_mode_32 0
		.amdhsa_float_round_mode_16_64 0
		.amdhsa_float_denorm_mode_32 3
		.amdhsa_float_denorm_mode_16_64 3
		.amdhsa_dx10_clamp 1
		.amdhsa_ieee_mode 1
		.amdhsa_fp16_overflow 0
		.amdhsa_exception_fp_ieee_invalid_op 0
		.amdhsa_exception_fp_denorm_src 0
		.amdhsa_exception_fp_ieee_div_zero 0
		.amdhsa_exception_fp_ieee_overflow 0
		.amdhsa_exception_fp_ieee_underflow 0
		.amdhsa_exception_fp_ieee_inexact 0
		.amdhsa_exception_int_div_zero 0
	.end_amdhsa_kernel
	.section	.text._ZL8moe_q4_1IN3c104HalfELb0EEvPKvS3_PT_PKiS7_S7_iiiiiii,"axG",@progbits,_ZL8moe_q4_1IN3c104HalfELb0EEvPKvS3_PT_PKiS7_S7_iiiiiii,comdat
.Lfunc_end199:
	.size	_ZL8moe_q4_1IN3c104HalfELb0EEvPKvS3_PT_PKiS7_S7_iiiiiii, .Lfunc_end199-_ZL8moe_q4_1IN3c104HalfELb0EEvPKvS3_PT_PKiS7_S7_iiiiiii
                                        ; -- End function
	.set _ZL8moe_q4_1IN3c104HalfELb0EEvPKvS3_PT_PKiS7_S7_iiiiiii.num_vgpr, 121
	.set _ZL8moe_q4_1IN3c104HalfELb0EEvPKvS3_PT_PKiS7_S7_iiiiiii.num_agpr, 0
	.set _ZL8moe_q4_1IN3c104HalfELb0EEvPKvS3_PT_PKiS7_S7_iiiiiii.numbered_sgpr, 24
	.set _ZL8moe_q4_1IN3c104HalfELb0EEvPKvS3_PT_PKiS7_S7_iiiiiii.num_named_barrier, 0
	.set _ZL8moe_q4_1IN3c104HalfELb0EEvPKvS3_PT_PKiS7_S7_iiiiiii.private_seg_size, 0
	.set _ZL8moe_q4_1IN3c104HalfELb0EEvPKvS3_PT_PKiS7_S7_iiiiiii.uses_vcc, 1
	.set _ZL8moe_q4_1IN3c104HalfELb0EEvPKvS3_PT_PKiS7_S7_iiiiiii.uses_flat_scratch, 0
	.set _ZL8moe_q4_1IN3c104HalfELb0EEvPKvS3_PT_PKiS7_S7_iiiiiii.has_dyn_sized_stack, 0
	.set _ZL8moe_q4_1IN3c104HalfELb0EEvPKvS3_PT_PKiS7_S7_iiiiiii.has_recursion, 0
	.set _ZL8moe_q4_1IN3c104HalfELb0EEvPKvS3_PT_PKiS7_S7_iiiiiii.has_indirect_call, 0
	.section	.AMDGPU.csdata,"",@progbits
; Kernel info:
; codeLenInByte = 4424
; TotalNumSgprs: 28
; NumVgprs: 121
; ScratchSize: 0
; MemoryBound: 0
; FloatMode: 240
; IeeeMode: 1
; LDSByteSize: 22272 bytes/workgroup (compile time only)
; SGPRBlocks: 12
; VGPRBlocks: 30
; NumSGPRsForWavesPerEU: 102
; NumVGPRsForWavesPerEU: 121
; Occupancy: 2
; WaveLimiterHint : 1
; COMPUTE_PGM_RSRC2:SCRATCH_EN: 0
; COMPUTE_PGM_RSRC2:USER_SGPR: 6
; COMPUTE_PGM_RSRC2:TRAP_HANDLER: 0
; COMPUTE_PGM_RSRC2:TGID_X_EN: 1
; COMPUTE_PGM_RSRC2:TGID_Y_EN: 1
; COMPUTE_PGM_RSRC2:TGID_Z_EN: 0
; COMPUTE_PGM_RSRC2:TIDIG_COMP_CNT: 1
	.section	.text._ZL8moe_q4_1IN3c104HalfELb1EEvPKvS3_PT_PKiS7_S7_iiiiiii,"axG",@progbits,_ZL8moe_q4_1IN3c104HalfELb1EEvPKvS3_PT_PKiS7_S7_iiiiiii,comdat
	.globl	_ZL8moe_q4_1IN3c104HalfELb1EEvPKvS3_PT_PKiS7_S7_iiiiiii ; -- Begin function _ZL8moe_q4_1IN3c104HalfELb1EEvPKvS3_PT_PKiS7_S7_iiiiiii
	.p2align	8
	.type	_ZL8moe_q4_1IN3c104HalfELb1EEvPKvS3_PT_PKiS7_S7_iiiiiii,@function
_ZL8moe_q4_1IN3c104HalfELb1EEvPKvS3_PT_PKiS7_S7_iiiiiii: ; @_ZL8moe_q4_1IN3c104HalfELb1EEvPKvS3_PT_PKiS7_S7_iiiiiii
; %bb.0:
	s_load_dwordx4 s[0:3], s[4:5], 0x18
	s_mov_b32 s8, s7
	s_mov_b32 s9, 0
	s_lshl_b64 s[10:11], s[8:9], 2
	s_waitcnt lgkmcnt(0)
	s_add_u32 s2, s2, s10
	s_addc_u32 s3, s3, s11
	s_load_dword s2, s[2:3], 0x0
	s_waitcnt lgkmcnt(0)
	s_cmpk_gt_u32 s2, 0xff
	s_cbranch_scc1 .LBB200_30
; %bb.1:
	s_load_dwordx2 s[10:11], s[4:5], 0x28
	s_lshl_b32 s3, s8, 3
	s_waitcnt lgkmcnt(0)
	s_load_dword s7, s[10:11], 0x0
	s_waitcnt lgkmcnt(0)
	s_cmp_gt_u32 s3, s7
	s_cbranch_scc1 .LBB200_30
; %bb.2:
	v_add_u32_e32 v17, s3, v1
	v_mov_b32_e32 v18, 0
	v_lshlrev_b64 v[2:3], 2, v[17:18]
	v_mov_b32_e32 v4, s1
	v_add_co_u32_e32 v2, vcc, s0, v2
	v_addc_co_u32_e32 v3, vcc, v4, v3, vcc
	global_load_dword v21, v[2:3], off
	s_load_dwordx8 s[8:15], s[4:5], 0x30
	s_load_dwordx2 s[16:17], s[4:5], 0x10
	s_waitcnt lgkmcnt(0)
	s_lshl_b32 s15, s6, 7
	v_mov_b32_e32 v47, v18
	v_mov_b32_e32 v50, v18
	s_cmp_lt_i32 s9, 32
	v_mov_b32_e32 v22, v18
	s_cbranch_scc1 .LBB200_21
; %bb.3:
	s_ashr_i32 s0, s9, 31
	s_lshr_b32 s0, s0, 27
	s_load_dwordx4 s[4:7], s[4:5], 0x0
	s_add_i32 s0, s9, s0
	s_ashr_i32 s20, s0, 5
	s_ashr_i32 s0, s12, 31
	s_lshr_b32 s0, s0, 27
	s_add_i32 s0, s12, s0
	s_mul_i32 s2, s2, s8
	s_ashr_i32 s12, s0, 5
	s_ashr_i32 s0, s2, 31
	s_waitcnt lgkmcnt(0)
	s_add_u32 s1, s4, s2
	s_mul_i32 s2, s20, s15
	s_addc_u32 s0, s5, s0
	s_mul_hi_i32 s3, s2, 20
	s_mul_i32 s2, s2, 20
	s_add_u32 s8, s1, s2
	s_addc_u32 s21, s0, s3
	s_not_b32 s0, s15
	s_add_i32 s2, s10, s0
	v_lshlrev_b32_e32 v19, 2, v0
	v_min_i32_e32 v2, s2, v1
	s_movk_i32 s18, 0x84
	v_mul_lo_u32 v25, v2, s20
	v_mad_u64_u32 v[2:3], s[0:1], v2, s18, v[19:20]
	v_add_u32_e32 v3, 8, v1
	v_min_i32_e32 v3, s2, v3
	v_mul_lo_u32 v26, v3, s20
	v_mad_u64_u32 v[3:4], s[0:1], v3, s18, v[19:20]
	v_add_u32_e32 v4, 16, v1
	v_min_i32_e32 v4, s2, v4
	v_mul_lo_u32 v27, v4, s20
	v_mad_u64_u32 v[4:5], s[0:1], v4, s18, v[19:20]
	v_add_u32_e32 v5, 24, v1
	v_min_i32_e32 v5, s2, v5
	v_mul_lo_u32 v28, v5, s20
	v_mad_u64_u32 v[5:6], s[0:1], v5, s18, v[19:20]
	v_add_u32_e32 v6, 32, v1
	v_min_i32_e32 v6, s2, v6
	v_mul_lo_u32 v29, v6, s20
	v_mad_u64_u32 v[6:7], s[0:1], v6, s18, v[19:20]
	v_add_u32_e32 v7, 40, v1
	v_min_i32_e32 v7, s2, v7
	v_mul_lo_u32 v30, v7, s20
	v_mad_u64_u32 v[7:8], s[0:1], v7, s18, v[19:20]
	v_add_u32_e32 v8, 48, v1
	v_min_i32_e32 v8, s2, v8
	v_mul_lo_u32 v31, v8, s20
	v_mad_u64_u32 v[8:9], s[0:1], v8, s18, v[19:20]
	v_add_u32_e32 v9, 56, v1
	v_min_i32_e32 v9, s2, v9
	v_mul_lo_u32 v32, v9, s20
	v_mad_u64_u32 v[9:10], s[0:1], v9, s18, v[19:20]
	v_add_u32_e32 v10, 64, v1
	v_min_i32_e32 v10, s2, v10
	v_mul_lo_u32 v33, v10, s20
	v_mad_u64_u32 v[10:11], s[0:1], v10, s18, v[19:20]
	v_add_u32_e32 v11, 0x48, v1
	v_min_i32_e32 v11, s2, v11
	v_mul_lo_u32 v34, v11, s20
	v_mad_u64_u32 v[11:12], s[0:1], v11, s18, v[19:20]
	v_add_u32_e32 v12, 0x50, v1
	v_min_i32_e32 v12, s2, v12
	v_mul_lo_u32 v35, v12, s20
	v_mad_u64_u32 v[12:13], s[0:1], v12, s18, v[19:20]
	v_add_u32_e32 v13, 0x58, v1
	v_min_i32_e32 v13, s2, v13
	v_mul_lo_u32 v36, v13, s20
	v_mad_u64_u32 v[13:14], s[0:1], v13, s18, v[19:20]
	v_add_u32_e32 v14, 0x60, v1
	v_min_i32_e32 v14, s2, v14
	v_mul_lo_u32 v37, v14, s20
	v_mad_u64_u32 v[14:15], s[0:1], v14, s18, v[19:20]
	v_add_u32_e32 v15, 0x68, v1
	v_min_i32_e32 v15, s2, v15
	v_mul_lo_u32 v38, v15, s20
	v_mad_u64_u32 v[15:16], s[0:1], v15, s18, v[19:20]
	v_add_u32_e32 v16, 0x70, v1
	v_min_i32_e32 v16, s2, v16
	v_mul_lo_u32 v39, v16, s20
	v_mad_u64_u32 v[16:17], s[0:1], v16, s18, v[19:20]
	v_add_u32_e32 v17, 0x78, v1
	v_min_i32_e32 v17, s2, v17
	v_mul_lo_u32 v40, v17, s20
	v_mad_u64_u32 v[17:18], s[0:1], v17, s18, v[19:20]
	v_lshrrev_b32_e32 v42, 3, v0
	v_lshl_add_u32 v18, v1, 2, v42
	v_min_i32_e32 v20, s2, v18
	v_ashrrev_i32_e32 v44, 31, v20
	v_lshrrev_b32_e32 v44, 30, v44
	v_mul_lo_u32 v43, v20, s20
	v_add_u32_e32 v44, v20, v44
	v_lshlrev_b32_e32 v65, 5, v20
	v_add_u32_e32 v20, 32, v18
	v_min_i32_e32 v20, s2, v20
	v_and_b32_e32 v41, 7, v0
	v_ashrrev_i32_e32 v45, 31, v20
	v_and_b32_e32 v44, -4, v44
	v_lshlrev_b32_e32 v47, 2, v41
	s_movk_i32 s0, 0x4200
	v_lshrrev_b32_e32 v45, 30, v45
	v_add3_u32 v50, v44, v47, s0
	v_mul_lo_u32 v44, v20, s20
	v_add_u32_e32 v45, v20, v45
	v_lshlrev_b32_e32 v67, 5, v20
	v_add_u32_e32 v20, 64, v18
	v_min_i32_e32 v20, s2, v20
	v_ashrrev_i32_e32 v46, 31, v20
	v_add_u32_e32 v18, 0x60, v18
	v_and_b32_e32 v45, -4, v45
	v_lshrrev_b32_e32 v46, 30, v46
	v_min_i32_e32 v18, s2, v18
	v_add3_u32 v66, v45, v47, s0
	v_mul_lo_u32 v45, v20, s20
	v_add_u32_e32 v46, v20, v46
	v_lshlrev_b32_e32 v69, 5, v20
	v_ashrrev_i32_e32 v20, 31, v18
	v_lshrrev_b32_e32 v20, 30, v20
	v_add_u32_e32 v20, v18, v20
	v_and_b32_e32 v46, -4, v46
	v_and_b32_e32 v20, -4, v20
	s_abs_i32 s2, s14
	v_add3_u32 v68, v46, v47, s0
	v_add3_u32 v47, v20, v47, s0
	v_cvt_f32_u32_e32 v20, s2
	s_sub_i32 s0, 0, s2
	v_mov_b32_e32 v48, 0x5280
	v_mov_b32_e32 v51, 0x5680
	v_rcp_iflag_f32_e32 v20, v20
	v_lshl_add_u32 v48, v1, 7, v48
	v_lshl_add_u32 v1, v1, 4, v51
	v_and_b32_e32 v24, 12, v19
	v_mul_f32_e32 v20, 0x4f7ffffe, v20
	v_cvt_u32_f32_e32 v20, v20
	v_and_b32_e32 v55, 28, v19
	v_add_u32_e32 v51, v1, v19
	s_waitcnt vmcnt(0)
	v_xor_b32_e32 v59, s14, v21
	v_mul_lo_u32 v52, s0, v20
	v_ashrrev_i32_e32 v59, 31, v59
	v_mul_lo_u32 v46, v18, s20
	v_add_u32_e32 v58, 32, v0
	v_mul_hi_u32 v19, v20, v52
	v_sub_u32_e32 v52, 0, v21
	v_max_i32_e32 v54, v21, v52
	v_add_u32_e32 v57, 64, v0
	v_add_u32_e32 v19, v20, v19
	v_mul_hi_u32 v19, v54, v19
	v_add_u32_e32 v56, 0x60, v0
	v_lshrrev_b32_e32 v53, 3, v58
	v_and_b32_e32 v56, 0x1fc, v56
	v_mul_lo_u32 v20, v19, s2
	v_and_b32_e32 v57, 0x1fc, v57
	v_and_b32_e32 v58, 0x1fc, v58
	;; [unrolled: 1-line block ×3, first 2 shown]
	v_sub_u32_e32 v20, v54, v20
	v_add_u32_e32 v54, 1, v19
	v_cmp_le_u32_e64 s[0:1], s2, v20
	v_cndmask_b32_e64 v19, v19, v54, s[0:1]
	v_subrev_u32_e32 v54, s2, v20
	v_cndmask_b32_e64 v20, v20, v54, s[0:1]
	v_add_u32_e32 v54, 1, v19
	v_cmp_le_u32_e64 s[0:1], s2, v20
	v_cndmask_b32_e64 v19, v19, v54, s[0:1]
	v_xor_b32_e32 v19, v19, v59
	v_sub_u32_e32 v19, v19, v59
	v_mul_lo_u32 v54, v19, s12
	v_lshlrev_b32_e32 v59, 5, v0
	v_lshlrev_b32_e32 v18, 5, v18
	v_and_b32_e32 v49, 31, v0
	v_cmp_gt_u32_e32 vcc, 4, v0
	v_cmp_gt_i32_e64 s[0:1], s11, v19
	v_mov_b32_e32 v20, s7
	v_add_co_u32_e64 v19, s[2:3], s6, v55
	v_add_u32_e32 v61, v59, v56
	v_add_u32_e32 v62, v59, v57
	;; [unrolled: 1-line block ×4, first 2 shown]
	v_lshrrev_b32_e32 v23, 2, v0
	v_mov_b32_e32 v22, 0
	v_lshl_or_b32 v49, v49, 2, v48
	v_mul_u32_u24_e32 v52, 0x84, v0
	s_mov_b32 s10, 0
	v_addc_co_u32_e64 v20, s[2:3], 0, v20, s[2:3]
	s_and_b64 s[4:5], vcc, s[0:1]
	v_ashrrev_i32_e32 v55, 31, v54
	v_add_u32_e32 v56, 0x4e00, v61
	v_add_u32_e32 v57, 0x4a00, v62
	;; [unrolled: 1-line block ×4, first 2 shown]
	v_mad_u32_u24 v60, v0, s18, 64
	v_add_u32_e32 v61, 0x4e10, v61
	v_add_u32_e32 v62, 0x4a10, v62
	;; [unrolled: 1-line block ×8, first 2 shown]
	v_mov_b32_e32 v50, 0
	v_mov_b32_e32 v47, 0
	;; [unrolled: 1-line block ×3, first 2 shown]
	s_branch .LBB200_5
.LBB200_4:                              ;   in Loop: Header=BB200_5 Depth=1
	s_add_i32 s10, s10, 8
	s_cmp_ge_i32 s10, s20
	s_cbranch_scc1 .LBB200_21
.LBB200_5:                              ; =>This Loop Header: Depth=1
                                        ;     Child Loop BB200_11 Depth 2
                                        ;     Child Loop BB200_19 Depth 2
	s_mul_i32 s3, s10, 20
	s_mul_hi_u32 s2, s10, 20
	s_add_u32 s18, s8, s3
	s_addc_u32 s19, s21, s2
	v_mad_u64_u32 v[69:70], s[2:3], v23, 20, s[18:19]
	v_mad_i64_i32 v[71:72], s[2:3], v25, 20, v[69:70]
	v_mad_i64_i32 v[73:74], s[2:3], v26, 20, v[69:70]
	v_add_co_u32_e64 v71, s[2:3], v71, v24
	v_addc_co_u32_e64 v72, s[2:3], 0, v72, s[2:3]
	v_add_co_u32_e64 v73, s[2:3], v73, v24
	v_addc_co_u32_e64 v74, s[2:3], 0, v74, s[2:3]
	v_mad_i64_i32 v[75:76], s[2:3], v27, 20, v[69:70]
	v_mad_i64_i32 v[77:78], s[2:3], v28, 20, v[69:70]
	v_add_co_u32_e64 v75, s[2:3], v75, v24
	v_addc_co_u32_e64 v76, s[2:3], 0, v76, s[2:3]
	v_add_co_u32_e64 v77, s[2:3], v77, v24
	v_addc_co_u32_e64 v78, s[2:3], 0, v78, s[2:3]
	;; [unrolled: 6-line block ×4, first 2 shown]
	global_load_dword v87, v[71:72], off offset:4
	global_load_dword v88, v[73:74], off offset:4
	;; [unrolled: 1-line block ×8, first 2 shown]
	v_mad_i64_i32 v[71:72], s[2:3], v33, 20, v[69:70]
	v_mad_i64_i32 v[73:74], s[2:3], v34, 20, v[69:70]
	v_add_co_u32_e64 v71, s[2:3], v71, v24
	v_addc_co_u32_e64 v72, s[2:3], 0, v72, s[2:3]
	v_add_co_u32_e64 v73, s[2:3], v73, v24
	v_addc_co_u32_e64 v74, s[2:3], 0, v74, s[2:3]
	v_mad_i64_i32 v[75:76], s[2:3], v35, 20, v[69:70]
	v_mad_i64_i32 v[77:78], s[2:3], v36, 20, v[69:70]
	v_add_co_u32_e64 v75, s[2:3], v75, v24
	v_addc_co_u32_e64 v76, s[2:3], 0, v76, s[2:3]
	v_add_co_u32_e64 v77, s[2:3], v77, v24
	v_addc_co_u32_e64 v78, s[2:3], 0, v78, s[2:3]
	;; [unrolled: 6-line block ×4, first 2 shown]
	v_mad_u64_u32 v[85:86], s[2:3], v41, 20, s[18:19]
	global_load_dword v95, v[71:72], off offset:4
	global_load_dword v96, v[73:74], off offset:4
	;; [unrolled: 1-line block ×3, first 2 shown]
	s_nop 0
	global_load_dword v77, v[77:78], off offset:4
	s_nop 0
	global_load_dword v78, v[79:80], off offset:4
	;; [unrolled: 2-line block ×3, first 2 shown]
	global_load_dword v80, v[83:84], off offset:4
	s_nop 0
	global_load_dword v81, v[69:70], off offset:4
	s_lshl_b32 s18, s10, 5
	v_mad_i64_i32 v[69:70], s[2:3], v43, 20, v[85:86]
	v_mad_i64_i32 v[71:72], s[2:3], v44, 20, v[85:86]
	;; [unrolled: 1-line block ×4, first 2 shown]
	global_load_dword v69, v[69:70], off
	s_nop 0
	global_load_dword v70, v[71:72], off
	s_nop 0
	global_load_dword v71, v[73:74], off
	global_load_dword v72, v[75:76], off
	s_cmp_lt_i32 s18, s9
	s_waitcnt vmcnt(19)
	ds_write_b32 v2, v87
	s_waitcnt vmcnt(18)
	ds_write_b32 v3, v88
	;; [unrolled: 2-line block ×20, first 2 shown]
	s_cbranch_scc0 .LBB200_4
; %bb.6:                                ;   in Loop: Header=BB200_5 Depth=1
	v_add_u32_e32 v69, s10, v42
	v_cmp_gt_i32_e64 s[2:3], s12, v69
	s_and_b64 s[22:23], s[0:1], s[2:3]
	s_and_saveexec_b64 s[2:3], s[22:23]
	s_cbranch_execz .LBB200_8
; %bb.7:                                ;   in Loop: Header=BB200_5 Depth=1
	v_add_u32_e32 v69, v54, v69
	v_mad_i64_i32 v[69:70], s[22:23], v69, 36, v[19:20]
	global_load_dword v69, v[69:70], off offset:4
	s_waitcnt vmcnt(0)
	ds_write_b32 v49, v69
.LBB200_8:                              ;   in Loop: Header=BB200_5 Depth=1
	s_or_b64 exec, exec, s[2:3]
	v_add_u32_e32 v69, s10, v0
	v_cmp_gt_i32_e64 s[2:3], s12, v69
	s_and_b64 s[22:23], s[4:5], s[2:3]
	s_and_saveexec_b64 s[2:3], s[22:23]
	s_cbranch_execz .LBB200_10
; %bb.9:                                ;   in Loop: Header=BB200_5 Depth=1
	v_add_u32_e32 v70, v54, v69
	v_mad_i64_i32 v[70:71], s[22:23], v70, 36, s[6:7]
	global_load_dword v70, v[70:71], off
	s_waitcnt vmcnt(0)
	ds_write_b32 v51, v70
.LBB200_10:                             ;   in Loop: Header=BB200_5 Depth=1
	s_or_b64 exec, exec, s[2:3]
	s_mov_b32 s2, -4
	v_mov_b32_e32 v70, v48
	v_mov_b32_e32 v71, v1
	;; [unrolled: 1-line block ×7, first 2 shown]
	s_waitcnt lgkmcnt(0)
	s_barrier
.LBB200_11:                             ;   Parent Loop BB200_5 Depth=1
                                        ; =>  This Inner Loop Header: Depth=2
	ds_read_b128 v[77:80], v70
	ds_read_b128 v[81:84], v70 offset:16
	ds_read2_b32 v[85:86], v76 offset0:2 offset1:3
	v_add_u32_e32 v89, 0x1080, v76
	v_add_u32_e32 v91, 0x1088, v76
	;; [unrolled: 1-line block ×5, first 2 shown]
	ds_read_b32 v101, v71
	ds_read_b32 v102, v72
	ds_read2_b32 v[87:88], v76 offset1:1
	ds_read_b32 v103, v73
	ds_read_b32 v104, v74
	;; [unrolled: 1-line block ×3, first 2 shown]
	v_add_u32_e32 v99, 0x3188, v76
	ds_read2_b32 v[89:90], v89 offset1:1
	ds_read2_b32 v[91:92], v91 offset1:1
	;; [unrolled: 1-line block ×6, first 2 shown]
	s_waitcnt lgkmcnt(9)
	v_and_b32_e32 v106, 0xf0f0f0f, v87
	v_lshrrev_b32_e32 v87, 4, v87
	v_pk_mul_f16 v102, v101, v102
	s_waitcnt lgkmcnt(8)
	v_pk_mul_f16 v103, v101, v103
	s_waitcnt lgkmcnt(7)
	;; [unrolled: 2-line block ×3, first 2 shown]
	v_pk_mul_f16 v101, v101, v105
	v_and_b32_e32 v87, 0xf0f0f0f, v87
	v_dot4_i32_i8 v105, v106, v77, 0
	s_waitcnt lgkmcnt(5)
	v_and_b32_e32 v106, 0xf0f0f0f, v89
	v_lshrrev_b32_e32 v89, 4, v89
	s_waitcnt lgkmcnt(3)
	v_and_b32_e32 v113, 0xf0f0f0f, v93
	v_lshrrev_b32_e32 v93, 4, v93
	;; [unrolled: 3-line block ×3, first 2 shown]
	v_and_b32_e32 v107, 0xf0f0f0f, v88
	v_lshrrev_b32_e32 v88, 4, v88
	v_dot4_i32_i8 v87, v87, v81, v105
	v_and_b32_e32 v89, 0xf0f0f0f, v89
	v_dot4_i32_i8 v105, v106, v77, 0
	v_and_b32_e32 v93, 0xf0f0f0f, v93
	;; [unrolled: 2-line block ×4, first 2 shown]
	v_and_b32_e32 v110, 0xf0f0f0f, v90
	v_lshrrev_b32_e32 v90, 4, v90
	v_and_b32_e32 v114, 0xf0f0f0f, v94
	v_lshrrev_b32_e32 v94, 4, v94
	;; [unrolled: 2-line block ×3, first 2 shown]
	v_dot4_i32_i8 v87, v107, v78, v87
	v_dot4_i32_i8 v89, v89, v81, v105
	;; [unrolled: 1-line block ×4, first 2 shown]
	v_and_b32_e32 v108, 0xf0f0f0f, v85
	v_lshrrev_b32_e32 v85, 4, v85
	v_and_b32_e32 v90, 0xf0f0f0f, v90
	v_and_b32_e32 v94, 0xf0f0f0f, v94
	;; [unrolled: 1-line block ×3, first 2 shown]
	v_dot4_i32_i8 v81, v88, v82, v87
	v_dot4_i32_i8 v87, v110, v78, v89
	;; [unrolled: 1-line block ×4, first 2 shown]
	v_and_b32_e32 v85, 0xf0f0f0f, v85
	v_and_b32_e32 v111, 0xf0f0f0f, v91
	v_lshrrev_b32_e32 v91, 4, v91
	v_and_b32_e32 v115, 0xf0f0f0f, v95
	v_lshrrev_b32_e32 v95, 4, v95
	s_waitcnt lgkmcnt(0)
	v_and_b32_e32 v119, 0xf0f0f0f, v99
	v_lshrrev_b32_e32 v99, 4, v99
	v_dot4_i32_i8 v78, v108, v79, v81
	v_dot4_i32_i8 v81, v90, v82, v87
	;; [unrolled: 1-line block ×4, first 2 shown]
	v_and_b32_e32 v109, 0xf0f0f0f, v86
	v_lshrrev_b32_e32 v86, 4, v86
	v_and_b32_e32 v91, 0xf0f0f0f, v91
	v_and_b32_e32 v95, 0xf0f0f0f, v95
	;; [unrolled: 1-line block ×3, first 2 shown]
	v_dot4_i32_i8 v78, v85, v83, v78
	v_dot4_i32_i8 v81, v111, v79, v81
	;; [unrolled: 1-line block ×4, first 2 shown]
	v_and_b32_e32 v86, 0xf0f0f0f, v86
	v_and_b32_e32 v112, 0xf0f0f0f, v92
	v_lshrrev_b32_e32 v92, 4, v92
	v_and_b32_e32 v116, 0xf0f0f0f, v96
	v_lshrrev_b32_e32 v96, 4, v96
	;; [unrolled: 2-line block ×3, first 2 shown]
	v_dot4_i32_i8 v78, v109, v80, v78
	v_dot4_i32_i8 v79, v91, v83, v81
	;; [unrolled: 1-line block ×4, first 2 shown]
	v_and_b32_e32 v92, 0xf0f0f0f, v92
	v_and_b32_e32 v96, 0xf0f0f0f, v96
	;; [unrolled: 1-line block ×3, first 2 shown]
	v_dot4_i32_i8 v78, v86, v84, v78
	v_dot4_i32_i8 v79, v112, v80, v79
	;; [unrolled: 1-line block ×4, first 2 shown]
	v_cvt_f32_i32_e32 v78, v78
	v_dot4_i32_i8 v79, v92, v84, v79
	v_dot4_i32_i8 v80, v96, v84, v81
	;; [unrolled: 1-line block ×3, first 2 shown]
	v_cvt_f32_i32_e32 v79, v79
	v_cvt_f32_i32_e32 v80, v80
	v_cvt_f32_i32_e32 v77, v77
	v_fma_mix_f32 v78, v102, v78, v102 op_sel:[0,0,1] op_sel_hi:[1,0,1]
	s_add_i32 s2, s2, 4
	v_add_f32_e32 v22, v22, v78
	v_fma_mix_f32 v78, v103, v79, v103 op_sel:[0,0,1] op_sel_hi:[1,0,1]
	v_fma_mix_f32 v79, v104, v80, v104 op_sel:[0,0,1] op_sel_hi:[1,0,1]
	;; [unrolled: 1-line block ×3, first 2 shown]
	v_add_u32_e32 v76, 16, v76
	v_add_u32_e32 v75, 4, v75
	v_add_u32_e32 v74, 4, v74
	v_add_u32_e32 v73, 4, v73
	v_add_u32_e32 v72, 4, v72
	v_add_u32_e32 v71, 4, v71
	v_add_u32_e32 v70, 32, v70
	s_cmp_lt_u32 s2, 12
	v_add_f32_e32 v50, v50, v78
	v_add_f32_e32 v47, v47, v79
	v_add_f32_e32 v18, v18, v77
	s_cbranch_scc1 .LBB200_11
; %bb.12:                               ;   in Loop: Header=BB200_5 Depth=1
	s_bitset1_b32 s18, 7
	s_cmp_ge_i32 s18, s9
	s_barrier
	s_cbranch_scc1 .LBB200_4
; %bb.13:                               ;   in Loop: Header=BB200_5 Depth=1
	v_add_u32_e32 v70, s10, v53
	v_cmp_gt_i32_e64 s[2:3], s12, v70
	s_and_b64 s[18:19], s[0:1], s[2:3]
	s_and_saveexec_b64 s[2:3], s[18:19]
	s_cbranch_execz .LBB200_15
; %bb.14:                               ;   in Loop: Header=BB200_5 Depth=1
	v_add_u32_e32 v70, v54, v70
	v_mad_i64_i32 v[70:71], s[18:19], v70, 36, v[19:20]
	global_load_dword v70, v[70:71], off offset:4
	s_waitcnt vmcnt(0)
	ds_write_b32 v49, v70
.LBB200_15:                             ;   in Loop: Header=BB200_5 Depth=1
	s_or_b64 exec, exec, s[2:3]
	s_and_saveexec_b64 s[18:19], vcc
	s_cbranch_execz .LBB200_18
; %bb.16:                               ;   in Loop: Header=BB200_5 Depth=1
	v_or_b32_e32 v70, 4, v69
	v_cmp_gt_i32_e64 s[2:3], s12, v70
	s_and_b64 s[2:3], s[0:1], s[2:3]
	s_and_b64 exec, exec, s[2:3]
	s_cbranch_execz .LBB200_18
; %bb.17:                               ;   in Loop: Header=BB200_5 Depth=1
	v_ashrrev_i32_e32 v70, 31, v69
	v_add_co_u32_e64 v69, s[2:3], v54, v69
	v_addc_co_u32_e64 v71, s[2:3], v55, v70, s[2:3]
	v_mad_u64_u32 v[69:70], s[2:3], v69, 36, s[6:7]
	v_mad_i32_i24 v70, v71, 36, v70
	global_load_dword v69, v[69:70], off offset:144
	s_waitcnt vmcnt(0)
	ds_write_b32 v51, v69
.LBB200_18:                             ;   in Loop: Header=BB200_5 Depth=1
	s_or_b64 exec, exec, s[18:19]
	s_mov_b32 s2, 12
	v_mov_b32_e32 v69, v1
	v_mov_b32_e32 v70, v48
	;; [unrolled: 1-line block ×7, first 2 shown]
	s_waitcnt lgkmcnt(0)
	s_barrier
.LBB200_19:                             ;   Parent Loop BB200_5 Depth=1
                                        ; =>  This Inner Loop Header: Depth=2
	ds_read_b128 v[76:79], v70
	ds_read_b128 v[80:83], v70 offset:16
	ds_read_b32 v100, v69
	ds_read2_b32 v[84:85], v75 offset0:2 offset1:3
	v_add_u32_e32 v88, 0x1080, v75
	v_add_u32_e32 v90, 0x1088, v75
	;; [unrolled: 1-line block ×5, first 2 shown]
	ds_read_b32 v101, v71
	ds_read2_b32 v[86:87], v75 offset1:1
	ds_read_b32 v102, v72
	ds_read_b32 v103, v73
	ds_read_b32 v104, v74
	v_add_u32_e32 v98, 0x3188, v75
	ds_read2_b32 v[88:89], v88 offset1:1
	ds_read2_b32 v[90:91], v90 offset1:1
	;; [unrolled: 1-line block ×6, first 2 shown]
	s_waitcnt lgkmcnt(9)
	v_and_b32_e32 v105, 0xf0f0f0f, v86
	v_lshrrev_b32_e32 v86, 4, v86
	v_pk_mul_f16 v101, v100, v101
	s_waitcnt lgkmcnt(8)
	v_pk_mul_f16 v102, v100, v102
	s_waitcnt lgkmcnt(7)
	;; [unrolled: 2-line block ×3, first 2 shown]
	v_pk_mul_f16 v100, v100, v104
	v_and_b32_e32 v86, 0xf0f0f0f, v86
	v_dot4_i32_i8 v104, v105, v76, 0
	s_waitcnt lgkmcnt(5)
	v_and_b32_e32 v105, 0xf0f0f0f, v88
	v_lshrrev_b32_e32 v88, 4, v88
	s_waitcnt lgkmcnt(3)
	v_and_b32_e32 v112, 0xf0f0f0f, v92
	v_lshrrev_b32_e32 v92, 4, v92
	;; [unrolled: 3-line block ×3, first 2 shown]
	v_and_b32_e32 v106, 0xf0f0f0f, v87
	v_lshrrev_b32_e32 v87, 4, v87
	v_dot4_i32_i8 v86, v86, v80, v104
	v_and_b32_e32 v88, 0xf0f0f0f, v88
	v_dot4_i32_i8 v104, v105, v76, 0
	v_and_b32_e32 v92, 0xf0f0f0f, v92
	;; [unrolled: 2-line block ×4, first 2 shown]
	v_and_b32_e32 v109, 0xf0f0f0f, v89
	v_lshrrev_b32_e32 v89, 4, v89
	v_and_b32_e32 v113, 0xf0f0f0f, v93
	v_lshrrev_b32_e32 v93, 4, v93
	;; [unrolled: 2-line block ×3, first 2 shown]
	v_dot4_i32_i8 v86, v106, v77, v86
	v_dot4_i32_i8 v88, v88, v80, v104
	;; [unrolled: 1-line block ×4, first 2 shown]
	v_and_b32_e32 v107, 0xf0f0f0f, v84
	v_lshrrev_b32_e32 v84, 4, v84
	v_and_b32_e32 v89, 0xf0f0f0f, v89
	v_and_b32_e32 v93, 0xf0f0f0f, v93
	;; [unrolled: 1-line block ×3, first 2 shown]
	v_dot4_i32_i8 v80, v87, v81, v86
	v_dot4_i32_i8 v86, v109, v77, v88
	;; [unrolled: 1-line block ×4, first 2 shown]
	v_and_b32_e32 v84, 0xf0f0f0f, v84
	v_and_b32_e32 v110, 0xf0f0f0f, v90
	v_lshrrev_b32_e32 v90, 4, v90
	v_and_b32_e32 v114, 0xf0f0f0f, v94
	v_lshrrev_b32_e32 v94, 4, v94
	s_waitcnt lgkmcnt(0)
	v_and_b32_e32 v118, 0xf0f0f0f, v98
	v_lshrrev_b32_e32 v98, 4, v98
	v_dot4_i32_i8 v77, v107, v78, v80
	v_dot4_i32_i8 v80, v89, v81, v86
	v_dot4_i32_i8 v86, v93, v81, v87
	v_dot4_i32_i8 v76, v97, v81, v76
	v_and_b32_e32 v108, 0xf0f0f0f, v85
	v_lshrrev_b32_e32 v85, 4, v85
	v_and_b32_e32 v90, 0xf0f0f0f, v90
	v_and_b32_e32 v94, 0xf0f0f0f, v94
	;; [unrolled: 1-line block ×3, first 2 shown]
	v_dot4_i32_i8 v77, v84, v82, v77
	v_dot4_i32_i8 v80, v110, v78, v80
	;; [unrolled: 1-line block ×4, first 2 shown]
	v_and_b32_e32 v85, 0xf0f0f0f, v85
	v_and_b32_e32 v111, 0xf0f0f0f, v91
	v_lshrrev_b32_e32 v91, 4, v91
	v_and_b32_e32 v115, 0xf0f0f0f, v95
	v_lshrrev_b32_e32 v95, 4, v95
	;; [unrolled: 2-line block ×3, first 2 shown]
	v_dot4_i32_i8 v77, v108, v79, v77
	v_dot4_i32_i8 v78, v90, v82, v80
	;; [unrolled: 1-line block ×4, first 2 shown]
	v_and_b32_e32 v91, 0xf0f0f0f, v91
	v_and_b32_e32 v95, 0xf0f0f0f, v95
	;; [unrolled: 1-line block ×3, first 2 shown]
	v_dot4_i32_i8 v77, v85, v83, v77
	v_dot4_i32_i8 v78, v111, v79, v78
	;; [unrolled: 1-line block ×4, first 2 shown]
	v_cvt_f32_i32_e32 v77, v77
	v_dot4_i32_i8 v78, v91, v83, v78
	v_dot4_i32_i8 v79, v95, v83, v80
	;; [unrolled: 1-line block ×3, first 2 shown]
	v_cvt_f32_i32_e32 v78, v78
	v_cvt_f32_i32_e32 v79, v79
	;; [unrolled: 1-line block ×3, first 2 shown]
	v_fma_mix_f32 v77, v101, v77, v101 op_sel:[0,0,1] op_sel_hi:[1,0,1]
	s_add_i32 s2, s2, 4
	v_add_f32_e32 v22, v22, v77
	v_fma_mix_f32 v77, v102, v78, v102 op_sel:[0,0,1] op_sel_hi:[1,0,1]
	v_fma_mix_f32 v78, v103, v79, v103 op_sel:[0,0,1] op_sel_hi:[1,0,1]
	;; [unrolled: 1-line block ×3, first 2 shown]
	v_add_u32_e32 v75, 16, v75
	v_add_u32_e32 v74, 4, v74
	;; [unrolled: 1-line block ×7, first 2 shown]
	s_cmp_lt_u32 s2, 28
	v_add_f32_e32 v50, v50, v77
	v_add_f32_e32 v47, v47, v78
	;; [unrolled: 1-line block ×3, first 2 shown]
	s_cbranch_scc1 .LBB200_19
; %bb.20:                               ;   in Loop: Header=BB200_5 Depth=1
	s_barrier
	s_branch .LBB200_4
.LBB200_21:
	s_mul_i32 s0, s14, s11
	s_waitcnt vmcnt(0)
	v_cmp_gt_i32_e32 vcc, s0, v21
	s_and_saveexec_b64 s[0:1], vcc
	s_cbranch_execz .LBB200_30
; %bb.22:
	v_mul_lo_u32 v1, v21, s13
	v_add_u32_e32 v0, s15, v0
	v_cmp_gt_u32_e32 vcc, s13, v0
	s_and_saveexec_b64 s[0:1], vcc
	s_cbranch_execz .LBB200_24
; %bb.23:
	v_add_u32_e32 v2, v1, v0
	v_mov_b32_e32 v3, 0
	v_lshlrev_b64 v[2:3], 1, v[2:3]
	v_cvt_f16_f32_e32 v5, v22
	v_mov_b32_e32 v4, s17
	v_add_co_u32_e32 v2, vcc, s16, v2
	v_addc_co_u32_e32 v3, vcc, v4, v3, vcc
	global_store_short v[2:3], v5, off
.LBB200_24:
	s_or_b64 exec, exec, s[0:1]
	v_add_u32_e32 v2, 32, v0
	v_cmp_gt_u32_e32 vcc, s13, v2
	s_and_saveexec_b64 s[0:1], vcc
	s_cbranch_execz .LBB200_26
; %bb.25:
	v_add_u32_e32 v2, v1, v2
	v_mov_b32_e32 v3, 0
	v_lshlrev_b64 v[2:3], 1, v[2:3]
	v_cvt_f16_f32_e32 v5, v50
	v_mov_b32_e32 v4, s17
	v_add_co_u32_e32 v2, vcc, s16, v2
	v_addc_co_u32_e32 v3, vcc, v4, v3, vcc
	global_store_short v[2:3], v5, off
.LBB200_26:
	s_or_b64 exec, exec, s[0:1]
	;; [unrolled: 15-line block ×3, first 2 shown]
	v_add_u32_e32 v0, 0x60, v0
	v_cmp_gt_u32_e32 vcc, s13, v0
	s_and_b64 exec, exec, vcc
	s_cbranch_execz .LBB200_30
; %bb.29:
	v_add_u32_e32 v0, v1, v0
	v_mov_b32_e32 v1, 0
	v_lshlrev_b64 v[0:1], 1, v[0:1]
	v_cvt_f16_f32_e32 v3, v18
	v_mov_b32_e32 v2, s17
	v_add_co_u32_e32 v0, vcc, s16, v0
	v_addc_co_u32_e32 v1, vcc, v2, v1, vcc
	global_store_short v[0:1], v3, off
.LBB200_30:
	s_endpgm
	.section	.rodata,"a",@progbits
	.p2align	6, 0x0
	.amdhsa_kernel _ZL8moe_q4_1IN3c104HalfELb1EEvPKvS3_PT_PKiS7_S7_iiiiiii
		.amdhsa_group_segment_fixed_size 22272
		.amdhsa_private_segment_fixed_size 0
		.amdhsa_kernarg_size 76
		.amdhsa_user_sgpr_count 6
		.amdhsa_user_sgpr_private_segment_buffer 1
		.amdhsa_user_sgpr_dispatch_ptr 0
		.amdhsa_user_sgpr_queue_ptr 0
		.amdhsa_user_sgpr_kernarg_segment_ptr 1
		.amdhsa_user_sgpr_dispatch_id 0
		.amdhsa_user_sgpr_flat_scratch_init 0
		.amdhsa_user_sgpr_private_segment_size 0
		.amdhsa_uses_dynamic_stack 0
		.amdhsa_system_sgpr_private_segment_wavefront_offset 0
		.amdhsa_system_sgpr_workgroup_id_x 1
		.amdhsa_system_sgpr_workgroup_id_y 1
		.amdhsa_system_sgpr_workgroup_id_z 0
		.amdhsa_system_sgpr_workgroup_info 0
		.amdhsa_system_vgpr_workitem_id 1
		.amdhsa_next_free_vgpr 121
		.amdhsa_next_free_sgpr 98
		.amdhsa_reserve_vcc 1
		.amdhsa_reserve_flat_scratch 0
		.amdhsa_float_round_mode_32 0
		.amdhsa_float_round_mode_16_64 0
		.amdhsa_float_denorm_mode_32 3
		.amdhsa_float_denorm_mode_16_64 3
		.amdhsa_dx10_clamp 1
		.amdhsa_ieee_mode 1
		.amdhsa_fp16_overflow 0
		.amdhsa_exception_fp_ieee_invalid_op 0
		.amdhsa_exception_fp_denorm_src 0
		.amdhsa_exception_fp_ieee_div_zero 0
		.amdhsa_exception_fp_ieee_overflow 0
		.amdhsa_exception_fp_ieee_underflow 0
		.amdhsa_exception_fp_ieee_inexact 0
		.amdhsa_exception_int_div_zero 0
	.end_amdhsa_kernel
	.section	.text._ZL8moe_q4_1IN3c104HalfELb1EEvPKvS3_PT_PKiS7_S7_iiiiiii,"axG",@progbits,_ZL8moe_q4_1IN3c104HalfELb1EEvPKvS3_PT_PKiS7_S7_iiiiiii,comdat
.Lfunc_end200:
	.size	_ZL8moe_q4_1IN3c104HalfELb1EEvPKvS3_PT_PKiS7_S7_iiiiiii, .Lfunc_end200-_ZL8moe_q4_1IN3c104HalfELb1EEvPKvS3_PT_PKiS7_S7_iiiiiii
                                        ; -- End function
	.set _ZL8moe_q4_1IN3c104HalfELb1EEvPKvS3_PT_PKiS7_S7_iiiiiii.num_vgpr, 121
	.set _ZL8moe_q4_1IN3c104HalfELb1EEvPKvS3_PT_PKiS7_S7_iiiiiii.num_agpr, 0
	.set _ZL8moe_q4_1IN3c104HalfELb1EEvPKvS3_PT_PKiS7_S7_iiiiiii.numbered_sgpr, 24
	.set _ZL8moe_q4_1IN3c104HalfELb1EEvPKvS3_PT_PKiS7_S7_iiiiiii.num_named_barrier, 0
	.set _ZL8moe_q4_1IN3c104HalfELb1EEvPKvS3_PT_PKiS7_S7_iiiiiii.private_seg_size, 0
	.set _ZL8moe_q4_1IN3c104HalfELb1EEvPKvS3_PT_PKiS7_S7_iiiiiii.uses_vcc, 1
	.set _ZL8moe_q4_1IN3c104HalfELb1EEvPKvS3_PT_PKiS7_S7_iiiiiii.uses_flat_scratch, 0
	.set _ZL8moe_q4_1IN3c104HalfELb1EEvPKvS3_PT_PKiS7_S7_iiiiiii.has_dyn_sized_stack, 0
	.set _ZL8moe_q4_1IN3c104HalfELb1EEvPKvS3_PT_PKiS7_S7_iiiiiii.has_recursion, 0
	.set _ZL8moe_q4_1IN3c104HalfELb1EEvPKvS3_PT_PKiS7_S7_iiiiiii.has_indirect_call, 0
	.section	.AMDGPU.csdata,"",@progbits
; Kernel info:
; codeLenInByte = 4688
; TotalNumSgprs: 28
; NumVgprs: 121
; ScratchSize: 0
; MemoryBound: 0
; FloatMode: 240
; IeeeMode: 1
; LDSByteSize: 22272 bytes/workgroup (compile time only)
; SGPRBlocks: 12
; VGPRBlocks: 30
; NumSGPRsForWavesPerEU: 102
; NumVGPRsForWavesPerEU: 121
; Occupancy: 2
; WaveLimiterHint : 1
; COMPUTE_PGM_RSRC2:SCRATCH_EN: 0
; COMPUTE_PGM_RSRC2:USER_SGPR: 6
; COMPUTE_PGM_RSRC2:TRAP_HANDLER: 0
; COMPUTE_PGM_RSRC2:TGID_X_EN: 1
; COMPUTE_PGM_RSRC2:TGID_Y_EN: 1
; COMPUTE_PGM_RSRC2:TGID_Z_EN: 0
; COMPUTE_PGM_RSRC2:TIDIG_COMP_CNT: 1
	.section	.text._ZL8moe_q5_0IN3c104HalfELb0EEvPKvS3_PT_PKiS7_S7_iiiiiii,"axG",@progbits,_ZL8moe_q5_0IN3c104HalfELb0EEvPKvS3_PT_PKiS7_S7_iiiiiii,comdat
	.globl	_ZL8moe_q5_0IN3c104HalfELb0EEvPKvS3_PT_PKiS7_S7_iiiiiii ; -- Begin function _ZL8moe_q5_0IN3c104HalfELb0EEvPKvS3_PT_PKiS7_S7_iiiiiii
	.p2align	8
	.type	_ZL8moe_q5_0IN3c104HalfELb0EEvPKvS3_PT_PKiS7_S7_iiiiiii,@function
_ZL8moe_q5_0IN3c104HalfELb0EEvPKvS3_PT_PKiS7_S7_iiiiiii: ; @_ZL8moe_q5_0IN3c104HalfELb0EEvPKvS3_PT_PKiS7_S7_iiiiiii
; %bb.0:
	s_load_dwordx4 s[0:3], s[4:5], 0x18
	s_mov_b32 s8, s7
	s_mov_b32 s9, 0
	s_lshl_b64 s[10:11], s[8:9], 2
	s_waitcnt lgkmcnt(0)
	s_add_u32 s2, s2, s10
	s_addc_u32 s3, s3, s11
	s_load_dword s2, s[2:3], 0x0
	s_waitcnt lgkmcnt(0)
	s_cmpk_gt_u32 s2, 0xff
	s_cbranch_scc1 .LBB201_26
; %bb.1:
	s_load_dwordx2 s[10:11], s[4:5], 0x28
	s_lshl_b32 s3, s8, 3
	s_waitcnt lgkmcnt(0)
	s_load_dword s7, s[10:11], 0x0
	s_waitcnt lgkmcnt(0)
	s_cmp_gt_u32 s3, s7
	s_cbranch_scc1 .LBB201_26
; %bb.2:
	v_add_u32_e32 v8, s3, v1
	v_mov_b32_e32 v9, 0
	v_lshlrev_b64 v[2:3], 2, v[8:9]
	v_mov_b32_e32 v4, s1
	v_add_co_u32_e32 v2, vcc, s0, v2
	v_addc_co_u32_e32 v3, vcc, v4, v3, vcc
	global_load_dword v10, v[2:3], off
	s_load_dwordx2 s[14:15], s[4:5], 0x30
	s_load_dwordx2 s[12:13], s[4:5], 0x10
	s_load_dwordx4 s[8:11], s[4:5], 0x3c
	s_lshl_b32 s20, s6, 7
	v_mov_b32_e32 v107, v9
	s_waitcnt lgkmcnt(0)
	s_cmp_lt_i32 s15, 32
	v_mov_b32_e32 v112, v9
	v_mov_b32_e32 v11, v9
	s_cbranch_scc1 .LBB201_17
; %bb.3:
	s_ashr_i32 s0, s15, 31
	s_ashr_i32 s1, s9, 31
	s_lshr_b32 s0, s0, 27
	s_lshr_b32 s1, s1, 27
	v_lshrrev_b32_e32 v29, 3, v0
	s_add_i32 s0, s15, s0
	s_add_i32 s1, s9, s1
	v_lshl_add_u32 v6, v1, 2, v29
	s_ashr_i32 s21, s0, 5
	s_ashr_i32 s9, s1, 5
	v_lshlrev_b32_e32 v2, 3, v0
	s_movk_i32 s1, 0x104
	v_add_u32_e32 v8, 32, v6
	v_mad_u32_u24 v13, v1, s1, v2
	v_and_b32_e32 v109, 7, v0
	v_mul_lo_u32 v107, s21, v6
	v_and_b32_e32 v2, 0x7fc, v6
	v_lshlrev_b32_e32 v3, 5, v6
	v_and_b32_e32 v4, 0xffc, v8
	v_lshlrev_b32_e32 v9, 5, v8
	v_add_u32_e32 v8, 64, v6
	v_add_u32_e32 v6, 0x60, v6
	s_mul_i32 s14, s2, s14
	v_lshlrev_b32_e32 v7, 2, v109
	s_mov_b32 s2, 0x8200
	v_and_b32_e32 v30, 0xffc, v8
	v_lshlrev_b32_e32 v120, 5, v8
	v_and_b32_e32 v8, 0xffc, v6
	v_add3_u32 v121, v8, v7, s2
	v_mov_b32_e32 v8, 0x9280
	v_add3_u32 v119, v30, v7, s2
	v_lshlrev_b32_e32 v122, 5, v6
	v_and_b32_e32 v6, 31, v0
	v_lshl_add_u32 v30, v1, 7, v8
	v_lshl_or_b32 v31, v6, 2, v30
	v_mov_b32_e32 v6, 0x9680
	v_lshlrev_b32_e32 v5, 2, v0
	v_lshl_add_u32 v32, v1, 4, v6
	s_abs_i32 s3, s11
	v_and_b32_e32 v12, 12, v5
	v_add3_u32 v2, v2, v7, s2
	v_add3_u32 v4, v4, v7, s2
	v_and_b32_e32 v7, 28, v5
	v_add_u32_e32 v33, v32, v5
	v_cvt_f32_u32_e32 v5, s3
	v_mul_lo_u32 v43, s21, v1
	v_and_b32_e32 v1, 0xfc, v0
	v_lshlrev_b32_e32 v6, 5, v0
	v_rcp_iflag_f32_e32 v5, v5
	s_sub_i32 s16, 0, s3
	v_add3_u32 v35, v6, v1, s2
	v_add_u32_e32 v1, 32, v0
	v_mul_f32_e32 v5, 0x4f7ffffe, v5
	v_cvt_u32_f32_e32 v5, v5
	v_and_b32_e32 v6, 0x1fc, v1
	v_lshlrev_b32_e32 v8, 5, v1
	v_add3_u32 v36, v8, v6, s2
	v_mul_lo_u32 v38, s16, v5
	v_add_u32_e32 v6, 64, v0
	v_and_b32_e32 v8, 0x1fc, v6
	v_lshlrev_b32_e32 v6, 5, v6
	v_add3_u32 v37, v6, v8, s2
	v_mul_hi_u32 v8, v5, v38
	s_waitcnt vmcnt(0)
	v_sub_u32_e32 v39, 0, v10
	v_max_i32_e32 v40, v10, v39
	v_lshrrev_b32_e32 v39, 3, v1
	v_add_u32_e32 v5, v5, v8
	v_mul_hi_u32 v5, v40, v5
	v_add_u32_e32 v6, 0x60, v0
	v_and_b32_e32 v38, 0x1fc, v6
	v_lshlrev_b32_e32 v6, 5, v6
	v_mul_lo_u32 v1, v5, s3
	v_add_u32_e32 v8, 1, v5
	v_add3_u32 v38, v6, v38, s2
	v_xor_b32_e32 v6, s11, v10
	v_sub_u32_e32 v1, v40, v1
	v_cmp_le_u32_e32 vcc, s3, v1
	v_cndmask_b32_e32 v5, v5, v8, vcc
	v_subrev_u32_e32 v8, s3, v1
	v_cndmask_b32_e32 v1, v1, v8, vcc
	v_add_u32_e32 v8, 1, v5
	v_cmp_le_u32_e32 vcc, s3, v1
	s_load_dwordx4 s[4:7], s[4:5], 0x0
	v_ashrrev_i32_e32 v6, 31, v6
	v_cndmask_b32_e32 v1, v5, v8, vcc
	v_xor_b32_e32 v1, v1, v6
	v_sub_u32_e32 v1, v1, v6
	v_cmp_gt_i32_e64 s[2:3], s8, v1
	v_mul_lo_u32 v1, v1, s9
	s_waitcnt lgkmcnt(0)
	v_mov_b32_e32 v6, s7
	v_add_co_u32_e32 v5, vcc, s6, v7
	v_addc_co_u32_e32 v6, vcc, 0, v6, vcc
	v_ashrrev_i32_e32 v7, 31, v1
	v_add_co_u32_e32 v8, vcc, v1, v0
	s_mul_i32 s23, s21, s20
	v_addc_co_u32_e32 v44, vcc, 0, v7, vcc
	v_mad_u64_u32 v[7:8], s[18:19], v8, 36, s[6:7]
	v_lshrrev_b32_e32 v42, 2, v0
	s_mul_hi_i32 s19, s23, 22
	s_mul_i32 s18, s23, 22
	v_mad_u64_u32 v[101:102], s[26:27], v42, 22, s[18:19]
	s_movk_i32 s23, 0x90
	v_mad_i32_i24 v8, v44, 36, v8
	v_mad_u64_u32 v[45:46], s[26:27], v43, 22, v[101:102]
	v_add_co_u32_e32 v7, vcc, s23, v7
	v_addc_co_u32_e32 v8, vcc, 0, v8, vcc
	s_lshl_b32 s1, s21, 3
	v_add_u32_e32 v40, v39, v1
	v_add_u32_e32 v41, v29, v1
	;; [unrolled: 1-line block ×3, first 2 shown]
	v_add_co_u32_e32 v1, vcc, v45, v12
	v_add_u32_e32 v47, s1, v43
	v_addc_co_u32_e32 v43, vcc, 0, v46, vcc
	v_mov_b32_e32 v44, s5
	v_add_co_u32_e32 v1, vcc, s4, v1
	v_addc_co_u32_e32 v44, vcc, v44, v43, vcc
	v_add_co_u32_e32 v43, vcc, 6, v1
	v_mad_u64_u32 v[49:50], s[26:27], v47, 22, v[101:102]
	v_addc_co_u32_e32 v44, vcc, 0, v44, vcc
	v_mov_b32_e32 v1, s5
	v_add_co_u32_e32 v45, vcc, s4, v45
	v_addc_co_u32_e32 v46, vcc, v1, v46, vcc
	v_add_co_u32_e32 v1, vcc, v49, v12
	v_add_u32_e32 v51, s1, v47
	v_addc_co_u32_e32 v47, vcc, 0, v50, vcc
	v_mov_b32_e32 v48, s5
	v_add_co_u32_e32 v1, vcc, s4, v1
	v_addc_co_u32_e32 v48, vcc, v48, v47, vcc
	v_add_co_u32_e32 v47, vcc, 6, v1
	v_addc_co_u32_e32 v48, vcc, 0, v48, vcc
	v_mov_b32_e32 v1, s5
	v_add_co_u32_e32 v49, vcc, s4, v49
	v_mad_u64_u32 v[53:54], s[26:27], v51, 22, v[101:102]
	v_addc_co_u32_e32 v1, vcc, v1, v50, vcc
	v_add_co_u32_e32 v49, vcc, 2, v49
	v_addc_co_u32_e32 v50, vcc, 0, v1, vcc
	v_add_co_u32_e32 v1, vcc, v53, v12
	v_add_u32_e32 v55, s1, v51
	v_addc_co_u32_e32 v51, vcc, 0, v54, vcc
	v_mov_b32_e32 v52, s5
	v_add_co_u32_e32 v1, vcc, s4, v1
	v_addc_co_u32_e32 v52, vcc, v52, v51, vcc
	v_add_co_u32_e32 v51, vcc, 6, v1
	v_addc_co_u32_e32 v52, vcc, 0, v52, vcc
	v_mov_b32_e32 v1, s5
	v_add_co_u32_e32 v53, vcc, s4, v53
	v_mad_u64_u32 v[57:58], s[26:27], v55, 22, v[101:102]
	v_addc_co_u32_e32 v1, vcc, v1, v54, vcc
	;; [unrolled: 14-line block ×14, first 2 shown]
	v_add_co_u32_e32 v101, vcc, 2, v103
	v_addc_co_u32_e32 v102, vcc, 0, v1, vcc
	v_add_co_u32_e32 v1, vcc, v105, v12
	v_addc_co_u32_e32 v103, vcc, 0, v106, vcc
	v_mov_b32_e32 v104, s5
	v_add_co_u32_e32 v1, vcc, s4, v1
	v_addc_co_u32_e32 v104, vcc, v104, v103, vcc
	v_add_co_u32_e32 v103, vcc, 6, v1
	s_andn2_b32 s0, s0, 31
	v_addc_co_u32_e32 v104, vcc, 0, v104, vcc
	v_add_u32_e32 v110, s0, v107
	v_mov_b32_e32 v1, s5
	v_add_co_u32_e32 v105, vcc, s4, v105
	v_mad_u64_u32 v[107:108], s[26:27], v107, 22, 0
	v_addc_co_u32_e32 v1, vcc, v1, v106, vcc
	v_add_co_u32_e32 v105, vcc, 2, v105
	v_addc_co_u32_e32 v106, vcc, 0, v1, vcc
	v_mov_b32_e32 v1, s19
	v_add_co_u32_e32 v107, vcc, s18, v107
	v_addc_co_u32_e32 v1, vcc, v1, v108, vcc
	v_mul_u32_u24_e32 v118, 22, v109
	v_add_u32_e32 v112, s0, v110
	v_mul_hi_u32_u24_e32 v117, 22, v109
	v_add_co_u32_e32 v107, vcc, v107, v118
	v_mad_u64_u32 v[110:111], s[26:27], v110, 22, 0
	v_addc_co_u32_e32 v1, vcc, v1, v117, vcc
	v_mov_b32_e32 v109, s5
	v_add_co_u32_e32 v108, vcc, s4, v107
	v_addc_co_u32_e32 v109, vcc, v109, v1, vcc
	v_mov_b32_e32 v1, s19
	v_add_co_u32_e32 v107, vcc, s18, v110
	v_addc_co_u32_e32 v1, vcc, v1, v111, vcc
	v_add_u32_e32 v114, s0, v112
	v_add_co_u32_e32 v107, vcc, v107, v118
	v_mad_u64_u32 v[112:113], s[26:27], v112, 22, 0
	v_addc_co_u32_e32 v1, vcc, v1, v117, vcc
	v_mov_b32_e32 v111, s5
	v_add_co_u32_e32 v110, vcc, s4, v107
	v_addc_co_u32_e32 v111, vcc, v111, v1, vcc
	v_mov_b32_e32 v1, s19
	v_add_co_u32_e32 v107, vcc, s18, v112
	v_addc_co_u32_e32 v1, vcc, v1, v113, vcc
	v_add_co_u32_e32 v107, vcc, v107, v118
	v_mad_u64_u32 v[115:116], s[26:27], v114, 22, 0
	v_addc_co_u32_e32 v1, vcc, v1, v117, vcc
	v_mov_b32_e32 v112, s5
	v_add_co_u32_e32 v113, vcc, s4, v107
	v_addc_co_u32_e32 v114, vcc, v112, v1, vcc
	v_mov_b32_e32 v1, s19
	v_add_co_u32_e32 v107, vcc, s18, v115
	v_addc_co_u32_e32 v1, vcc, v1, v116, vcc
	v_add_co_u32_e32 v107, vcc, v107, v118
	v_addc_co_u32_e32 v1, vcc, v1, v117, vcc
	s_ashr_i32 s24, s14, 31
	v_cmp_gt_u32_e64 s[0:1], 4, v0
	v_add_co_u32_e32 v115, vcc, s4, v107
	v_mov_b32_e32 v11, 0
	v_add_u32_e32 v14, 0x820, v13
	v_add_u32_e32 v15, 0x1040, v13
	;; [unrolled: 1-line block ×15, first 2 shown]
	v_mul_u32_u24_e32 v34, 0x104, v0
	s_mov_b32 s22, 0
	s_and_b64 s[16:17], s[0:1], s[2:3]
	v_addc_co_u32_e32 v116, vcc, v112, v1, vcc
	s_movk_i32 s18, 0x80
	s_movk_i32 s19, 0x1f00
	s_mov_b32 s23, 0xc0c0105
	v_add_u32_e32 v117, v2, v3
	v_add_u32_e32 v118, v4, v9
	;; [unrolled: 1-line block ×4, first 2 shown]
	v_mov_b32_e32 v121, s24
	v_mov_b32_e32 v122, 8
	;; [unrolled: 1-line block ×5, first 2 shown]
	s_branch .LBB201_6
.LBB201_4:                              ;   in Loop: Header=BB201_6 Depth=1
	s_or_b64 exec, exec, s[4:5]
	s_waitcnt lgkmcnt(0)
	s_barrier
	ds_read_b128 v[1:4], v32
	ds_read2_b32 v[139:140], v34 offset0:32 offset1:33
	ds_read_b128 v[123:126], v30
	ds_read_b128 v[127:130], v30 offset:16
	ds_read_b128 v[131:134], v30 offset:32
	;; [unrolled: 1-line block ×3, first 2 shown]
	ds_read2_b32 v[141:142], v35 offset0:4 offset1:5
	ds_read2_b32 v[143:144], v34 offset0:34 offset1:35
	s_waitcnt lgkmcnt(5)
	v_dot4_i32_i8 v139, v139, v123, 0
	s_waitcnt lgkmcnt(4)
	v_dot4_i32_i8 v149, v140, v127, v139
	ds_read2_b32 v[139:140], v34 offset0:36 offset1:37
	ds_read2_b32 v[145:146], v34 offset0:38 offset1:39
	;; [unrolled: 1-line block ×3, first 2 shown]
	s_waitcnt lgkmcnt(4)
	v_mul_f32_e32 v141, v1, v141
	s_waitcnt lgkmcnt(3)
	v_dot4_i32_i8 v143, v143, v124, v149
	v_dot4_i32_i8 v143, v144, v128, v143
	s_waitcnt lgkmcnt(2)
	v_dot4_i32_i8 v139, v139, v125, v143
	v_dot4_i32_i8 v139, v140, v129, v139
	;; [unrolled: 3-line block ×3, first 2 shown]
	v_add_u32_e32 v149, 0x2100, v34
	v_cvt_f32_i32_e32 v151, v139
	ds_read2_b32 v[139:140], v34 offset0:58 offset1:59
	ds_read2_b32 v[143:144], v34 offset0:60 offset1:61
	ds_read2_b32 v[145:146], v34 offset0:62 offset1:63
	ds_read2_b32 v[149:150], v149 offset1:1
	v_add_u32_e32 v157, 0x2110, v34
	v_fmac_f32_e32 v11, v141, v151
	ds_read2_b32 v[151:152], v36 offset0:4 offset1:5
	ds_read2_b32 v[153:154], v38 offset0:4 offset1:5
	;; [unrolled: 1-line block ×3, first 2 shown]
	v_add_u32_e32 v159, 0x2118, v34
	s_waitcnt lgkmcnt(3)
	v_dot4_i32_i8 v141, v149, v123, 0
	v_add_u32_e32 v149, 0x2108, v34
	v_dot4_i32_i8 v141, v150, v127, v141
	ds_read2_b32 v[149:150], v149 offset1:1
	v_add_u32_e32 v161, 0x4180, v34
	ds_read2_b32 v[157:158], v157 offset1:1
	ds_read2_b32 v[159:160], v159 offset1:1
	;; [unrolled: 1-line block ×3, first 2 shown]
	s_waitcnt lgkmcnt(6)
	v_mul_f32_e32 v151, v1, v151
	v_add_u32_e32 v165, 0x4198, v34
	s_waitcnt lgkmcnt(3)
	v_dot4_i32_i8 v141, v149, v124, v141
	v_dot4_i32_i8 v141, v150, v128, v141
	s_waitcnt lgkmcnt(2)
	v_dot4_i32_i8 v141, v157, v125, v141
	v_dot4_i32_i8 v141, v158, v129, v141
	;; [unrolled: 3-line block ×3, first 2 shown]
	v_cvt_f32_i32_e32 v141, v141
	ds_read2_b32 v[149:150], v37 offset0:4 offset1:5
	ds_read2_b32 v[157:158], v36 offset0:6 offset1:7
	;; [unrolled: 1-line block ×3, first 2 shown]
	v_add_u32_e32 v167, 0x6200, v34
	v_fmac_f32_e32 v112, v151, v141
	s_waitcnt lgkmcnt(3)
	v_dot4_i32_i8 v141, v161, v123, 0
	v_add_u32_e32 v151, 0x4188, v34
	v_dot4_i32_i8 v141, v162, v127, v141
	ds_read2_b32 v[161:162], v151 offset1:1
	v_add_u32_e32 v151, 0x4190, v34
	ds_read2_b32 v[163:164], v151 offset1:1
	ds_read2_b32 v[165:166], v165 offset1:1
	;; [unrolled: 1-line block ×3, first 2 shown]
	v_add_u32_e32 v151, 0x6218, v34
	s_waitcnt lgkmcnt(6)
	v_mul_f32_e32 v149, v1, v149
	s_waitcnt lgkmcnt(3)
	v_dot4_i32_i8 v141, v161, v124, v141
	v_dot4_i32_i8 v141, v162, v128, v141
	s_waitcnt lgkmcnt(0)
	v_dot4_i32_i8 v123, v167, v123, 0
	v_dot4_i32_i8 v123, v168, v127, v123
	v_add_u32_e32 v127, 0x6208, v34
	ds_read2_b32 v[161:162], v127 offset1:1
	v_dot4_i32_i8 v141, v163, v125, v141
	v_dot4_i32_i8 v141, v164, v129, v141
	;; [unrolled: 1-line block ×3, first 2 shown]
	v_add_u32_e32 v127, 0x6210, v34
	v_add_u32_e32 v167, 0x2120, v34
	v_dot4_i32_i8 v141, v166, v130, v141
	ds_read2_b32 v[163:164], v127 offset1:1
	ds_read2_b32 v[165:166], v151 offset1:1
	;; [unrolled: 1-line block ×3, first 2 shown]
	s_waitcnt lgkmcnt(3)
	v_dot4_i32_i8 v123, v161, v124, v123
	v_dot4_i32_i8 v123, v162, v128, v123
	s_waitcnt lgkmcnt(2)
	v_dot4_i32_i8 v123, v163, v125, v123
	v_dot4_i32_i8 v123, v164, v129, v123
	;; [unrolled: 3-line block ×3, first 2 shown]
	v_cvt_f32_i32_e32 v123, v123
	v_mul_f32_e32 v1, v1, v153
	ds_read2_b32 v[161:162], v37 offset0:6 offset1:7
	v_cvt_f32_i32_e32 v141, v141
	v_fmac_f32_e32 v9, v1, v123
	ds_read2_b32 v[123:124], v34 offset0:42 offset1:43
	v_dot4_i32_i8 v1, v147, v131, 0
	v_dot4_i32_i8 v1, v148, v135, v1
	ds_read2_b32 v[125:126], v34 offset0:44 offset1:45
	ds_read2_b32 v[127:128], v34 offset0:46 offset1:47
	;; [unrolled: 1-line block ×3, first 2 shown]
	v_fmac_f32_e32 v107, v149, v141
	s_waitcnt lgkmcnt(3)
	v_dot4_i32_i8 v1, v123, v132, v1
	v_dot4_i32_i8 v123, v167, v131, 0
	;; [unrolled: 1-line block ×3, first 2 shown]
	v_add_u32_e32 v123, 0x2128, v34
	v_dot4_i32_i8 v1, v124, v136, v1
	ds_read2_b32 v[123:124], v123 offset1:1
	s_waitcnt lgkmcnt(3)
	v_dot4_i32_i8 v1, v125, v133, v1
	v_dot4_i32_i8 v1, v126, v137, v1
	s_waitcnt lgkmcnt(2)
	v_dot4_i32_i8 v1, v127, v134, v1
	v_add_u32_e32 v125, 0x2130, v34
	v_add_u32_e32 v127, 0x2138, v34
	;; [unrolled: 1-line block ×3, first 2 shown]
	v_dot4_i32_i8 v1, v128, v138, v1
	ds_read2_b32 v[125:126], v125 offset1:1
	ds_read2_b32 v[127:128], v127 offset1:1
	ds_read2_b32 v[129:130], v129 offset1:1
	s_waitcnt lgkmcnt(3)
	v_dot4_i32_i8 v123, v123, v132, v141
	v_dot4_i32_i8 v123, v124, v136, v123
	s_waitcnt lgkmcnt(2)
	v_dot4_i32_i8 v123, v125, v133, v123
	v_dot4_i32_i8 v123, v126, v137, v123
	s_waitcnt lgkmcnt(1)
	v_dot4_i32_i8 v123, v127, v134, v123
	v_cvt_f32_i32_e32 v1, v1
	v_dot4_i32_i8 v123, v128, v138, v123
	v_cvt_f32_i32_e32 v123, v123
	v_mul_f32_e32 v124, v2, v142
	v_fmac_f32_e32 v11, v124, v1
	v_mul_f32_e32 v1, v2, v152
	v_fmac_f32_e32 v112, v1, v123
	s_waitcnt lgkmcnt(0)
	v_dot4_i32_i8 v1, v129, v131, 0
	v_add_u32_e32 v123, 0x41a8, v34
	v_add_u32_e32 v125, 0x41b0, v34
	;; [unrolled: 1-line block ×4, first 2 shown]
	v_dot4_i32_i8 v1, v130, v135, v1
	ds_read2_b32 v[123:124], v123 offset1:1
	ds_read2_b32 v[125:126], v125 offset1:1
	;; [unrolled: 1-line block ×4, first 2 shown]
	v_mul_f32_e32 v149, v2, v150
	s_waitcnt lgkmcnt(3)
	v_dot4_i32_i8 v1, v123, v132, v1
	s_waitcnt lgkmcnt(0)
	v_dot4_i32_i8 v123, v129, v131, 0
	v_dot4_i32_i8 v129, v130, v135, v123
	v_add_u32_e32 v123, 0x6228, v34
	v_dot4_i32_i8 v1, v124, v136, v1
	ds_read2_b32 v[123:124], v123 offset1:1
	v_dot4_i32_i8 v1, v125, v133, v1
	v_dot4_i32_i8 v1, v126, v137, v1
	v_dot4_i32_i8 v1, v127, v134, v1
	v_add_u32_e32 v125, 0x6230, v34
	v_add_u32_e32 v127, 0x6238, v34
	v_dot4_i32_i8 v1, v128, v138, v1
	v_add_u32_e32 v130, 0x2140, v34
	ds_read2_b32 v[125:126], v125 offset1:1
	ds_read2_b32 v[127:128], v127 offset1:1
	;; [unrolled: 1-line block ×3, first 2 shown]
	s_waitcnt lgkmcnt(3)
	v_dot4_i32_i8 v123, v123, v132, v129
	v_dot4_i32_i8 v123, v124, v136, v123
	s_waitcnt lgkmcnt(2)
	v_dot4_i32_i8 v123, v125, v133, v123
	v_dot4_i32_i8 v123, v126, v137, v123
	s_waitcnt lgkmcnt(1)
	v_dot4_i32_i8 v123, v127, v134, v123
	v_cvt_f32_i32_e32 v1, v1
	v_dot4_i32_i8 v123, v128, v138, v123
	v_cvt_f32_i32_e32 v131, v123
	ds_read_b128 v[123:126], v30 offset:64
	ds_read_b128 v[127:130], v30 offset:80
	v_fmac_f32_e32 v107, v149, v1
	v_mul_f32_e32 v1, v2, v154
	v_fmac_f32_e32 v9, v1, v131
	ds_read2_b32 v[1:2], v34 offset0:50 offset1:51
	s_waitcnt lgkmcnt(2)
	v_dot4_i32_i8 v131, v147, v123, 0
	s_waitcnt lgkmcnt(1)
	v_dot4_i32_i8 v137, v148, v127, v131
	ds_read2_b32 v[131:132], v34 offset0:52 offset1:53
	ds_read2_b32 v[133:134], v34 offset0:54 offset1:55
	;; [unrolled: 1-line block ×3, first 2 shown]
	s_waitcnt lgkmcnt(3)
	v_dot4_i32_i8 v1, v1, v124, v137
	v_dot4_i32_i8 v1, v2, v128, v1
	s_waitcnt lgkmcnt(2)
	v_dot4_i32_i8 v1, v131, v125, v1
	v_dot4_i32_i8 v1, v132, v129, v1
	;; [unrolled: 3-line block ×3, first 2 shown]
	v_cvt_f32_i32_e32 v147, v1
	v_dot4_i32_i8 v1, v141, v123, 0
	v_dot4_i32_i8 v141, v142, v127, v1
	v_add_u32_e32 v1, 0x2148, v34
	ds_read2_b32 v[1:2], v1 offset1:1
	v_add_u32_e32 v131, 0x2150, v34
	v_add_u32_e32 v133, 0x2158, v34
	;; [unrolled: 1-line block ×3, first 2 shown]
	ds_read2_b32 v[131:132], v131 offset1:1
	ds_read2_b32 v[133:134], v133 offset1:1
	;; [unrolled: 1-line block ×3, first 2 shown]
	s_waitcnt lgkmcnt(3)
	v_dot4_i32_i8 v1, v1, v124, v141
	v_dot4_i32_i8 v1, v2, v128, v1
	s_waitcnt lgkmcnt(2)
	v_dot4_i32_i8 v1, v131, v125, v1
	v_dot4_i32_i8 v1, v132, v129, v1
	;; [unrolled: 3-line block ×3, first 2 shown]
	v_cvt_f32_i32_e32 v1, v1
	v_mul_f32_e32 v2, v3, v159
	v_fmac_f32_e32 v11, v2, v147
	v_mul_f32_e32 v2, v3, v157
	v_fmac_f32_e32 v112, v2, v1
	s_waitcnt lgkmcnt(0)
	v_dot4_i32_i8 v1, v137, v123, 0
	v_dot4_i32_i8 v141, v138, v127, v1
	v_add_u32_e32 v1, 0x41c8, v34
	ds_read2_b32 v[1:2], v1 offset1:1
	v_add_u32_e32 v131, 0x41d0, v34
	v_add_u32_e32 v133, 0x41d8, v34
	;; [unrolled: 1-line block ×3, first 2 shown]
	ds_read2_b32 v[131:132], v131 offset1:1
	ds_read2_b32 v[133:134], v133 offset1:1
	;; [unrolled: 1-line block ×3, first 2 shown]
	s_waitcnt lgkmcnt(3)
	v_dot4_i32_i8 v1, v1, v124, v141
	v_dot4_i32_i8 v1, v2, v128, v1
	s_waitcnt lgkmcnt(2)
	v_dot4_i32_i8 v1, v131, v125, v1
	v_dot4_i32_i8 v1, v132, v129, v1
	;; [unrolled: 3-line block ×3, first 2 shown]
	v_cvt_f32_i32_e32 v142, v1
	s_waitcnt lgkmcnt(0)
	v_dot4_i32_i8 v1, v137, v123, 0
	v_dot4_i32_i8 v123, v138, v127, v1
	v_add_u32_e32 v1, 0x6248, v34
	ds_read2_b32 v[1:2], v1 offset1:1
	v_add_u32_e32 v127, 0x6250, v34
	v_add_u32_e32 v133, 0x6258, v34
	;; [unrolled: 1-line block ×3, first 2 shown]
	ds_read2_b32 v[131:132], v127 offset1:1
	ds_read2_b32 v[133:134], v133 offset1:1
	;; [unrolled: 1-line block ×3, first 2 shown]
	s_waitcnt lgkmcnt(3)
	v_dot4_i32_i8 v1, v1, v124, v123
	v_dot4_i32_i8 v1, v2, v128, v1
	s_waitcnt lgkmcnt(2)
	v_dot4_i32_i8 v1, v131, v125, v1
	v_dot4_i32_i8 v1, v132, v129, v1
	s_waitcnt lgkmcnt(1)
	v_dot4_i32_i8 v1, v133, v126, v1
	v_dot4_i32_i8 v1, v134, v130, v1
	v_cvt_f32_i32_e32 v1, v1
	ds_read_b128 v[123:126], v30 offset:96
	ds_read_b128 v[127:130], v30 offset:112
	v_mul_f32_e32 v2, v3, v155
	v_mul_f32_e32 v141, v3, v161
	v_fmac_f32_e32 v9, v2, v1
	s_waitcnt lgkmcnt(1)
	v_dot4_i32_i8 v1, v135, v123, 0
	s_waitcnt lgkmcnt(0)
	v_dot4_i32_i8 v1, v136, v127, v1
	v_dot4_i32_i8 v1, v139, v124, v1
	;; [unrolled: 1-line block ×7, first 2 shown]
	v_cvt_f32_i32_e32 v3, v1
	v_dot4_i32_i8 v1, v137, v123, 0
	v_dot4_i32_i8 v137, v138, v127, v1
	v_add_u32_e32 v1, 0x2168, v34
	ds_read2_b32 v[1:2], v1 offset1:1
	v_add_u32_e32 v131, 0x2170, v34
	v_add_u32_e32 v133, 0x2178, v34
	;; [unrolled: 1-line block ×3, first 2 shown]
	ds_read2_b32 v[131:132], v131 offset1:1
	ds_read2_b32 v[133:134], v133 offset1:1
	;; [unrolled: 1-line block ×3, first 2 shown]
	s_waitcnt lgkmcnt(3)
	v_dot4_i32_i8 v1, v1, v124, v137
	v_dot4_i32_i8 v1, v2, v128, v1
	s_waitcnt lgkmcnt(2)
	v_dot4_i32_i8 v1, v131, v125, v1
	v_dot4_i32_i8 v1, v132, v129, v1
	;; [unrolled: 3-line block ×3, first 2 shown]
	v_cvt_f32_i32_e32 v1, v1
	v_mul_f32_e32 v2, v4, v160
	v_fmac_f32_e32 v11, v2, v3
	v_mul_f32_e32 v2, v4, v158
	v_fmac_f32_e32 v112, v2, v1
	s_waitcnt lgkmcnt(0)
	v_dot4_i32_i8 v1, v135, v123, 0
	v_dot4_i32_i8 v3, v136, v127, v1
	v_add_u32_e32 v1, 0x41e8, v34
	ds_read2_b32 v[1:2], v1 offset1:1
	v_add_u32_e32 v131, 0x41f0, v34
	v_add_u32_e32 v133, 0x41f8, v34
	;; [unrolled: 1-line block ×3, first 2 shown]
	ds_read2_b32 v[131:132], v131 offset1:1
	ds_read2_b32 v[133:134], v133 offset1:1
	;; [unrolled: 1-line block ×3, first 2 shown]
	s_waitcnt lgkmcnt(3)
	v_dot4_i32_i8 v1, v1, v124, v3
	v_dot4_i32_i8 v1, v2, v128, v1
	s_waitcnt lgkmcnt(2)
	v_dot4_i32_i8 v1, v131, v125, v1
	v_dot4_i32_i8 v1, v132, v129, v1
	;; [unrolled: 3-line block ×3, first 2 shown]
	v_cvt_f32_i32_e32 v3, v1
	s_waitcnt lgkmcnt(0)
	v_dot4_i32_i8 v1, v135, v123, 0
	v_dot4_i32_i8 v123, v136, v127, v1
	v_add_u32_e32 v1, 0x6268, v34
	ds_read2_b32 v[1:2], v1 offset1:1
	v_add_u32_e32 v127, 0x6270, v34
	ds_read2_b32 v[131:132], v127 offset1:1
	;; [unrolled: 2-line block ×3, first 2 shown]
	s_waitcnt lgkmcnt(2)
	v_dot4_i32_i8 v1, v1, v124, v123
	v_dot4_i32_i8 v1, v2, v128, v1
	s_waitcnt lgkmcnt(1)
	v_dot4_i32_i8 v1, v131, v125, v1
	v_dot4_i32_i8 v1, v132, v129, v1
	;; [unrolled: 3-line block ×3, first 2 shown]
	v_cvt_f32_i32_e32 v1, v1
	v_fmac_f32_e32 v107, v141, v142
	v_mul_f32_e32 v2, v4, v162
	v_fmac_f32_e32 v107, v2, v3
	v_mul_f32_e32 v2, v4, v156
	v_fmac_f32_e32 v9, v2, v1
	s_barrier
.LBB201_5:                              ;   in Loop: Header=BB201_6 Depth=1
	v_add_co_u32_e32 v7, vcc, 0x120, v7
	v_addc_co_u32_e32 v8, vcc, 0, v8, vcc
	v_add_co_u32_e32 v43, vcc, 0xb0, v43
	v_addc_co_u32_e32 v44, vcc, 0, v44, vcc
	;; [unrolled: 2-line block ×36, first 2 shown]
	s_add_i32 s22, s22, 8
	s_addk_i32 s18, 0x100
	v_add_co_u32_e32 v115, vcc, 0xb0, v115
	s_cmp_ge_i32 s22, s21
	v_addc_co_u32_e32 v116, vcc, 0, v116, vcc
	s_cbranch_scc1 .LBB201_17
.LBB201_6:                              ; =>This Inner Loop Header: Depth=1
	v_add_co_u32_e32 v1, vcc, s14, v43
	v_addc_co_u32_e32 v2, vcc, v44, v121, vcc
	global_load_dword v123, v[1:2], off
	v_add_co_u32_e32 v1, vcc, s14, v45
	v_addc_co_u32_e32 v2, vcc, v46, v121, vcc
	global_load_dword v124, v[1:2], off offset:2
	v_add_co_u32_e32 v1, vcc, s14, v47
	v_addc_co_u32_e32 v2, vcc, v48, v121, vcc
	v_add_co_u32_e32 v3, vcc, s14, v49
	v_addc_co_u32_e32 v4, vcc, v50, v121, vcc
	global_load_dword v125, v[3:4], off
	global_load_dword v126, v[1:2], off
	v_add_co_u32_e32 v1, vcc, s14, v51
	v_addc_co_u32_e32 v2, vcc, v52, v121, vcc
	v_add_co_u32_e32 v3, vcc, s14, v53
	v_addc_co_u32_e32 v4, vcc, v54, v121, vcc
	global_load_dword v127, v[1:2], off
	global_load_dword v128, v[3:4], off
	s_add_i32 s4, s18, 0xffffff80
	s_cmp_lt_i32 s4, s15
	s_waitcnt vmcnt(5)
	v_and_b32_e32 v2, 0xf0f0f0f, v123
	v_lshrrev_b32_e32 v3, 4, v123
	v_and_b32_e32 v3, 0xf0f0f0f, v3
	s_waitcnt vmcnt(4)
	v_ashrrev_i32_e32 v1, v12, v124
	v_lshlrev_b32_e32 v124, 4, v1
	v_lshlrev_b32_e32 v129, 18, v1
	;; [unrolled: 1-line block ×3, first 2 shown]
	v_lshrrev_b32_e32 v131, 12, v1
	v_lshrrev_b32_e32 v132, 5, v1
	v_lshlrev_b32_e32 v133, 2, v1
	v_and_b32_e32 v124, 16, v124
	s_waitcnt vmcnt(3)
	v_ashrrev_i32_e32 v123, v12, v125
	v_lshlrev_b32_e32 v125, 11, v1
	v_lshlrev_b32_e32 v1, 9, v1
	v_and_b32_e32 v125, 0x1000, v125
	v_and_b32_e32 v129, 0x100000, v129
	;; [unrolled: 1-line block ×7, first 2 shown]
	v_or3_b32 v124, v124, v2, v125
	v_or3_b32 v2, v2, v129, v130
	;; [unrolled: 1-line block ×4, first 2 shown]
	v_and_b32_e32 v129, 0x1f00, v124
	v_lshlrev_b16_e32 v124, 8, v124
	v_and_b32_sdwa v130, v2, s19 dst_sel:DWORD dst_unused:UNUSED_PAD src0_sel:WORD_1 src1_sel:DWORD
	v_lshlrev_b16_sdwa v2, v122, v2 dst_sel:DWORD dst_unused:UNUSED_PAD src0_sel:DWORD src1_sel:WORD_1
	v_and_b32_e32 v132, 0x1f00, v125
	v_lshlrev_b16_e32 v125, 8, v125
	v_and_b32_sdwa v131, v1, s19 dst_sel:DWORD dst_unused:UNUSED_PAD src0_sel:WORD_1 src1_sel:DWORD
	v_lshlrev_b16_sdwa v1, v122, v1 dst_sel:DWORD dst_unused:UNUSED_PAD src0_sel:DWORD src1_sel:WORD_1
	v_add_u16_e32 v129, 0xf000, v129
	v_add_u16_e32 v124, 0xf000, v124
	;; [unrolled: 1-line block ×5, first 2 shown]
	v_lshlrev_b32_e32 v134, 4, v123
	v_lshlrev_b32_e32 v135, 11, v123
	;; [unrolled: 1-line block ×4, first 2 shown]
	v_add_u16_e32 v131, 0xf000, v131
	v_add_u16_e32 v1, 0xf000, v1
	v_perm_b32 v124, v124, v129, s23
	v_perm_b32 v2, v2, v130, s23
	v_or_b32_sdwa v125, v132, v125 dst_sel:DWORD dst_unused:UNUSED_PAD src0_sel:DWORD src1_sel:BYTE_1
	s_waitcnt vmcnt(2)
	v_and_b32_e32 v4, 0xf0f0f0f, v126
	v_and_b32_e32 v134, 16, v134
	;; [unrolled: 1-line block ×5, first 2 shown]
	v_perm_b32 v1, v1, v131, s23
	v_lshl_or_b32 v2, v2, 16, v124
	v_add_u16_e32 v124, 0xf000, v125
	v_or3_b32 v3, v134, v4, v135
	v_or3_b32 v4, v4, v136, v137
	v_lshl_or_b32 v1, v1, 16, v124
	v_and_b32_e32 v133, 0x1f00, v3
	ds_write2_b32 v13, v2, v1 offset1:1
	v_lshlrev_b16_e32 v1, 8, v3
	v_and_b32_sdwa v2, v4, s19 dst_sel:DWORD dst_unused:UNUSED_PAD src0_sel:WORD_1 src1_sel:DWORD
	v_lshlrev_b16_sdwa v3, v122, v4 dst_sel:DWORD dst_unused:UNUSED_PAD src0_sel:DWORD src1_sel:WORD_1
	v_add_u16_e32 v133, 0xf000, v133
	v_add_u16_e32 v1, 0xf000, v1
	;; [unrolled: 1-line block ×4, first 2 shown]
	v_perm_b32 v1, v1, v133, s23
	v_perm_b32 v2, v3, v2, s23
	v_lshl_or_b32 v124, v2, 16, v1
	v_lshrrev_b32_e32 v1, 4, v126
	v_and_b32_e32 v125, 0xf0f0f0f, v1
	v_add_co_u32_e32 v1, vcc, s14, v55
	v_addc_co_u32_e32 v2, vcc, v56, v121, vcc
	v_add_co_u32_e32 v3, vcc, s14, v57
	v_addc_co_u32_e32 v4, vcc, v58, v121, vcc
	v_lshrrev_b32_e32 v126, 12, v123
	global_load_dword v129, v[3:4], off
	global_load_dword v130, v[1:2], off
	v_lshrrev_b32_e32 v2, 5, v123
	v_and_b32_e32 v1, 16, v126
	v_and_b32_e32 v2, 0x1000, v2
	v_or3_b32 v1, v1, v125, v2
	v_lshlrev_b32_e32 v2, 2, v123
	v_lshlrev_b32_e32 v3, 9, v123
	v_and_b32_e32 v2, 0x100000, v2
	v_and_b32_e32 v3, 0x10000000, v3
	v_or3_b32 v2, v125, v2, v3
	v_and_b32_sdwa v3, v2, s19 dst_sel:DWORD dst_unused:UNUSED_PAD src0_sel:WORD_1 src1_sel:DWORD
	v_lshlrev_b16_sdwa v2, v122, v2 dst_sel:DWORD dst_unused:UNUSED_PAD src0_sel:DWORD src1_sel:WORD_1
	v_add_u16_e32 v3, 0xf000, v3
	v_add_u16_e32 v2, 0xf000, v2
	v_perm_b32 v2, v2, v3, s23
	v_and_b32_e32 v3, 0x1f00, v1
	v_lshlrev_b16_e32 v1, 8, v1
	v_add_u16_e32 v1, 0xf000, v1
	v_or_b32_sdwa v1, v3, v1 dst_sel:DWORD dst_unused:UNUSED_PAD src0_sel:DWORD src1_sel:BYTE_1
	v_add_u16_e32 v1, 0xf000, v1
	s_waitcnt vmcnt(2)
	v_ashrrev_i32_e32 v123, v12, v128
	v_lshl_or_b32 v1, v2, 16, v1
	v_lshlrev_b32_e32 v2, 4, v123
	v_lshlrev_b32_e32 v3, 11, v123
	ds_write2_b32 v14, v124, v1 offset1:1
	v_and_b32_e32 v1, 0xf0f0f0f, v127
	v_and_b32_e32 v2, 16, v2
	;; [unrolled: 1-line block ×3, first 2 shown]
	v_or3_b32 v2, v2, v1, v3
	v_lshlrev_b32_e32 v3, 18, v123
	v_lshlrev_b32_e32 v4, 25, v123
	v_and_b32_e32 v3, 0x100000, v3
	v_and_b32_e32 v4, 0x10000000, v4
	v_or3_b32 v1, v1, v3, v4
	v_and_b32_e32 v3, 0x1f00, v2
	v_lshlrev_b16_e32 v2, 8, v2
	v_add_u16_e32 v3, 0xf000, v3
	v_add_u16_e32 v2, 0xf000, v2
	v_perm_b32 v2, v2, v3, s23
	v_and_b32_sdwa v3, v1, s19 dst_sel:DWORD dst_unused:UNUSED_PAD src0_sel:WORD_1 src1_sel:DWORD
	v_lshlrev_b16_sdwa v1, v122, v1 dst_sel:DWORD dst_unused:UNUSED_PAD src0_sel:DWORD src1_sel:WORD_1
	v_add_u16_e32 v3, 0xf000, v3
	v_add_u16_e32 v1, 0xf000, v1
	v_perm_b32 v1, v1, v3, s23
	v_lshl_or_b32 v124, v1, 16, v2
	v_lshrrev_b32_e32 v1, 4, v127
	v_and_b32_e32 v125, 0xf0f0f0f, v1
	v_add_co_u32_e32 v1, vcc, s14, v59
	v_addc_co_u32_e32 v2, vcc, v60, v121, vcc
	v_add_co_u32_e32 v3, vcc, s14, v61
	v_addc_co_u32_e32 v4, vcc, v62, v121, vcc
	global_load_dword v127, v[3:4], off
	global_load_dword v128, v[1:2], off
	v_lshrrev_b32_e32 v126, 12, v123
	v_lshrrev_b32_e32 v2, 5, v123
	v_and_b32_e32 v1, 16, v126
	v_and_b32_e32 v2, 0x1000, v2
	v_or3_b32 v1, v1, v125, v2
	v_lshlrev_b32_e32 v2, 2, v123
	v_lshlrev_b32_e32 v3, 9, v123
	v_and_b32_e32 v2, 0x100000, v2
	v_and_b32_e32 v3, 0x10000000, v3
	v_or3_b32 v2, v125, v2, v3
	v_and_b32_sdwa v3, v2, s19 dst_sel:DWORD dst_unused:UNUSED_PAD src0_sel:WORD_1 src1_sel:DWORD
	v_lshlrev_b16_sdwa v2, v122, v2 dst_sel:DWORD dst_unused:UNUSED_PAD src0_sel:DWORD src1_sel:WORD_1
	v_add_u16_e32 v3, 0xf000, v3
	v_add_u16_e32 v2, 0xf000, v2
	v_perm_b32 v2, v2, v3, s23
	v_and_b32_e32 v3, 0x1f00, v1
	v_lshlrev_b16_e32 v1, 8, v1
	v_add_u16_e32 v1, 0xf000, v1
	v_or_b32_sdwa v1, v3, v1 dst_sel:DWORD dst_unused:UNUSED_PAD src0_sel:DWORD src1_sel:BYTE_1
	v_add_u16_e32 v1, 0xf000, v1
	v_lshl_or_b32 v1, v2, 16, v1
	ds_write2_b32 v15, v124, v1 offset1:1
	s_waitcnt vmcnt(3)
	v_ashrrev_i32_e32 v123, v12, v129
	v_lshlrev_b32_e32 v2, 4, v123
	v_lshlrev_b32_e32 v3, 11, v123
	s_waitcnt vmcnt(2)
	v_and_b32_e32 v1, 0xf0f0f0f, v130
	v_and_b32_e32 v2, 16, v2
	;; [unrolled: 1-line block ×3, first 2 shown]
	v_or3_b32 v2, v2, v1, v3
	v_lshlrev_b32_e32 v3, 18, v123
	v_lshlrev_b32_e32 v4, 25, v123
	v_and_b32_e32 v3, 0x100000, v3
	v_and_b32_e32 v4, 0x10000000, v4
	v_or3_b32 v1, v1, v3, v4
	v_and_b32_e32 v3, 0x1f00, v2
	v_lshlrev_b16_e32 v2, 8, v2
	v_add_u16_e32 v3, 0xf000, v3
	v_add_u16_e32 v2, 0xf000, v2
	v_perm_b32 v2, v2, v3, s23
	v_and_b32_sdwa v3, v1, s19 dst_sel:DWORD dst_unused:UNUSED_PAD src0_sel:WORD_1 src1_sel:DWORD
	v_lshlrev_b16_sdwa v1, v122, v1 dst_sel:DWORD dst_unused:UNUSED_PAD src0_sel:DWORD src1_sel:WORD_1
	v_add_u16_e32 v3, 0xf000, v3
	v_add_u16_e32 v1, 0xf000, v1
	v_perm_b32 v1, v1, v3, s23
	v_lshl_or_b32 v124, v1, 16, v2
	v_lshrrev_b32_e32 v1, 4, v130
	v_and_b32_e32 v125, 0xf0f0f0f, v1
	v_add_co_u32_e32 v1, vcc, s14, v63
	v_addc_co_u32_e32 v2, vcc, v64, v121, vcc
	v_add_co_u32_e32 v3, vcc, s14, v65
	v_addc_co_u32_e32 v4, vcc, v66, v121, vcc
	v_lshrrev_b32_e32 v126, 12, v123
	global_load_dword v129, v[3:4], off
	global_load_dword v130, v[1:2], off
	v_lshrrev_b32_e32 v2, 5, v123
	v_and_b32_e32 v1, 16, v126
	v_and_b32_e32 v2, 0x1000, v2
	v_or3_b32 v1, v1, v125, v2
	v_lshlrev_b32_e32 v2, 2, v123
	v_lshlrev_b32_e32 v3, 9, v123
	v_and_b32_e32 v2, 0x100000, v2
	v_and_b32_e32 v3, 0x10000000, v3
	v_or3_b32 v2, v125, v2, v3
	v_and_b32_sdwa v3, v2, s19 dst_sel:DWORD dst_unused:UNUSED_PAD src0_sel:WORD_1 src1_sel:DWORD
	v_lshlrev_b16_sdwa v2, v122, v2 dst_sel:DWORD dst_unused:UNUSED_PAD src0_sel:DWORD src1_sel:WORD_1
	v_add_u16_e32 v3, 0xf000, v3
	v_add_u16_e32 v2, 0xf000, v2
	v_perm_b32 v2, v2, v3, s23
	v_and_b32_e32 v3, 0x1f00, v1
	v_lshlrev_b16_e32 v1, 8, v1
	v_add_u16_e32 v1, 0xf000, v1
	v_or_b32_sdwa v1, v3, v1 dst_sel:DWORD dst_unused:UNUSED_PAD src0_sel:DWORD src1_sel:BYTE_1
	v_add_u16_e32 v1, 0xf000, v1
	v_lshl_or_b32 v1, v2, 16, v1
	s_waitcnt vmcnt(3)
	v_ashrrev_i32_e32 v123, v12, v127
	v_lshlrev_b32_e32 v2, 4, v123
	v_lshlrev_b32_e32 v3, 11, v123
	ds_write2_b32 v16, v124, v1 offset1:1
	s_waitcnt vmcnt(2)
	v_and_b32_e32 v1, 0xf0f0f0f, v128
	v_and_b32_e32 v2, 16, v2
	;; [unrolled: 1-line block ×3, first 2 shown]
	v_or3_b32 v2, v2, v1, v3
	v_lshlrev_b32_e32 v3, 18, v123
	v_lshlrev_b32_e32 v4, 25, v123
	v_and_b32_e32 v3, 0x100000, v3
	v_and_b32_e32 v4, 0x10000000, v4
	v_or3_b32 v1, v1, v3, v4
	v_and_b32_e32 v3, 0x1f00, v2
	v_lshlrev_b16_e32 v2, 8, v2
	v_add_u16_e32 v3, 0xf000, v3
	v_add_u16_e32 v2, 0xf000, v2
	v_perm_b32 v2, v2, v3, s23
	v_and_b32_sdwa v3, v1, s19 dst_sel:DWORD dst_unused:UNUSED_PAD src0_sel:WORD_1 src1_sel:DWORD
	v_lshlrev_b16_sdwa v1, v122, v1 dst_sel:DWORD dst_unused:UNUSED_PAD src0_sel:DWORD src1_sel:WORD_1
	v_add_u16_e32 v3, 0xf000, v3
	v_add_u16_e32 v1, 0xf000, v1
	v_perm_b32 v1, v1, v3, s23
	v_lshl_or_b32 v124, v1, 16, v2
	v_lshrrev_b32_e32 v1, 4, v128
	v_and_b32_e32 v125, 0xf0f0f0f, v1
	v_add_co_u32_e32 v1, vcc, s14, v67
	v_addc_co_u32_e32 v2, vcc, v68, v121, vcc
	v_add_co_u32_e32 v3, vcc, s14, v69
	v_addc_co_u32_e32 v4, vcc, v70, v121, vcc
	global_load_dword v127, v[3:4], off
	global_load_dword v128, v[1:2], off
	v_lshrrev_b32_e32 v126, 12, v123
	v_lshrrev_b32_e32 v2, 5, v123
	v_and_b32_e32 v1, 16, v126
	v_and_b32_e32 v2, 0x1000, v2
	v_or3_b32 v1, v1, v125, v2
	v_lshlrev_b32_e32 v2, 2, v123
	v_lshlrev_b32_e32 v3, 9, v123
	v_and_b32_e32 v2, 0x100000, v2
	v_and_b32_e32 v3, 0x10000000, v3
	v_or3_b32 v2, v125, v2, v3
	v_and_b32_sdwa v3, v2, s19 dst_sel:DWORD dst_unused:UNUSED_PAD src0_sel:WORD_1 src1_sel:DWORD
	v_lshlrev_b16_sdwa v2, v122, v2 dst_sel:DWORD dst_unused:UNUSED_PAD src0_sel:DWORD src1_sel:WORD_1
	v_add_u16_e32 v3, 0xf000, v3
	v_add_u16_e32 v2, 0xf000, v2
	v_perm_b32 v2, v2, v3, s23
	v_and_b32_e32 v3, 0x1f00, v1
	v_lshlrev_b16_e32 v1, 8, v1
	v_add_u16_e32 v1, 0xf000, v1
	v_or_b32_sdwa v1, v3, v1 dst_sel:DWORD dst_unused:UNUSED_PAD src0_sel:DWORD src1_sel:BYTE_1
	v_add_u16_e32 v1, 0xf000, v1
	v_lshl_or_b32 v1, v2, 16, v1
	ds_write2_b32 v17, v124, v1 offset1:1
	s_waitcnt vmcnt(3)
	v_ashrrev_i32_e32 v123, v12, v129
	v_lshlrev_b32_e32 v2, 4, v123
	v_lshlrev_b32_e32 v3, 11, v123
	s_waitcnt vmcnt(2)
	v_and_b32_e32 v1, 0xf0f0f0f, v130
	v_and_b32_e32 v2, 16, v2
	;; [unrolled: 1-line block ×3, first 2 shown]
	v_or3_b32 v2, v2, v1, v3
	v_lshlrev_b32_e32 v3, 18, v123
	v_lshlrev_b32_e32 v4, 25, v123
	v_and_b32_e32 v3, 0x100000, v3
	v_and_b32_e32 v4, 0x10000000, v4
	v_or3_b32 v1, v1, v3, v4
	v_and_b32_e32 v3, 0x1f00, v2
	v_lshlrev_b16_e32 v2, 8, v2
	v_add_u16_e32 v3, 0xf000, v3
	v_add_u16_e32 v2, 0xf000, v2
	v_perm_b32 v2, v2, v3, s23
	v_and_b32_sdwa v3, v1, s19 dst_sel:DWORD dst_unused:UNUSED_PAD src0_sel:WORD_1 src1_sel:DWORD
	v_lshlrev_b16_sdwa v1, v122, v1 dst_sel:DWORD dst_unused:UNUSED_PAD src0_sel:DWORD src1_sel:WORD_1
	v_add_u16_e32 v3, 0xf000, v3
	v_add_u16_e32 v1, 0xf000, v1
	v_perm_b32 v1, v1, v3, s23
	v_lshl_or_b32 v124, v1, 16, v2
	v_lshrrev_b32_e32 v1, 4, v130
	v_and_b32_e32 v125, 0xf0f0f0f, v1
	v_add_co_u32_e32 v1, vcc, s14, v71
	v_addc_co_u32_e32 v2, vcc, v72, v121, vcc
	v_add_co_u32_e32 v3, vcc, s14, v73
	v_addc_co_u32_e32 v4, vcc, v74, v121, vcc
	v_lshrrev_b32_e32 v126, 12, v123
	global_load_dword v129, v[3:4], off
	global_load_dword v130, v[1:2], off
	v_lshrrev_b32_e32 v2, 5, v123
	v_and_b32_e32 v1, 16, v126
	v_and_b32_e32 v2, 0x1000, v2
	v_or3_b32 v1, v1, v125, v2
	v_lshlrev_b32_e32 v2, 2, v123
	v_lshlrev_b32_e32 v3, 9, v123
	v_and_b32_e32 v2, 0x100000, v2
	v_and_b32_e32 v3, 0x10000000, v3
	v_or3_b32 v2, v125, v2, v3
	v_and_b32_sdwa v3, v2, s19 dst_sel:DWORD dst_unused:UNUSED_PAD src0_sel:WORD_1 src1_sel:DWORD
	v_lshlrev_b16_sdwa v2, v122, v2 dst_sel:DWORD dst_unused:UNUSED_PAD src0_sel:DWORD src1_sel:WORD_1
	v_add_u16_e32 v3, 0xf000, v3
	v_add_u16_e32 v2, 0xf000, v2
	v_perm_b32 v2, v2, v3, s23
	v_and_b32_e32 v3, 0x1f00, v1
	v_lshlrev_b16_e32 v1, 8, v1
	v_add_u16_e32 v1, 0xf000, v1
	v_or_b32_sdwa v1, v3, v1 dst_sel:DWORD dst_unused:UNUSED_PAD src0_sel:DWORD src1_sel:BYTE_1
	v_add_u16_e32 v1, 0xf000, v1
	v_lshl_or_b32 v1, v2, 16, v1
	s_waitcnt vmcnt(3)
	v_ashrrev_i32_e32 v123, v12, v127
	v_lshlrev_b32_e32 v2, 4, v123
	v_lshlrev_b32_e32 v3, 11, v123
	ds_write2_b32 v18, v124, v1 offset1:1
	s_waitcnt vmcnt(2)
	v_and_b32_e32 v1, 0xf0f0f0f, v128
	v_and_b32_e32 v2, 16, v2
	;; [unrolled: 1-line block ×3, first 2 shown]
	v_or3_b32 v2, v2, v1, v3
	v_lshlrev_b32_e32 v3, 18, v123
	v_lshlrev_b32_e32 v4, 25, v123
	v_and_b32_e32 v3, 0x100000, v3
	v_and_b32_e32 v4, 0x10000000, v4
	v_or3_b32 v1, v1, v3, v4
	v_and_b32_e32 v3, 0x1f00, v2
	v_lshlrev_b16_e32 v2, 8, v2
	v_add_u16_e32 v3, 0xf000, v3
	v_add_u16_e32 v2, 0xf000, v2
	v_perm_b32 v2, v2, v3, s23
	v_and_b32_sdwa v3, v1, s19 dst_sel:DWORD dst_unused:UNUSED_PAD src0_sel:WORD_1 src1_sel:DWORD
	v_lshlrev_b16_sdwa v1, v122, v1 dst_sel:DWORD dst_unused:UNUSED_PAD src0_sel:DWORD src1_sel:WORD_1
	v_add_u16_e32 v3, 0xf000, v3
	v_add_u16_e32 v1, 0xf000, v1
	v_perm_b32 v1, v1, v3, s23
	v_lshl_or_b32 v124, v1, 16, v2
	v_lshrrev_b32_e32 v1, 4, v128
	v_and_b32_e32 v125, 0xf0f0f0f, v1
	v_add_co_u32_e32 v1, vcc, s14, v75
	v_addc_co_u32_e32 v2, vcc, v76, v121, vcc
	v_add_co_u32_e32 v3, vcc, s14, v77
	v_addc_co_u32_e32 v4, vcc, v78, v121, vcc
	global_load_dword v127, v[3:4], off
	global_load_dword v128, v[1:2], off
	v_lshrrev_b32_e32 v126, 12, v123
	v_lshrrev_b32_e32 v2, 5, v123
	v_and_b32_e32 v1, 16, v126
	v_and_b32_e32 v2, 0x1000, v2
	v_or3_b32 v1, v1, v125, v2
	v_lshlrev_b32_e32 v2, 2, v123
	v_lshlrev_b32_e32 v3, 9, v123
	v_and_b32_e32 v2, 0x100000, v2
	v_and_b32_e32 v3, 0x10000000, v3
	v_or3_b32 v2, v125, v2, v3
	v_and_b32_sdwa v3, v2, s19 dst_sel:DWORD dst_unused:UNUSED_PAD src0_sel:WORD_1 src1_sel:DWORD
	v_lshlrev_b16_sdwa v2, v122, v2 dst_sel:DWORD dst_unused:UNUSED_PAD src0_sel:DWORD src1_sel:WORD_1
	v_add_u16_e32 v3, 0xf000, v3
	v_add_u16_e32 v2, 0xf000, v2
	v_perm_b32 v2, v2, v3, s23
	v_and_b32_e32 v3, 0x1f00, v1
	v_lshlrev_b16_e32 v1, 8, v1
	v_add_u16_e32 v1, 0xf000, v1
	v_or_b32_sdwa v1, v3, v1 dst_sel:DWORD dst_unused:UNUSED_PAD src0_sel:DWORD src1_sel:BYTE_1
	v_add_u16_e32 v1, 0xf000, v1
	v_lshl_or_b32 v1, v2, 16, v1
	ds_write2_b32 v19, v124, v1 offset1:1
	s_waitcnt vmcnt(3)
	v_ashrrev_i32_e32 v123, v12, v129
	v_lshlrev_b32_e32 v2, 4, v123
	v_lshlrev_b32_e32 v3, 11, v123
	s_waitcnt vmcnt(2)
	v_and_b32_e32 v1, 0xf0f0f0f, v130
	v_and_b32_e32 v2, 16, v2
	;; [unrolled: 1-line block ×3, first 2 shown]
	v_or3_b32 v2, v2, v1, v3
	v_lshlrev_b32_e32 v3, 18, v123
	v_lshlrev_b32_e32 v4, 25, v123
	v_and_b32_e32 v3, 0x100000, v3
	v_and_b32_e32 v4, 0x10000000, v4
	v_or3_b32 v1, v1, v3, v4
	v_and_b32_e32 v3, 0x1f00, v2
	v_lshlrev_b16_e32 v2, 8, v2
	v_add_u16_e32 v3, 0xf000, v3
	v_add_u16_e32 v2, 0xf000, v2
	v_perm_b32 v2, v2, v3, s23
	v_and_b32_sdwa v3, v1, s19 dst_sel:DWORD dst_unused:UNUSED_PAD src0_sel:WORD_1 src1_sel:DWORD
	v_lshlrev_b16_sdwa v1, v122, v1 dst_sel:DWORD dst_unused:UNUSED_PAD src0_sel:DWORD src1_sel:WORD_1
	v_add_u16_e32 v3, 0xf000, v3
	v_add_u16_e32 v1, 0xf000, v1
	v_perm_b32 v1, v1, v3, s23
	v_lshl_or_b32 v124, v1, 16, v2
	v_lshrrev_b32_e32 v1, 4, v130
	v_and_b32_e32 v125, 0xf0f0f0f, v1
	v_add_co_u32_e32 v1, vcc, s14, v79
	v_addc_co_u32_e32 v2, vcc, v80, v121, vcc
	v_add_co_u32_e32 v3, vcc, s14, v81
	v_addc_co_u32_e32 v4, vcc, v82, v121, vcc
	v_lshrrev_b32_e32 v126, 12, v123
	global_load_dword v129, v[3:4], off
	global_load_dword v130, v[1:2], off
	v_lshrrev_b32_e32 v2, 5, v123
	v_and_b32_e32 v1, 16, v126
	v_and_b32_e32 v2, 0x1000, v2
	v_or3_b32 v1, v1, v125, v2
	v_lshlrev_b32_e32 v2, 2, v123
	v_lshlrev_b32_e32 v3, 9, v123
	v_and_b32_e32 v2, 0x100000, v2
	v_and_b32_e32 v3, 0x10000000, v3
	v_or3_b32 v2, v125, v2, v3
	v_and_b32_sdwa v3, v2, s19 dst_sel:DWORD dst_unused:UNUSED_PAD src0_sel:WORD_1 src1_sel:DWORD
	v_lshlrev_b16_sdwa v2, v122, v2 dst_sel:DWORD dst_unused:UNUSED_PAD src0_sel:DWORD src1_sel:WORD_1
	v_add_u16_e32 v3, 0xf000, v3
	v_add_u16_e32 v2, 0xf000, v2
	v_perm_b32 v2, v2, v3, s23
	v_and_b32_e32 v3, 0x1f00, v1
	v_lshlrev_b16_e32 v1, 8, v1
	v_add_u16_e32 v1, 0xf000, v1
	v_or_b32_sdwa v1, v3, v1 dst_sel:DWORD dst_unused:UNUSED_PAD src0_sel:DWORD src1_sel:BYTE_1
	v_add_u16_e32 v1, 0xf000, v1
	v_lshl_or_b32 v1, v2, 16, v1
	s_waitcnt vmcnt(3)
	v_ashrrev_i32_e32 v123, v12, v127
	v_lshlrev_b32_e32 v2, 4, v123
	v_lshlrev_b32_e32 v3, 11, v123
	ds_write2_b32 v20, v124, v1 offset1:1
	s_waitcnt vmcnt(2)
	v_and_b32_e32 v1, 0xf0f0f0f, v128
	v_and_b32_e32 v2, 16, v2
	;; [unrolled: 1-line block ×3, first 2 shown]
	v_or3_b32 v2, v2, v1, v3
	v_lshlrev_b32_e32 v3, 18, v123
	v_lshlrev_b32_e32 v4, 25, v123
	v_and_b32_e32 v3, 0x100000, v3
	v_and_b32_e32 v4, 0x10000000, v4
	v_or3_b32 v1, v1, v3, v4
	v_and_b32_e32 v3, 0x1f00, v2
	v_lshlrev_b16_e32 v2, 8, v2
	v_add_u16_e32 v3, 0xf000, v3
	v_add_u16_e32 v2, 0xf000, v2
	v_perm_b32 v2, v2, v3, s23
	v_and_b32_sdwa v3, v1, s19 dst_sel:DWORD dst_unused:UNUSED_PAD src0_sel:WORD_1 src1_sel:DWORD
	v_lshlrev_b16_sdwa v1, v122, v1 dst_sel:DWORD dst_unused:UNUSED_PAD src0_sel:DWORD src1_sel:WORD_1
	v_add_u16_e32 v3, 0xf000, v3
	v_add_u16_e32 v1, 0xf000, v1
	v_perm_b32 v1, v1, v3, s23
	v_lshl_or_b32 v124, v1, 16, v2
	v_lshrrev_b32_e32 v1, 4, v128
	v_and_b32_e32 v125, 0xf0f0f0f, v1
	v_add_co_u32_e32 v1, vcc, s14, v83
	v_addc_co_u32_e32 v2, vcc, v84, v121, vcc
	v_add_co_u32_e32 v3, vcc, s14, v85
	v_addc_co_u32_e32 v4, vcc, v86, v121, vcc
	global_load_dword v127, v[3:4], off
	global_load_dword v128, v[1:2], off
	v_lshrrev_b32_e32 v126, 12, v123
	v_lshrrev_b32_e32 v2, 5, v123
	v_and_b32_e32 v1, 16, v126
	v_and_b32_e32 v2, 0x1000, v2
	v_or3_b32 v1, v1, v125, v2
	v_lshlrev_b32_e32 v2, 2, v123
	v_lshlrev_b32_e32 v3, 9, v123
	v_and_b32_e32 v2, 0x100000, v2
	v_and_b32_e32 v3, 0x10000000, v3
	v_or3_b32 v2, v125, v2, v3
	v_and_b32_sdwa v3, v2, s19 dst_sel:DWORD dst_unused:UNUSED_PAD src0_sel:WORD_1 src1_sel:DWORD
	v_lshlrev_b16_sdwa v2, v122, v2 dst_sel:DWORD dst_unused:UNUSED_PAD src0_sel:DWORD src1_sel:WORD_1
	v_add_u16_e32 v3, 0xf000, v3
	v_add_u16_e32 v2, 0xf000, v2
	v_perm_b32 v2, v2, v3, s23
	v_and_b32_e32 v3, 0x1f00, v1
	v_lshlrev_b16_e32 v1, 8, v1
	v_add_u16_e32 v1, 0xf000, v1
	v_or_b32_sdwa v1, v3, v1 dst_sel:DWORD dst_unused:UNUSED_PAD src0_sel:DWORD src1_sel:BYTE_1
	v_add_u16_e32 v1, 0xf000, v1
	v_lshl_or_b32 v1, v2, 16, v1
	ds_write2_b32 v21, v124, v1 offset1:1
	s_waitcnt vmcnt(3)
	v_ashrrev_i32_e32 v123, v12, v129
	v_lshlrev_b32_e32 v2, 4, v123
	v_lshlrev_b32_e32 v3, 11, v123
	s_waitcnt vmcnt(2)
	v_and_b32_e32 v1, 0xf0f0f0f, v130
	v_and_b32_e32 v2, 16, v2
	;; [unrolled: 1-line block ×3, first 2 shown]
	v_or3_b32 v2, v2, v1, v3
	v_lshlrev_b32_e32 v3, 18, v123
	v_lshlrev_b32_e32 v4, 25, v123
	v_and_b32_e32 v3, 0x100000, v3
	v_and_b32_e32 v4, 0x10000000, v4
	v_or3_b32 v1, v1, v3, v4
	v_and_b32_e32 v3, 0x1f00, v2
	v_lshlrev_b16_e32 v2, 8, v2
	v_add_u16_e32 v3, 0xf000, v3
	v_add_u16_e32 v2, 0xf000, v2
	v_perm_b32 v2, v2, v3, s23
	v_and_b32_sdwa v3, v1, s19 dst_sel:DWORD dst_unused:UNUSED_PAD src0_sel:WORD_1 src1_sel:DWORD
	v_lshlrev_b16_sdwa v1, v122, v1 dst_sel:DWORD dst_unused:UNUSED_PAD src0_sel:DWORD src1_sel:WORD_1
	v_add_u16_e32 v3, 0xf000, v3
	v_add_u16_e32 v1, 0xf000, v1
	v_perm_b32 v1, v1, v3, s23
	v_lshl_or_b32 v124, v1, 16, v2
	v_lshrrev_b32_e32 v1, 4, v130
	v_and_b32_e32 v125, 0xf0f0f0f, v1
	v_add_co_u32_e32 v1, vcc, s14, v87
	v_addc_co_u32_e32 v2, vcc, v88, v121, vcc
	v_add_co_u32_e32 v3, vcc, s14, v89
	v_addc_co_u32_e32 v4, vcc, v90, v121, vcc
	v_lshrrev_b32_e32 v126, 12, v123
	global_load_dword v129, v[3:4], off
	global_load_dword v130, v[1:2], off
	v_lshrrev_b32_e32 v2, 5, v123
	v_and_b32_e32 v1, 16, v126
	v_and_b32_e32 v2, 0x1000, v2
	v_or3_b32 v1, v1, v125, v2
	v_lshlrev_b32_e32 v2, 2, v123
	v_lshlrev_b32_e32 v3, 9, v123
	v_and_b32_e32 v2, 0x100000, v2
	v_and_b32_e32 v3, 0x10000000, v3
	v_or3_b32 v2, v125, v2, v3
	v_and_b32_sdwa v3, v2, s19 dst_sel:DWORD dst_unused:UNUSED_PAD src0_sel:WORD_1 src1_sel:DWORD
	v_lshlrev_b16_sdwa v2, v122, v2 dst_sel:DWORD dst_unused:UNUSED_PAD src0_sel:DWORD src1_sel:WORD_1
	v_add_u16_e32 v3, 0xf000, v3
	v_add_u16_e32 v2, 0xf000, v2
	v_perm_b32 v2, v2, v3, s23
	v_and_b32_e32 v3, 0x1f00, v1
	v_lshlrev_b16_e32 v1, 8, v1
	v_add_u16_e32 v1, 0xf000, v1
	v_or_b32_sdwa v1, v3, v1 dst_sel:DWORD dst_unused:UNUSED_PAD src0_sel:DWORD src1_sel:BYTE_1
	v_add_u16_e32 v1, 0xf000, v1
	v_lshl_or_b32 v1, v2, 16, v1
	s_waitcnt vmcnt(3)
	v_ashrrev_i32_e32 v123, v12, v127
	v_lshlrev_b32_e32 v2, 4, v123
	v_lshlrev_b32_e32 v3, 11, v123
	ds_write2_b32 v22, v124, v1 offset1:1
	s_waitcnt vmcnt(2)
	v_and_b32_e32 v1, 0xf0f0f0f, v128
	v_and_b32_e32 v2, 16, v2
	;; [unrolled: 1-line block ×3, first 2 shown]
	v_or3_b32 v2, v2, v1, v3
	v_lshlrev_b32_e32 v3, 18, v123
	v_lshlrev_b32_e32 v4, 25, v123
	v_and_b32_e32 v3, 0x100000, v3
	v_and_b32_e32 v4, 0x10000000, v4
	v_or3_b32 v1, v1, v3, v4
	v_and_b32_e32 v3, 0x1f00, v2
	v_lshlrev_b16_e32 v2, 8, v2
	v_add_u16_e32 v3, 0xf000, v3
	v_add_u16_e32 v2, 0xf000, v2
	v_perm_b32 v2, v2, v3, s23
	v_and_b32_sdwa v3, v1, s19 dst_sel:DWORD dst_unused:UNUSED_PAD src0_sel:WORD_1 src1_sel:DWORD
	v_lshlrev_b16_sdwa v1, v122, v1 dst_sel:DWORD dst_unused:UNUSED_PAD src0_sel:DWORD src1_sel:WORD_1
	v_add_u16_e32 v3, 0xf000, v3
	v_add_u16_e32 v1, 0xf000, v1
	v_perm_b32 v1, v1, v3, s23
	v_lshl_or_b32 v124, v1, 16, v2
	v_lshrrev_b32_e32 v1, 4, v128
	v_and_b32_e32 v125, 0xf0f0f0f, v1
	v_add_co_u32_e32 v1, vcc, s14, v91
	v_addc_co_u32_e32 v2, vcc, v92, v121, vcc
	v_add_co_u32_e32 v3, vcc, s14, v93
	v_addc_co_u32_e32 v4, vcc, v94, v121, vcc
	global_load_dword v127, v[3:4], off
	global_load_dword v128, v[1:2], off
	v_lshrrev_b32_e32 v126, 12, v123
	v_lshrrev_b32_e32 v2, 5, v123
	v_and_b32_e32 v1, 16, v126
	v_and_b32_e32 v2, 0x1000, v2
	v_or3_b32 v1, v1, v125, v2
	v_lshlrev_b32_e32 v2, 2, v123
	v_lshlrev_b32_e32 v3, 9, v123
	v_and_b32_e32 v2, 0x100000, v2
	v_and_b32_e32 v3, 0x10000000, v3
	v_or3_b32 v2, v125, v2, v3
	v_and_b32_sdwa v3, v2, s19 dst_sel:DWORD dst_unused:UNUSED_PAD src0_sel:WORD_1 src1_sel:DWORD
	v_lshlrev_b16_sdwa v2, v122, v2 dst_sel:DWORD dst_unused:UNUSED_PAD src0_sel:DWORD src1_sel:WORD_1
	v_add_u16_e32 v3, 0xf000, v3
	v_add_u16_e32 v2, 0xf000, v2
	v_perm_b32 v2, v2, v3, s23
	v_and_b32_e32 v3, 0x1f00, v1
	v_lshlrev_b16_e32 v1, 8, v1
	v_add_u16_e32 v1, 0xf000, v1
	v_or_b32_sdwa v1, v3, v1 dst_sel:DWORD dst_unused:UNUSED_PAD src0_sel:DWORD src1_sel:BYTE_1
	v_add_u16_e32 v1, 0xf000, v1
	v_lshl_or_b32 v1, v2, 16, v1
	ds_write2_b32 v23, v124, v1 offset1:1
	s_waitcnt vmcnt(3)
	v_ashrrev_i32_e32 v123, v12, v129
	v_lshlrev_b32_e32 v2, 4, v123
	v_lshlrev_b32_e32 v3, 11, v123
	s_waitcnt vmcnt(2)
	v_and_b32_e32 v1, 0xf0f0f0f, v130
	v_and_b32_e32 v2, 16, v2
	;; [unrolled: 1-line block ×3, first 2 shown]
	v_or3_b32 v2, v2, v1, v3
	v_lshlrev_b32_e32 v3, 18, v123
	v_lshlrev_b32_e32 v4, 25, v123
	v_and_b32_e32 v3, 0x100000, v3
	v_and_b32_e32 v4, 0x10000000, v4
	v_or3_b32 v1, v1, v3, v4
	v_and_b32_e32 v3, 0x1f00, v2
	v_lshlrev_b16_e32 v2, 8, v2
	v_add_u16_e32 v3, 0xf000, v3
	v_add_u16_e32 v2, 0xf000, v2
	v_perm_b32 v2, v2, v3, s23
	v_and_b32_sdwa v3, v1, s19 dst_sel:DWORD dst_unused:UNUSED_PAD src0_sel:WORD_1 src1_sel:DWORD
	v_lshlrev_b16_sdwa v1, v122, v1 dst_sel:DWORD dst_unused:UNUSED_PAD src0_sel:DWORD src1_sel:WORD_1
	v_add_u16_e32 v3, 0xf000, v3
	v_add_u16_e32 v1, 0xf000, v1
	v_perm_b32 v1, v1, v3, s23
	v_lshl_or_b32 v124, v1, 16, v2
	v_lshrrev_b32_e32 v1, 4, v130
	v_and_b32_e32 v125, 0xf0f0f0f, v1
	v_add_co_u32_e32 v1, vcc, s14, v95
	v_addc_co_u32_e32 v2, vcc, v96, v121, vcc
	v_add_co_u32_e32 v3, vcc, s14, v97
	v_addc_co_u32_e32 v4, vcc, v98, v121, vcc
	v_lshrrev_b32_e32 v126, 12, v123
	global_load_dword v129, v[3:4], off
	global_load_dword v130, v[1:2], off
	v_lshrrev_b32_e32 v2, 5, v123
	v_and_b32_e32 v1, 16, v126
	v_and_b32_e32 v2, 0x1000, v2
	v_or3_b32 v1, v1, v125, v2
	v_lshlrev_b32_e32 v2, 2, v123
	v_lshlrev_b32_e32 v3, 9, v123
	v_and_b32_e32 v2, 0x100000, v2
	v_and_b32_e32 v3, 0x10000000, v3
	v_or3_b32 v2, v125, v2, v3
	v_and_b32_sdwa v3, v2, s19 dst_sel:DWORD dst_unused:UNUSED_PAD src0_sel:WORD_1 src1_sel:DWORD
	v_lshlrev_b16_sdwa v2, v122, v2 dst_sel:DWORD dst_unused:UNUSED_PAD src0_sel:DWORD src1_sel:WORD_1
	v_add_u16_e32 v3, 0xf000, v3
	v_add_u16_e32 v2, 0xf000, v2
	v_perm_b32 v2, v2, v3, s23
	v_and_b32_e32 v3, 0x1f00, v1
	v_lshlrev_b16_e32 v1, 8, v1
	v_add_u16_e32 v1, 0xf000, v1
	v_or_b32_sdwa v1, v3, v1 dst_sel:DWORD dst_unused:UNUSED_PAD src0_sel:DWORD src1_sel:BYTE_1
	v_add_u16_e32 v1, 0xf000, v1
	v_lshl_or_b32 v1, v2, 16, v1
	s_waitcnt vmcnt(3)
	v_ashrrev_i32_e32 v123, v12, v127
	v_lshlrev_b32_e32 v2, 4, v123
	v_lshlrev_b32_e32 v3, 11, v123
	ds_write2_b32 v24, v124, v1 offset1:1
	s_waitcnt vmcnt(2)
	v_and_b32_e32 v1, 0xf0f0f0f, v128
	v_and_b32_e32 v2, 16, v2
	;; [unrolled: 1-line block ×3, first 2 shown]
	v_or3_b32 v2, v2, v1, v3
	v_lshlrev_b32_e32 v3, 18, v123
	v_lshlrev_b32_e32 v4, 25, v123
	v_and_b32_e32 v3, 0x100000, v3
	v_and_b32_e32 v4, 0x10000000, v4
	v_or3_b32 v1, v1, v3, v4
	v_and_b32_e32 v3, 0x1f00, v2
	v_lshlrev_b16_e32 v2, 8, v2
	v_add_u16_e32 v3, 0xf000, v3
	v_add_u16_e32 v2, 0xf000, v2
	v_perm_b32 v2, v2, v3, s23
	v_and_b32_sdwa v3, v1, s19 dst_sel:DWORD dst_unused:UNUSED_PAD src0_sel:WORD_1 src1_sel:DWORD
	v_lshlrev_b16_sdwa v1, v122, v1 dst_sel:DWORD dst_unused:UNUSED_PAD src0_sel:DWORD src1_sel:WORD_1
	v_add_u16_e32 v3, 0xf000, v3
	v_add_u16_e32 v1, 0xf000, v1
	v_perm_b32 v1, v1, v3, s23
	v_lshl_or_b32 v124, v1, 16, v2
	v_lshrrev_b32_e32 v1, 4, v128
	v_and_b32_e32 v125, 0xf0f0f0f, v1
	v_add_co_u32_e32 v1, vcc, s14, v99
	v_addc_co_u32_e32 v2, vcc, v100, v121, vcc
	v_add_co_u32_e32 v3, vcc, s14, v101
	v_addc_co_u32_e32 v4, vcc, v102, v121, vcc
	global_load_dword v127, v[3:4], off
	global_load_dword v128, v[1:2], off
	v_lshrrev_b32_e32 v126, 12, v123
	v_lshrrev_b32_e32 v2, 5, v123
	v_and_b32_e32 v1, 16, v126
	v_and_b32_e32 v2, 0x1000, v2
	v_or3_b32 v1, v1, v125, v2
	v_lshlrev_b32_e32 v2, 2, v123
	v_lshlrev_b32_e32 v3, 9, v123
	v_and_b32_e32 v2, 0x100000, v2
	v_and_b32_e32 v3, 0x10000000, v3
	v_or3_b32 v2, v125, v2, v3
	v_and_b32_sdwa v3, v2, s19 dst_sel:DWORD dst_unused:UNUSED_PAD src0_sel:WORD_1 src1_sel:DWORD
	v_lshlrev_b16_sdwa v2, v122, v2 dst_sel:DWORD dst_unused:UNUSED_PAD src0_sel:DWORD src1_sel:WORD_1
	v_add_u16_e32 v3, 0xf000, v3
	v_add_u16_e32 v2, 0xf000, v2
	v_perm_b32 v2, v2, v3, s23
	v_and_b32_e32 v3, 0x1f00, v1
	v_lshlrev_b16_e32 v1, 8, v1
	v_add_u16_e32 v1, 0xf000, v1
	v_or_b32_sdwa v1, v3, v1 dst_sel:DWORD dst_unused:UNUSED_PAD src0_sel:DWORD src1_sel:BYTE_1
	v_add_u16_e32 v1, 0xf000, v1
	v_lshl_or_b32 v1, v2, 16, v1
	ds_write2_b32 v25, v124, v1 offset1:1
	s_waitcnt vmcnt(3)
	v_ashrrev_i32_e32 v1, v12, v129
	v_lshlrev_b32_e32 v3, 4, v1
	v_lshlrev_b32_e32 v4, 11, v1
	s_waitcnt vmcnt(2)
	v_and_b32_e32 v2, 0xf0f0f0f, v130
	v_and_b32_e32 v3, 16, v3
	;; [unrolled: 1-line block ×3, first 2 shown]
	v_or3_b32 v3, v3, v2, v4
	v_lshlrev_b32_e32 v4, 18, v1
	v_lshlrev_b32_e32 v123, 25, v1
	v_and_b32_e32 v4, 0x100000, v4
	v_and_b32_e32 v123, 0x10000000, v123
	v_or3_b32 v2, v2, v4, v123
	v_and_b32_e32 v4, 0x1f00, v3
	v_lshlrev_b16_e32 v3, 8, v3
	v_add_u16_e32 v4, 0xf000, v4
	v_add_u16_e32 v3, 0xf000, v3
	v_perm_b32 v3, v3, v4, s23
	v_and_b32_sdwa v4, v2, s19 dst_sel:DWORD dst_unused:UNUSED_PAD src0_sel:WORD_1 src1_sel:DWORD
	v_lshlrev_b16_sdwa v2, v122, v2 dst_sel:DWORD dst_unused:UNUSED_PAD src0_sel:DWORD src1_sel:WORD_1
	v_add_u16_e32 v4, 0xf000, v4
	v_add_u16_e32 v2, 0xf000, v2
	v_perm_b32 v2, v2, v4, s23
	v_lshl_or_b32 v123, v2, 16, v3
	v_lshrrev_b32_e32 v2, 4, v130
	v_lshrrev_b32_e32 v3, 12, v1
	v_lshrrev_b32_e32 v4, 5, v1
	v_and_b32_e32 v2, 0xf0f0f0f, v2
	v_and_b32_e32 v3, 16, v3
	;; [unrolled: 1-line block ×3, first 2 shown]
	v_or3_b32 v124, v3, v2, v4
	v_lshlrev_b32_e32 v3, 2, v1
	v_lshlrev_b32_e32 v1, 9, v1
	v_and_b32_e32 v3, 0x100000, v3
	v_and_b32_e32 v1, 0x10000000, v1
	v_or3_b32 v125, v2, v3, v1
	v_add_co_u32_e32 v1, vcc, s14, v103
	v_addc_co_u32_e32 v2, vcc, v104, v121, vcc
	v_add_co_u32_e32 v3, vcc, s14, v105
	v_addc_co_u32_e32 v4, vcc, v106, v121, vcc
	v_and_b32_sdwa v126, v125, s19 dst_sel:DWORD dst_unused:UNUSED_PAD src0_sel:WORD_1 src1_sel:DWORD
	global_load_dword v3, v[3:4], off
	s_nop 0
	global_load_dword v4, v[1:2], off
	v_lshlrev_b16_sdwa v2, v122, v125 dst_sel:DWORD dst_unused:UNUSED_PAD src0_sel:DWORD src1_sel:WORD_1
	v_add_u16_e32 v1, 0xf000, v126
	v_add_u16_e32 v2, 0xf000, v2
	v_perm_b32 v1, v2, v1, s23
	v_and_b32_e32 v2, 0x1f00, v124
	v_lshlrev_b16_e32 v124, 8, v124
	v_add_u16_e32 v124, 0xf000, v124
	v_or_b32_sdwa v2, v2, v124 dst_sel:DWORD dst_unused:UNUSED_PAD src0_sel:DWORD src1_sel:BYTE_1
	v_add_u16_e32 v2, 0xf000, v2
	v_lshl_or_b32 v1, v1, 16, v2
	ds_write2_b32 v26, v123, v1 offset1:1
	s_waitcnt vmcnt(3)
	v_ashrrev_i32_e32 v123, v12, v127
	v_lshlrev_b32_e32 v2, 4, v123
	v_lshlrev_b32_e32 v124, 11, v123
	s_waitcnt vmcnt(2)
	v_and_b32_e32 v1, 0xf0f0f0f, v128
	v_and_b32_e32 v2, 16, v2
	;; [unrolled: 1-line block ×3, first 2 shown]
	v_or3_b32 v2, v2, v1, v124
	v_lshlrev_b32_e32 v124, 18, v123
	v_lshlrev_b32_e32 v125, 25, v123
	v_and_b32_e32 v124, 0x100000, v124
	v_and_b32_e32 v125, 0x10000000, v125
	v_or3_b32 v1, v1, v124, v125
	v_and_b32_e32 v124, 0x1f00, v2
	v_lshlrev_b16_e32 v2, 8, v2
	v_add_u16_e32 v124, 0xf000, v124
	v_add_u16_e32 v2, 0xf000, v2
	v_perm_b32 v124, v2, v124, s23
	v_and_b32_sdwa v2, v1, s19 dst_sel:DWORD dst_unused:UNUSED_PAD src0_sel:WORD_1 src1_sel:DWORD
	v_lshlrev_b16_sdwa v126, v122, v1 dst_sel:DWORD dst_unused:UNUSED_PAD src0_sel:DWORD src1_sel:WORD_1
	v_add_co_u32_e32 v1, vcc, s14, v108
	v_add_u16_e32 v125, 0xf000, v2
	v_addc_co_u32_e32 v2, vcc, v109, v121, vcc
	global_load_ushort v127, v[1:2], off
	v_add_co_u32_e32 v1, vcc, s14, v110
	v_addc_co_u32_e32 v2, vcc, v111, v121, vcc
	global_load_ushort v129, v[1:2], off
	v_add_co_u32_e32 v1, vcc, s14, v113
	;; [unrolled: 3-line block ×3, first 2 shown]
	v_addc_co_u32_e32 v2, vcc, v116, v121, vcc
	global_load_ushort v1, v[1:2], off
	v_add_u16_e32 v2, 0xf000, v126
	v_perm_b32 v2, v2, v125, s23
	v_lshl_or_b32 v2, v2, 16, v124
	v_lshrrev_b32_e32 v124, 4, v128
	v_lshrrev_b32_e32 v125, 12, v123
	;; [unrolled: 1-line block ×3, first 2 shown]
	v_and_b32_e32 v124, 0xf0f0f0f, v124
	v_and_b32_e32 v125, 16, v125
	;; [unrolled: 1-line block ×3, first 2 shown]
	v_or3_b32 v125, v125, v124, v126
	v_lshlrev_b32_e32 v126, 2, v123
	v_lshlrev_b32_e32 v123, 9, v123
	v_and_b32_e32 v126, 0x100000, v126
	v_and_b32_e32 v123, 0x10000000, v123
	v_or3_b32 v123, v124, v126, v123
	v_and_b32_sdwa v124, v123, s19 dst_sel:DWORD dst_unused:UNUSED_PAD src0_sel:WORD_1 src1_sel:DWORD
	v_lshlrev_b16_sdwa v123, v122, v123 dst_sel:DWORD dst_unused:UNUSED_PAD src0_sel:DWORD src1_sel:WORD_1
	v_add_u16_e32 v124, 0xf000, v124
	v_add_u16_e32 v123, 0xf000, v123
	v_perm_b32 v123, v123, v124, s23
	v_and_b32_e32 v124, 0x1f00, v125
	v_lshlrev_b16_e32 v125, 8, v125
	v_add_u16_e32 v125, 0xf000, v125
	v_or_b32_sdwa v124, v124, v125 dst_sel:DWORD dst_unused:UNUSED_PAD src0_sel:DWORD src1_sel:BYTE_1
	v_add_u16_e32 v124, 0xf000, v124
	v_lshl_or_b32 v123, v123, 16, v124
	ds_write2_b32 v27, v2, v123 offset1:1
	s_waitcnt vmcnt(5)
	v_ashrrev_i32_e32 v2, v12, v3
	v_lshlrev_b32_e32 v123, 4, v2
	v_lshlrev_b32_e32 v124, 11, v2
	s_waitcnt vmcnt(4)
	v_and_b32_e32 v3, 0xf0f0f0f, v4
	v_and_b32_e32 v123, 16, v123
	;; [unrolled: 1-line block ×3, first 2 shown]
	v_or3_b32 v123, v123, v3, v124
	v_lshlrev_b32_e32 v124, 18, v2
	v_lshlrev_b32_e32 v125, 25, v2
	v_and_b32_e32 v124, 0x100000, v124
	v_and_b32_e32 v125, 0x10000000, v125
	v_or3_b32 v3, v3, v124, v125
	v_and_b32_e32 v124, 0x1f00, v123
	v_lshlrev_b16_e32 v123, 8, v123
	v_add_u16_e32 v124, 0xf000, v124
	v_add_u16_e32 v123, 0xf000, v123
	v_perm_b32 v123, v123, v124, s23
	v_and_b32_sdwa v124, v3, s19 dst_sel:DWORD dst_unused:UNUSED_PAD src0_sel:WORD_1 src1_sel:DWORD
	v_lshlrev_b16_sdwa v3, v122, v3 dst_sel:DWORD dst_unused:UNUSED_PAD src0_sel:DWORD src1_sel:WORD_1
	v_add_u16_e32 v124, 0xf000, v124
	v_add_u16_e32 v3, 0xf000, v3
	v_perm_b32 v3, v3, v124, s23
	v_lshl_or_b32 v3, v3, 16, v123
	v_lshrrev_b32_e32 v4, 4, v4
	v_lshrrev_b32_e32 v123, 12, v2
	;; [unrolled: 1-line block ×3, first 2 shown]
	v_and_b32_e32 v4, 0xf0f0f0f, v4
	v_and_b32_e32 v123, 16, v123
	;; [unrolled: 1-line block ×3, first 2 shown]
	v_or3_b32 v123, v123, v4, v124
	v_lshlrev_b32_e32 v124, 2, v2
	v_lshlrev_b32_e32 v2, 9, v2
	v_and_b32_e32 v124, 0x100000, v124
	v_and_b32_e32 v2, 0x10000000, v2
	v_or3_b32 v2, v4, v124, v2
	v_and_b32_sdwa v4, v2, s19 dst_sel:DWORD dst_unused:UNUSED_PAD src0_sel:WORD_1 src1_sel:DWORD
	v_lshlrev_b16_sdwa v2, v122, v2 dst_sel:DWORD dst_unused:UNUSED_PAD src0_sel:DWORD src1_sel:WORD_1
	v_add_u16_e32 v4, 0xf000, v4
	v_add_u16_e32 v2, 0xf000, v2
	v_perm_b32 v2, v2, v4, s23
	v_and_b32_e32 v4, 0x1f00, v123
	v_lshlrev_b16_e32 v123, 8, v123
	v_add_u16_e32 v123, 0xf000, v123
	v_or_b32_sdwa v4, v4, v123 dst_sel:DWORD dst_unused:UNUSED_PAD src0_sel:DWORD src1_sel:BYTE_1
	v_add_u16_e32 v4, 0xf000, v4
	v_lshl_or_b32 v2, v2, 16, v4
	s_waitcnt vmcnt(3)
	v_cvt_f32_f16_e32 v4, v127
	ds_write2_b32 v28, v3, v2 offset1:1
	s_waitcnt vmcnt(1)
	v_cvt_f32_f16_e32 v2, v130
	v_cvt_f32_f16_e32 v123, v129
	ds_write_b32 v117, v4
	ds_write_b32 v118, v123
	s_waitcnt vmcnt(0)
	v_cvt_f32_f16_e32 v1, v1
	ds_write_b32 v119, v2
	ds_write_b32 v120, v1
	s_cbranch_scc0 .LBB201_5
; %bb.7:                                ;   in Loop: Header=BB201_6 Depth=1
	v_add_u32_e32 v1, s22, v29
	v_cmp_gt_i32_e32 vcc, s9, v1
	s_and_b64 s[24:25], s[2:3], vcc
	s_and_saveexec_b64 s[4:5], s[24:25]
	s_cbranch_execz .LBB201_9
; %bb.8:                                ;   in Loop: Header=BB201_6 Depth=1
	v_add_u32_e32 v1, s22, v41
	v_mad_i64_i32 v[1:2], s[24:25], v1, 36, v[5:6]
	global_load_dword v1, v[1:2], off offset:4
	s_waitcnt vmcnt(0)
	ds_write_b32 v31, v1
.LBB201_9:                              ;   in Loop: Header=BB201_6 Depth=1
	s_or_b64 exec, exec, s[4:5]
	v_add_u32_e32 v123, s22, v0
	v_cmp_gt_i32_e32 vcc, s9, v123
	s_and_b64 s[24:25], s[16:17], vcc
	s_and_saveexec_b64 s[4:5], s[24:25]
	s_cbranch_execz .LBB201_11
; %bb.10:                               ;   in Loop: Header=BB201_6 Depth=1
	v_add_u32_e32 v1, s22, v42
	v_mad_i64_i32 v[1:2], s[24:25], v1, 36, s[6:7]
	global_load_dword v1, v[1:2], off
	s_waitcnt vmcnt(0)
	v_cvt_f32_f16_e32 v1, v1
	ds_write_b32 v33, v1
.LBB201_11:                             ;   in Loop: Header=BB201_6 Depth=1
	s_or_b64 exec, exec, s[4:5]
	s_waitcnt lgkmcnt(0)
	s_barrier
	ds_read_b128 v[1:4], v32
	ds_read2_b32 v[140:141], v34 offset1:1
	ds_read_b128 v[124:127], v30
	ds_read_b128 v[128:131], v30 offset:16
	ds_read_b128 v[132:135], v30 offset:32
	;; [unrolled: 1-line block ×3, first 2 shown]
	ds_read2_b32 v[142:143], v35 offset1:1
	ds_read2_b32 v[144:145], v34 offset0:2 offset1:3
	s_waitcnt lgkmcnt(5)
	v_dot4_i32_i8 v140, v140, v124, 0
	s_waitcnt lgkmcnt(4)
	v_dot4_i32_i8 v150, v141, v128, v140
	ds_read2_b32 v[140:141], v34 offset0:4 offset1:5
	ds_read2_b32 v[146:147], v34 offset0:6 offset1:7
	;; [unrolled: 1-line block ×3, first 2 shown]
	s_waitcnt lgkmcnt(4)
	v_mul_f32_e32 v142, v1, v142
	s_waitcnt lgkmcnt(3)
	v_dot4_i32_i8 v144, v144, v125, v150
	v_dot4_i32_i8 v144, v145, v129, v144
	s_waitcnt lgkmcnt(2)
	v_dot4_i32_i8 v140, v140, v126, v144
	v_dot4_i32_i8 v140, v141, v130, v140
	;; [unrolled: 3-line block ×3, first 2 shown]
	v_add_u32_e32 v150, 0x2080, v34
	v_cvt_f32_i32_e32 v152, v140
	ds_read2_b32 v[140:141], v34 offset0:26 offset1:27
	ds_read2_b32 v[144:145], v34 offset0:28 offset1:29
	;; [unrolled: 1-line block ×3, first 2 shown]
	ds_read2_b32 v[150:151], v150 offset1:1
	v_add_u32_e32 v158, 0x2090, v34
	v_fmac_f32_e32 v11, v142, v152
	ds_read2_b32 v[152:153], v36 offset1:1
	ds_read2_b32 v[154:155], v38 offset1:1
	ds_read2_b32 v[156:157], v38 offset0:2 offset1:3
	v_add_u32_e32 v160, 0x2098, v34
	s_waitcnt lgkmcnt(3)
	v_dot4_i32_i8 v142, v150, v124, 0
	v_add_u32_e32 v150, 0x2088, v34
	v_dot4_i32_i8 v142, v151, v128, v142
	ds_read2_b32 v[150:151], v150 offset1:1
	v_add_u32_e32 v162, 0x4100, v34
	ds_read2_b32 v[158:159], v158 offset1:1
	ds_read2_b32 v[160:161], v160 offset1:1
	;; [unrolled: 1-line block ×3, first 2 shown]
	s_waitcnt lgkmcnt(6)
	v_mul_f32_e32 v152, v1, v152
	v_add_u32_e32 v166, 0x4118, v34
	s_waitcnt lgkmcnt(3)
	v_dot4_i32_i8 v142, v150, v125, v142
	v_dot4_i32_i8 v142, v151, v129, v142
	s_waitcnt lgkmcnt(2)
	v_dot4_i32_i8 v142, v158, v126, v142
	v_dot4_i32_i8 v142, v159, v130, v142
	;; [unrolled: 3-line block ×3, first 2 shown]
	v_cvt_f32_i32_e32 v142, v142
	ds_read2_b32 v[150:151], v37 offset1:1
	ds_read2_b32 v[158:159], v36 offset0:2 offset1:3
	ds_read2_b32 v[160:161], v35 offset0:2 offset1:3
	v_add_u32_e32 v168, 0x6180, v34
	s_cmp_ge_i32 s18, s15
	v_fmac_f32_e32 v112, v152, v142
	s_waitcnt lgkmcnt(3)
	v_dot4_i32_i8 v142, v162, v124, 0
	v_add_u32_e32 v152, 0x4108, v34
	v_dot4_i32_i8 v142, v163, v128, v142
	ds_read2_b32 v[162:163], v152 offset1:1
	v_add_u32_e32 v152, 0x4110, v34
	ds_read2_b32 v[164:165], v152 offset1:1
	ds_read2_b32 v[166:167], v166 offset1:1
	;; [unrolled: 1-line block ×3, first 2 shown]
	v_add_u32_e32 v152, 0x6198, v34
	s_waitcnt lgkmcnt(6)
	v_mul_f32_e32 v150, v1, v150
	s_waitcnt lgkmcnt(3)
	v_dot4_i32_i8 v142, v162, v125, v142
	v_dot4_i32_i8 v142, v163, v129, v142
	s_waitcnt lgkmcnt(0)
	v_dot4_i32_i8 v124, v168, v124, 0
	v_dot4_i32_i8 v124, v169, v128, v124
	v_add_u32_e32 v128, 0x6188, v34
	ds_read2_b32 v[162:163], v128 offset1:1
	v_dot4_i32_i8 v142, v164, v126, v142
	v_dot4_i32_i8 v142, v165, v130, v142
	;; [unrolled: 1-line block ×3, first 2 shown]
	v_add_u32_e32 v128, 0x6190, v34
	v_add_u32_e32 v168, 0x20a0, v34
	v_dot4_i32_i8 v142, v167, v131, v142
	ds_read2_b32 v[164:165], v128 offset1:1
	ds_read2_b32 v[166:167], v152 offset1:1
	;; [unrolled: 1-line block ×3, first 2 shown]
	s_waitcnt lgkmcnt(3)
	v_dot4_i32_i8 v124, v162, v125, v124
	v_dot4_i32_i8 v124, v163, v129, v124
	s_waitcnt lgkmcnt(2)
	v_dot4_i32_i8 v124, v164, v126, v124
	v_dot4_i32_i8 v124, v165, v130, v124
	;; [unrolled: 3-line block ×3, first 2 shown]
	v_cvt_f32_i32_e32 v124, v124
	v_mul_f32_e32 v1, v1, v154
	ds_read2_b32 v[162:163], v37 offset0:2 offset1:3
	v_cvt_f32_i32_e32 v142, v142
	v_fmac_f32_e32 v9, v1, v124
	ds_read2_b32 v[124:125], v34 offset0:10 offset1:11
	v_dot4_i32_i8 v1, v148, v132, 0
	v_dot4_i32_i8 v1, v149, v136, v1
	ds_read2_b32 v[126:127], v34 offset0:12 offset1:13
	ds_read2_b32 v[128:129], v34 offset0:14 offset1:15
	;; [unrolled: 1-line block ×3, first 2 shown]
	v_fmac_f32_e32 v107, v150, v142
	s_waitcnt lgkmcnt(3)
	v_dot4_i32_i8 v1, v124, v133, v1
	v_dot4_i32_i8 v124, v168, v132, 0
	;; [unrolled: 1-line block ×3, first 2 shown]
	v_add_u32_e32 v124, 0x20a8, v34
	v_dot4_i32_i8 v1, v125, v137, v1
	ds_read2_b32 v[124:125], v124 offset1:1
	s_waitcnt lgkmcnt(3)
	v_dot4_i32_i8 v1, v126, v134, v1
	v_dot4_i32_i8 v1, v127, v138, v1
	s_waitcnt lgkmcnt(2)
	v_dot4_i32_i8 v1, v128, v135, v1
	v_add_u32_e32 v126, 0x20b0, v34
	v_add_u32_e32 v128, 0x20b8, v34
	v_add_u32_e32 v130, 0x4120, v34
	v_dot4_i32_i8 v1, v129, v139, v1
	ds_read2_b32 v[126:127], v126 offset1:1
	ds_read2_b32 v[128:129], v128 offset1:1
	;; [unrolled: 1-line block ×3, first 2 shown]
	s_waitcnt lgkmcnt(3)
	v_dot4_i32_i8 v124, v124, v133, v142
	v_dot4_i32_i8 v124, v125, v137, v124
	s_waitcnt lgkmcnt(2)
	v_dot4_i32_i8 v124, v126, v134, v124
	v_dot4_i32_i8 v124, v127, v138, v124
	s_waitcnt lgkmcnt(1)
	v_dot4_i32_i8 v124, v128, v135, v124
	v_cvt_f32_i32_e32 v1, v1
	v_dot4_i32_i8 v124, v129, v139, v124
	v_cvt_f32_i32_e32 v124, v124
	v_mul_f32_e32 v125, v2, v143
	v_fmac_f32_e32 v11, v125, v1
	v_mul_f32_e32 v1, v2, v153
	v_fmac_f32_e32 v112, v1, v124
	s_waitcnt lgkmcnt(0)
	v_dot4_i32_i8 v1, v130, v132, 0
	v_add_u32_e32 v124, 0x4128, v34
	v_add_u32_e32 v126, 0x4130, v34
	v_add_u32_e32 v128, 0x4138, v34
	v_add_u32_e32 v130, 0x61a0, v34
	v_dot4_i32_i8 v1, v131, v136, v1
	ds_read2_b32 v[124:125], v124 offset1:1
	ds_read2_b32 v[126:127], v126 offset1:1
	;; [unrolled: 1-line block ×4, first 2 shown]
	v_mul_f32_e32 v150, v2, v151
	s_waitcnt lgkmcnt(3)
	v_dot4_i32_i8 v1, v124, v133, v1
	s_waitcnt lgkmcnt(0)
	v_dot4_i32_i8 v124, v130, v132, 0
	v_dot4_i32_i8 v130, v131, v136, v124
	v_add_u32_e32 v124, 0x61a8, v34
	v_dot4_i32_i8 v1, v125, v137, v1
	ds_read2_b32 v[124:125], v124 offset1:1
	v_dot4_i32_i8 v1, v126, v134, v1
	v_dot4_i32_i8 v1, v127, v138, v1
	;; [unrolled: 1-line block ×3, first 2 shown]
	v_add_u32_e32 v126, 0x61b0, v34
	v_add_u32_e32 v128, 0x61b8, v34
	v_dot4_i32_i8 v1, v129, v139, v1
	v_add_u32_e32 v131, 0x20c0, v34
	ds_read2_b32 v[126:127], v126 offset1:1
	ds_read2_b32 v[128:129], v128 offset1:1
	;; [unrolled: 1-line block ×3, first 2 shown]
	s_waitcnt lgkmcnt(3)
	v_dot4_i32_i8 v124, v124, v133, v130
	v_dot4_i32_i8 v124, v125, v137, v124
	s_waitcnt lgkmcnt(2)
	v_dot4_i32_i8 v124, v126, v134, v124
	v_dot4_i32_i8 v124, v127, v138, v124
	s_waitcnt lgkmcnt(1)
	v_dot4_i32_i8 v124, v128, v135, v124
	v_cvt_f32_i32_e32 v1, v1
	v_dot4_i32_i8 v124, v129, v139, v124
	v_cvt_f32_i32_e32 v132, v124
	ds_read_b128 v[124:127], v30 offset:64
	ds_read_b128 v[128:131], v30 offset:80
	v_fmac_f32_e32 v107, v150, v1
	v_mul_f32_e32 v1, v2, v155
	v_fmac_f32_e32 v9, v1, v132
	ds_read2_b32 v[1:2], v34 offset0:18 offset1:19
	s_waitcnt lgkmcnt(2)
	v_dot4_i32_i8 v132, v148, v124, 0
	s_waitcnt lgkmcnt(1)
	v_dot4_i32_i8 v138, v149, v128, v132
	ds_read2_b32 v[132:133], v34 offset0:20 offset1:21
	ds_read2_b32 v[134:135], v34 offset0:22 offset1:23
	;; [unrolled: 1-line block ×3, first 2 shown]
	s_waitcnt lgkmcnt(3)
	v_dot4_i32_i8 v1, v1, v125, v138
	v_dot4_i32_i8 v1, v2, v129, v1
	s_waitcnt lgkmcnt(2)
	v_dot4_i32_i8 v1, v132, v126, v1
	v_dot4_i32_i8 v1, v133, v130, v1
	;; [unrolled: 3-line block ×3, first 2 shown]
	v_cvt_f32_i32_e32 v148, v1
	v_dot4_i32_i8 v1, v142, v124, 0
	v_dot4_i32_i8 v142, v143, v128, v1
	v_add_u32_e32 v1, 0x20c8, v34
	ds_read2_b32 v[1:2], v1 offset1:1
	v_add_u32_e32 v132, 0x20d0, v34
	v_add_u32_e32 v134, 0x20d8, v34
	;; [unrolled: 1-line block ×3, first 2 shown]
	ds_read2_b32 v[132:133], v132 offset1:1
	ds_read2_b32 v[134:135], v134 offset1:1
	;; [unrolled: 1-line block ×3, first 2 shown]
	s_waitcnt lgkmcnt(3)
	v_dot4_i32_i8 v1, v1, v125, v142
	v_dot4_i32_i8 v1, v2, v129, v1
	s_waitcnt lgkmcnt(2)
	v_dot4_i32_i8 v1, v132, v126, v1
	v_dot4_i32_i8 v1, v133, v130, v1
	;; [unrolled: 3-line block ×3, first 2 shown]
	v_cvt_f32_i32_e32 v1, v1
	v_mul_f32_e32 v2, v3, v160
	v_fmac_f32_e32 v11, v2, v148
	v_mul_f32_e32 v2, v3, v158
	v_fmac_f32_e32 v112, v2, v1
	s_waitcnt lgkmcnt(0)
	v_dot4_i32_i8 v1, v138, v124, 0
	v_dot4_i32_i8 v142, v139, v128, v1
	v_add_u32_e32 v1, 0x4148, v34
	ds_read2_b32 v[1:2], v1 offset1:1
	v_add_u32_e32 v132, 0x4150, v34
	v_add_u32_e32 v134, 0x4158, v34
	;; [unrolled: 1-line block ×3, first 2 shown]
	ds_read2_b32 v[132:133], v132 offset1:1
	ds_read2_b32 v[134:135], v134 offset1:1
	;; [unrolled: 1-line block ×3, first 2 shown]
	s_waitcnt lgkmcnt(3)
	v_dot4_i32_i8 v1, v1, v125, v142
	v_dot4_i32_i8 v1, v2, v129, v1
	s_waitcnt lgkmcnt(2)
	v_dot4_i32_i8 v1, v132, v126, v1
	v_dot4_i32_i8 v1, v133, v130, v1
	;; [unrolled: 3-line block ×3, first 2 shown]
	v_cvt_f32_i32_e32 v143, v1
	s_waitcnt lgkmcnt(0)
	v_dot4_i32_i8 v1, v138, v124, 0
	v_dot4_i32_i8 v124, v139, v128, v1
	v_add_u32_e32 v1, 0x61c8, v34
	ds_read2_b32 v[1:2], v1 offset1:1
	v_add_u32_e32 v128, 0x61d0, v34
	v_add_u32_e32 v134, 0x61d8, v34
	;; [unrolled: 1-line block ×3, first 2 shown]
	ds_read2_b32 v[132:133], v128 offset1:1
	ds_read2_b32 v[134:135], v134 offset1:1
	;; [unrolled: 1-line block ×3, first 2 shown]
	s_waitcnt lgkmcnt(3)
	v_dot4_i32_i8 v1, v1, v125, v124
	v_dot4_i32_i8 v1, v2, v129, v1
	s_waitcnt lgkmcnt(2)
	v_dot4_i32_i8 v1, v132, v126, v1
	v_dot4_i32_i8 v1, v133, v130, v1
	;; [unrolled: 3-line block ×3, first 2 shown]
	v_cvt_f32_i32_e32 v1, v1
	ds_read_b128 v[124:127], v30 offset:96
	ds_read_b128 v[128:131], v30 offset:112
	v_mul_f32_e32 v2, v3, v156
	v_mul_f32_e32 v142, v3, v162
	v_fmac_f32_e32 v9, v2, v1
	s_waitcnt lgkmcnt(1)
	v_dot4_i32_i8 v1, v136, v124, 0
	s_waitcnt lgkmcnt(0)
	v_dot4_i32_i8 v1, v137, v128, v1
	v_dot4_i32_i8 v1, v140, v125, v1
	;; [unrolled: 1-line block ×7, first 2 shown]
	v_cvt_f32_i32_e32 v3, v1
	v_dot4_i32_i8 v1, v138, v124, 0
	v_dot4_i32_i8 v138, v139, v128, v1
	v_add_u32_e32 v1, 0x20e8, v34
	ds_read2_b32 v[1:2], v1 offset1:1
	v_add_u32_e32 v132, 0x20f0, v34
	v_add_u32_e32 v134, 0x20f8, v34
	v_add_u32_e32 v136, 0x4160, v34
	ds_read2_b32 v[132:133], v132 offset1:1
	ds_read2_b32 v[134:135], v134 offset1:1
	;; [unrolled: 1-line block ×3, first 2 shown]
	s_waitcnt lgkmcnt(3)
	v_dot4_i32_i8 v1, v1, v125, v138
	v_dot4_i32_i8 v1, v2, v129, v1
	s_waitcnt lgkmcnt(2)
	v_dot4_i32_i8 v1, v132, v126, v1
	v_dot4_i32_i8 v1, v133, v130, v1
	;; [unrolled: 3-line block ×3, first 2 shown]
	v_cvt_f32_i32_e32 v1, v1
	v_mul_f32_e32 v2, v4, v161
	v_fmac_f32_e32 v11, v2, v3
	v_mul_f32_e32 v2, v4, v159
	v_fmac_f32_e32 v112, v2, v1
	s_waitcnt lgkmcnt(0)
	v_dot4_i32_i8 v1, v136, v124, 0
	v_dot4_i32_i8 v3, v137, v128, v1
	v_add_u32_e32 v1, 0x4168, v34
	ds_read2_b32 v[1:2], v1 offset1:1
	v_add_u32_e32 v132, 0x4170, v34
	v_add_u32_e32 v134, 0x4178, v34
	;; [unrolled: 1-line block ×3, first 2 shown]
	ds_read2_b32 v[132:133], v132 offset1:1
	ds_read2_b32 v[134:135], v134 offset1:1
	;; [unrolled: 1-line block ×3, first 2 shown]
	s_waitcnt lgkmcnt(3)
	v_dot4_i32_i8 v1, v1, v125, v3
	v_dot4_i32_i8 v1, v2, v129, v1
	s_waitcnt lgkmcnt(2)
	v_dot4_i32_i8 v1, v132, v126, v1
	v_dot4_i32_i8 v1, v133, v130, v1
	;; [unrolled: 3-line block ×3, first 2 shown]
	v_cvt_f32_i32_e32 v3, v1
	s_waitcnt lgkmcnt(0)
	v_dot4_i32_i8 v1, v136, v124, 0
	v_dot4_i32_i8 v124, v137, v128, v1
	v_add_u32_e32 v1, 0x61e8, v34
	ds_read2_b32 v[1:2], v1 offset1:1
	v_add_u32_e32 v128, 0x61f0, v34
	ds_read2_b32 v[132:133], v128 offset1:1
	;; [unrolled: 2-line block ×3, first 2 shown]
	s_waitcnt lgkmcnt(2)
	v_dot4_i32_i8 v1, v1, v125, v124
	v_dot4_i32_i8 v1, v2, v129, v1
	s_waitcnt lgkmcnt(1)
	v_dot4_i32_i8 v1, v132, v126, v1
	v_dot4_i32_i8 v1, v133, v130, v1
	;; [unrolled: 3-line block ×3, first 2 shown]
	v_cvt_f32_i32_e32 v1, v1
	v_fmac_f32_e32 v107, v142, v143
	v_mul_f32_e32 v2, v4, v163
	v_fmac_f32_e32 v107, v2, v3
	v_mul_f32_e32 v2, v4, v157
	v_fmac_f32_e32 v9, v2, v1
	s_barrier
	s_cbranch_scc1 .LBB201_5
; %bb.12:                               ;   in Loop: Header=BB201_6 Depth=1
	v_add_u32_e32 v1, s22, v39
	v_cmp_gt_i32_e32 vcc, s9, v1
	s_and_b64 s[24:25], s[2:3], vcc
	s_and_saveexec_b64 s[4:5], s[24:25]
	s_cbranch_execz .LBB201_14
; %bb.13:                               ;   in Loop: Header=BB201_6 Depth=1
	v_add_u32_e32 v1, s22, v40
	v_mad_i64_i32 v[1:2], s[24:25], v1, 36, v[5:6]
	global_load_dword v1, v[1:2], off offset:4
	s_waitcnt vmcnt(0)
	ds_write_b32 v31, v1
.LBB201_14:                             ;   in Loop: Header=BB201_6 Depth=1
	s_or_b64 exec, exec, s[4:5]
	s_and_saveexec_b64 s[4:5], s[0:1]
	s_cbranch_execz .LBB201_4
; %bb.15:                               ;   in Loop: Header=BB201_6 Depth=1
	v_add_u32_e32 v1, 4, v123
	v_cmp_gt_i32_e32 vcc, s9, v1
	s_and_b64 s[24:25], s[2:3], vcc
	s_and_b64 exec, exec, s[24:25]
	s_cbranch_execz .LBB201_4
; %bb.16:                               ;   in Loop: Header=BB201_6 Depth=1
	global_load_dword v1, v[7:8], off
	s_waitcnt vmcnt(0)
	v_cvt_f32_f16_e32 v1, v1
	ds_write_b32 v33, v1
	s_branch .LBB201_4
.LBB201_17:
	s_mul_i32 s0, s11, s8
	s_waitcnt vmcnt(0)
	v_cmp_gt_i32_e32 vcc, s0, v10
	s_and_saveexec_b64 s[0:1], vcc
	s_cbranch_execz .LBB201_26
; %bb.18:
	v_mul_lo_u32 v1, v10, s10
	v_add_u32_e32 v0, s20, v0
	v_cmp_gt_u32_e32 vcc, s10, v0
	s_and_saveexec_b64 s[0:1], vcc
	s_cbranch_execz .LBB201_20
; %bb.19:
	v_add_u32_e32 v2, v1, v0
	v_mov_b32_e32 v3, 0
	v_lshlrev_b64 v[2:3], 1, v[2:3]
	v_cvt_f16_f32_e32 v5, v11
	v_mov_b32_e32 v4, s13
	v_add_co_u32_e32 v2, vcc, s12, v2
	v_addc_co_u32_e32 v3, vcc, v4, v3, vcc
	global_store_short v[2:3], v5, off
.LBB201_20:
	s_or_b64 exec, exec, s[0:1]
	v_add_u32_e32 v2, 32, v0
	v_cmp_gt_u32_e32 vcc, s10, v2
	s_and_saveexec_b64 s[0:1], vcc
	s_cbranch_execz .LBB201_22
; %bb.21:
	v_add_u32_e32 v2, v1, v2
	v_mov_b32_e32 v3, 0
	v_lshlrev_b64 v[2:3], 1, v[2:3]
	v_cvt_f16_f32_e32 v5, v112
	v_mov_b32_e32 v4, s13
	v_add_co_u32_e32 v2, vcc, s12, v2
	v_addc_co_u32_e32 v3, vcc, v4, v3, vcc
	global_store_short v[2:3], v5, off
.LBB201_22:
	s_or_b64 exec, exec, s[0:1]
	;; [unrolled: 15-line block ×3, first 2 shown]
	v_add_u32_e32 v0, 0x60, v0
	v_cmp_gt_u32_e32 vcc, s10, v0
	s_and_b64 exec, exec, vcc
	s_cbranch_execz .LBB201_26
; %bb.25:
	v_add_u32_e32 v0, v1, v0
	v_mov_b32_e32 v1, 0
	v_lshlrev_b64 v[0:1], 1, v[0:1]
	v_cvt_f16_f32_e32 v3, v9
	v_mov_b32_e32 v2, s13
	v_add_co_u32_e32 v0, vcc, s12, v0
	v_addc_co_u32_e32 v1, vcc, v2, v1, vcc
	global_store_short v[0:1], v3, off
.LBB201_26:
	s_endpgm
	.section	.rodata,"a",@progbits
	.p2align	6, 0x0
	.amdhsa_kernel _ZL8moe_q5_0IN3c104HalfELb0EEvPKvS3_PT_PKiS7_S7_iiiiiii
		.amdhsa_group_segment_fixed_size 38656
		.amdhsa_private_segment_fixed_size 0
		.amdhsa_kernarg_size 76
		.amdhsa_user_sgpr_count 6
		.amdhsa_user_sgpr_private_segment_buffer 1
		.amdhsa_user_sgpr_dispatch_ptr 0
		.amdhsa_user_sgpr_queue_ptr 0
		.amdhsa_user_sgpr_kernarg_segment_ptr 1
		.amdhsa_user_sgpr_dispatch_id 0
		.amdhsa_user_sgpr_flat_scratch_init 0
		.amdhsa_user_sgpr_private_segment_size 0
		.amdhsa_uses_dynamic_stack 0
		.amdhsa_system_sgpr_private_segment_wavefront_offset 0
		.amdhsa_system_sgpr_workgroup_id_x 1
		.amdhsa_system_sgpr_workgroup_id_y 1
		.amdhsa_system_sgpr_workgroup_id_z 0
		.amdhsa_system_sgpr_workgroup_info 0
		.amdhsa_system_vgpr_workitem_id 1
		.amdhsa_next_free_vgpr 170
		.amdhsa_next_free_sgpr 98
		.amdhsa_reserve_vcc 1
		.amdhsa_reserve_flat_scratch 0
		.amdhsa_float_round_mode_32 0
		.amdhsa_float_round_mode_16_64 0
		.amdhsa_float_denorm_mode_32 3
		.amdhsa_float_denorm_mode_16_64 3
		.amdhsa_dx10_clamp 1
		.amdhsa_ieee_mode 1
		.amdhsa_fp16_overflow 0
		.amdhsa_exception_fp_ieee_invalid_op 0
		.amdhsa_exception_fp_denorm_src 0
		.amdhsa_exception_fp_ieee_div_zero 0
		.amdhsa_exception_fp_ieee_overflow 0
		.amdhsa_exception_fp_ieee_underflow 0
		.amdhsa_exception_fp_ieee_inexact 0
		.amdhsa_exception_int_div_zero 0
	.end_amdhsa_kernel
	.section	.text._ZL8moe_q5_0IN3c104HalfELb0EEvPKvS3_PT_PKiS7_S7_iiiiiii,"axG",@progbits,_ZL8moe_q5_0IN3c104HalfELb0EEvPKvS3_PT_PKiS7_S7_iiiiiii,comdat
.Lfunc_end201:
	.size	_ZL8moe_q5_0IN3c104HalfELb0EEvPKvS3_PT_PKiS7_S7_iiiiiii, .Lfunc_end201-_ZL8moe_q5_0IN3c104HalfELb0EEvPKvS3_PT_PKiS7_S7_iiiiiii
                                        ; -- End function
	.set _ZL8moe_q5_0IN3c104HalfELb0EEvPKvS3_PT_PKiS7_S7_iiiiiii.num_vgpr, 170
	.set _ZL8moe_q5_0IN3c104HalfELb0EEvPKvS3_PT_PKiS7_S7_iiiiiii.num_agpr, 0
	.set _ZL8moe_q5_0IN3c104HalfELb0EEvPKvS3_PT_PKiS7_S7_iiiiiii.numbered_sgpr, 28
	.set _ZL8moe_q5_0IN3c104HalfELb0EEvPKvS3_PT_PKiS7_S7_iiiiiii.num_named_barrier, 0
	.set _ZL8moe_q5_0IN3c104HalfELb0EEvPKvS3_PT_PKiS7_S7_iiiiiii.private_seg_size, 0
	.set _ZL8moe_q5_0IN3c104HalfELb0EEvPKvS3_PT_PKiS7_S7_iiiiiii.uses_vcc, 1
	.set _ZL8moe_q5_0IN3c104HalfELb0EEvPKvS3_PT_PKiS7_S7_iiiiiii.uses_flat_scratch, 0
	.set _ZL8moe_q5_0IN3c104HalfELb0EEvPKvS3_PT_PKiS7_S7_iiiiiii.has_dyn_sized_stack, 0
	.set _ZL8moe_q5_0IN3c104HalfELb0EEvPKvS3_PT_PKiS7_S7_iiiiiii.has_recursion, 0
	.set _ZL8moe_q5_0IN3c104HalfELb0EEvPKvS3_PT_PKiS7_S7_iiiiiii.has_indirect_call, 0
	.section	.AMDGPU.csdata,"",@progbits
; Kernel info:
; codeLenInByte = 13976
; TotalNumSgprs: 32
; NumVgprs: 170
; ScratchSize: 0
; MemoryBound: 0
; FloatMode: 240
; IeeeMode: 1
; LDSByteSize: 38656 bytes/workgroup (compile time only)
; SGPRBlocks: 12
; VGPRBlocks: 42
; NumSGPRsForWavesPerEU: 102
; NumVGPRsForWavesPerEU: 170
; Occupancy: 1
; WaveLimiterHint : 1
; COMPUTE_PGM_RSRC2:SCRATCH_EN: 0
; COMPUTE_PGM_RSRC2:USER_SGPR: 6
; COMPUTE_PGM_RSRC2:TRAP_HANDLER: 0
; COMPUTE_PGM_RSRC2:TGID_X_EN: 1
; COMPUTE_PGM_RSRC2:TGID_Y_EN: 1
; COMPUTE_PGM_RSRC2:TGID_Z_EN: 0
; COMPUTE_PGM_RSRC2:TIDIG_COMP_CNT: 1
	.section	.text._ZL8moe_q5_0IN3c104HalfELb1EEvPKvS3_PT_PKiS7_S7_iiiiiii,"axG",@progbits,_ZL8moe_q5_0IN3c104HalfELb1EEvPKvS3_PT_PKiS7_S7_iiiiiii,comdat
	.globl	_ZL8moe_q5_0IN3c104HalfELb1EEvPKvS3_PT_PKiS7_S7_iiiiiii ; -- Begin function _ZL8moe_q5_0IN3c104HalfELb1EEvPKvS3_PT_PKiS7_S7_iiiiiii
	.p2align	8
	.type	_ZL8moe_q5_0IN3c104HalfELb1EEvPKvS3_PT_PKiS7_S7_iiiiiii,@function
_ZL8moe_q5_0IN3c104HalfELb1EEvPKvS3_PT_PKiS7_S7_iiiiiii: ; @_ZL8moe_q5_0IN3c104HalfELb1EEvPKvS3_PT_PKiS7_S7_iiiiiii
; %bb.0:
	s_load_dwordx4 s[0:3], s[4:5], 0x18
	s_mov_b32 s8, s7
	s_mov_b32 s9, 0
	s_lshl_b64 s[10:11], s[8:9], 2
	s_waitcnt lgkmcnt(0)
	s_add_u32 s2, s2, s10
	s_addc_u32 s3, s3, s11
	s_load_dword s2, s[2:3], 0x0
	s_waitcnt lgkmcnt(0)
	s_cmpk_gt_u32 s2, 0xff
	s_cbranch_scc1 .LBB202_26
; %bb.1:
	s_load_dwordx2 s[10:11], s[4:5], 0x28
	s_lshl_b32 s3, s8, 3
	s_waitcnt lgkmcnt(0)
	s_load_dword s7, s[10:11], 0x0
	s_waitcnt lgkmcnt(0)
	s_cmp_gt_u32 s3, s7
	s_cbranch_scc1 .LBB202_26
; %bb.2:
	v_add_u32_e32 v24, s3, v1
	v_mov_b32_e32 v25, 0
	v_lshlrev_b64 v[2:3], 2, v[24:25]
	v_mov_b32_e32 v4, s1
	v_add_co_u32_e32 v2, vcc, s0, v2
	v_addc_co_u32_e32 v3, vcc, v4, v3, vcc
	global_load_dword v26, v[2:3], off
	s_load_dwordx8 s[8:15], s[4:5], 0x30
	s_load_dwordx2 s[16:17], s[4:5], 0x10
	s_waitcnt lgkmcnt(0)
	s_lshl_b32 s15, s6, 7
	v_mov_b32_e32 v107, v25
	v_mov_b32_e32 v112, v25
	s_cmp_lt_i32 s9, 32
	v_mov_b32_e32 v27, v25
	s_cbranch_scc1 .LBB202_17
; %bb.3:
	s_ashr_i32 s0, s9, 31
	s_lshr_b32 s0, s0, 27
	s_add_i32 s0, s9, s0
	s_ashr_i32 s22, s0, 5
	s_ashr_i32 s0, s12, 31
	s_lshr_b32 s0, s0, 27
	s_add_i32 s0, s12, s0
	s_ashr_i32 s12, s0, 5
	s_not_b32 s0, s15
	s_mul_i32 s8, s2, s8
	s_add_i32 s2, s10, s0
	v_min_i32_e32 v3, s2, v1
	v_lshlrev_b32_e32 v2, 3, v0
	s_movk_i32 s3, 0x104
	v_mul_lo_u32 v43, v3, s22
	v_mad_u64_u32 v[5:6], s[0:1], v3, s3, v[2:3]
	v_add_u32_e32 v3, 8, v1
	v_min_i32_e32 v3, s2, v3
	v_mul_lo_u32 v47, v3, s22
	v_mad_u64_u32 v[6:7], s[0:1], v3, s3, v[2:3]
	v_add_u32_e32 v3, 16, v1
	v_min_i32_e32 v3, s2, v3
	;; [unrolled: 4-line block ×15, first 2 shown]
	v_mad_u64_u32 v[20:21], s[0:1], v3, s3, v[2:3]
	v_lshrrev_b32_e32 v29, 3, v0
	v_lshl_add_u32 v21, v1, 2, v29
	v_add_u32_e32 v4, 32, v21
	v_min_i32_e32 v24, s2, v4
	v_ashrrev_i32_e32 v4, 31, v24
	v_lshrrev_b32_e32 v4, 30, v4
	v_mul_lo_u32 v111, v24, s22
	v_add_u32_e32 v4, v24, v4
	v_lshlrev_b32_e32 v25, 5, v24
	v_add_u32_e32 v24, 64, v21
	v_min_i32_e32 v24, s2, v24
	v_mul_lo_u32 v105, v3, s22
	v_min_i32_e32 v3, s2, v21
	v_ashrrev_i32_e32 v30, 31, v24
	v_add_u32_e32 v21, 0x60, v21
	v_lshrrev_b32_e32 v30, 30, v30
	v_min_i32_e32 v21, s2, v21
	v_mul_lo_u32 v113, v24, s22
	v_add_u32_e32 v30, v24, v30
	v_lshlrev_b32_e32 v112, 5, v24
	v_ashrrev_i32_e32 v24, 31, v21
	v_lshrrev_b32_e32 v24, 30, v24
	v_and_b32_e32 v110, 7, v0
	v_add_u32_e32 v24, v21, v24
	v_lshlrev_b32_e32 v23, 2, v110
	s_mov_b32 s3, 0x8200
	v_and_b32_e32 v24, -4, v24
	v_and_b32_e32 v30, -4, v30
	v_add3_u32 v120, v24, v23, s3
	v_mov_b32_e32 v24, 0x9280
	v_add3_u32 v107, v30, v23, s3
	v_mul_lo_u32 v115, v21, s22
	v_lshlrev_b32_e32 v121, 5, v21
	v_and_b32_e32 v21, 31, v0
	v_lshl_add_u32 v30, v1, 7, v24
	v_lshl_or_b32 v31, v21, 2, v30
	v_mov_b32_e32 v21, 0x9680
	s_abs_i32 s2, s14
	v_lshl_add_u32 v32, v1, 4, v21
	v_cvt_f32_u32_e32 v21, s2
	v_ashrrev_i32_e32 v2, 31, v3
	v_lshrrev_b32_e32 v2, 30, v2
	v_add_u32_e32 v2, v3, v2
	v_rcp_iflag_f32_e32 v21, v21
	v_lshlrev_b32_e32 v22, 2, v0
	v_and_b32_e32 v2, -4, v2
	v_and_b32_e32 v4, -4, v4
	v_mul_f32_e32 v21, 0x4f7ffffe, v21
	v_cvt_u32_f32_e32 v21, v21
	v_and_b32_e32 v28, 12, v22
	v_add3_u32 v2, v2, v23, s3
	v_add3_u32 v4, v4, v23, s3
	v_and_b32_e32 v23, 28, v22
	v_add_u32_e32 v33, v32, v22
	v_and_b32_e32 v1, 0xfc, v0
	v_lshlrev_b32_e32 v22, 5, v0
	s_sub_i32 s10, 0, s2
	v_add3_u32 v35, v22, v1, s3
	v_add_u32_e32 v1, 32, v0
	v_mul_lo_u32 v38, s10, v21
	v_and_b32_e32 v22, 0x1fc, v1
	v_lshlrev_b32_e32 v24, 5, v1
	v_add3_u32 v36, v24, v22, s3
	v_add_u32_e32 v22, 64, v0
	v_and_b32_e32 v24, 0x1fc, v22
	v_lshlrev_b32_e32 v22, 5, v22
	v_add3_u32 v37, v22, v24, s3
	v_mul_hi_u32 v24, v21, v38
	s_waitcnt vmcnt(0)
	v_sub_u32_e32 v39, 0, v26
	v_max_i32_e32 v40, v26, v39
	v_lshrrev_b32_e32 v39, 3, v1
	v_add_u32_e32 v21, v21, v24
	v_mul_hi_u32 v21, v40, v21
	v_add_u32_e32 v22, 0x60, v0
	v_and_b32_e32 v38, 0x1fc, v22
	v_lshlrev_b32_e32 v22, 5, v22
	v_mul_lo_u32 v1, v21, s2
	v_add_u32_e32 v24, 1, v21
	v_add3_u32 v38, v22, v38, s3
	v_xor_b32_e32 v22, s14, v26
	v_sub_u32_e32 v1, v40, v1
	v_cmp_le_u32_e32 vcc, s2, v1
	v_cndmask_b32_e32 v21, v21, v24, vcc
	v_subrev_u32_e32 v24, s2, v1
	v_cndmask_b32_e32 v1, v1, v24, vcc
	v_add_u32_e32 v24, 1, v21
	v_cmp_le_u32_e32 vcc, s2, v1
	s_load_dwordx4 s[4:7], s[4:5], 0x0
	v_ashrrev_i32_e32 v22, 31, v22
	v_cndmask_b32_e32 v1, v21, v24, vcc
	v_xor_b32_e32 v1, v1, v22
	v_sub_u32_e32 v1, v1, v22
	v_cmp_gt_i32_e64 s[2:3], s11, v1
	v_mul_lo_u32 v1, v1, s12
	s_mul_i32 s20, s22, s15
	v_lshrrev_b32_e32 v42, 2, v0
	s_waitcnt lgkmcnt(0)
	v_mov_b32_e32 v22, s7
	v_add_co_u32_e32 v21, vcc, s6, v23
	s_mul_hi_i32 s21, s20, 22
	s_mul_i32 s20, s20, 22
	v_addc_co_u32_e32 v22, vcc, 0, v22, vcc
	v_mad_u64_u32 v[101:102], s[24:25], v42, 22, s[20:21]
	v_ashrrev_i32_e32 v23, 31, v1
	v_add_co_u32_e32 v24, vcc, v1, v0
	v_addc_co_u32_e32 v44, vcc, 0, v23, vcc
	v_mad_u64_u32 v[23:24], s[24:25], v24, 36, s[6:7]
	v_mad_i64_i32 v[45:46], s[24:25], v43, 22, v[101:102]
	s_movk_i32 s26, 0x90
	v_mad_i32_i24 v24, v44, 36, v24
	v_add_co_u32_e32 v23, vcc, s26, v23
	v_addc_co_u32_e32 v24, vcc, 0, v24, vcc
	v_add_u32_e32 v40, v39, v1
	v_add_u32_e32 v41, v29, v1
	;; [unrolled: 1-line block ×3, first 2 shown]
	v_add_co_u32_e32 v1, vcc, v45, v28
	v_addc_co_u32_e32 v43, vcc, 0, v46, vcc
	v_mov_b32_e32 v44, s5
	v_add_co_u32_e32 v1, vcc, s4, v1
	v_addc_co_u32_e32 v44, vcc, v44, v43, vcc
	v_add_co_u32_e32 v43, vcc, 6, v1
	v_mad_i64_i32 v[49:50], s[24:25], v47, 22, v[101:102]
	v_addc_co_u32_e32 v44, vcc, 0, v44, vcc
	v_mov_b32_e32 v1, s5
	v_add_co_u32_e32 v45, vcc, s4, v45
	v_addc_co_u32_e32 v46, vcc, v1, v46, vcc
	v_add_co_u32_e32 v1, vcc, v49, v28
	v_addc_co_u32_e32 v47, vcc, 0, v50, vcc
	v_mov_b32_e32 v48, s5
	v_add_co_u32_e32 v1, vcc, s4, v1
	v_addc_co_u32_e32 v48, vcc, v48, v47, vcc
	v_add_co_u32_e32 v47, vcc, 6, v1
	v_addc_co_u32_e32 v48, vcc, 0, v48, vcc
	v_mov_b32_e32 v1, s5
	v_add_co_u32_e32 v49, vcc, s4, v49
	v_mad_i64_i32 v[53:54], s[24:25], v51, 22, v[101:102]
	v_addc_co_u32_e32 v1, vcc, v1, v50, vcc
	v_add_co_u32_e32 v49, vcc, 2, v49
	v_addc_co_u32_e32 v50, vcc, 0, v1, vcc
	v_add_co_u32_e32 v1, vcc, v53, v28
	v_addc_co_u32_e32 v51, vcc, 0, v54, vcc
	v_mov_b32_e32 v52, s5
	v_add_co_u32_e32 v1, vcc, s4, v1
	v_addc_co_u32_e32 v52, vcc, v52, v51, vcc
	v_add_co_u32_e32 v51, vcc, 6, v1
	v_addc_co_u32_e32 v52, vcc, 0, v52, vcc
	v_mov_b32_e32 v1, s5
	v_add_co_u32_e32 v53, vcc, s4, v53
	v_mad_i64_i32 v[57:58], s[24:25], v55, 22, v[101:102]
	v_addc_co_u32_e32 v1, vcc, v1, v54, vcc
	;; [unrolled: 13-line block ×14, first 2 shown]
	v_add_co_u32_e32 v101, vcc, 2, v103
	v_addc_co_u32_e32 v102, vcc, 0, v1, vcc
	v_add_co_u32_e32 v1, vcc, v105, v28
	v_addc_co_u32_e32 v103, vcc, 0, v106, vcc
	v_mul_lo_u32 v108, v3, s22
	v_mov_b32_e32 v104, s5
	v_add_co_u32_e32 v1, vcc, s4, v1
	v_addc_co_u32_e32 v104, vcc, v104, v103, vcc
	v_add_co_u32_e32 v103, vcc, 6, v1
	v_addc_co_u32_e32 v104, vcc, 0, v104, vcc
	v_mov_b32_e32 v1, s5
	v_add_co_u32_e32 v105, vcc, s4, v105
	v_mad_i64_i32 v[108:109], s[24:25], v108, 22, 0
	v_addc_co_u32_e32 v1, vcc, v1, v106, vcc
	v_add_co_u32_e32 v105, vcc, 2, v105
	v_addc_co_u32_e32 v106, vcc, 0, v1, vcc
	v_mov_b32_e32 v1, s21
	v_add_co_u32_e32 v108, vcc, s20, v108
	v_addc_co_u32_e32 v1, vcc, v1, v109, vcc
	v_mul_u32_u24_e32 v118, 22, v110
	v_mul_hi_u32_u24_e32 v117, 22, v110
	v_add_co_u32_e32 v108, vcc, v108, v118
	v_mad_i64_i32 v[110:111], s[24:25], v111, 22, 0
	v_addc_co_u32_e32 v1, vcc, v1, v117, vcc
	v_mov_b32_e32 v109, s5
	v_add_co_u32_e32 v108, vcc, s4, v108
	v_addc_co_u32_e32 v109, vcc, v109, v1, vcc
	v_mov_b32_e32 v1, s21
	v_add_co_u32_e32 v110, vcc, s20, v110
	v_addc_co_u32_e32 v1, vcc, v1, v111, vcc
	v_add_co_u32_e32 v110, vcc, v110, v118
	v_mad_i64_i32 v[113:114], s[24:25], v113, 22, 0
	v_addc_co_u32_e32 v1, vcc, v1, v117, vcc
	v_mov_b32_e32 v111, s5
	v_add_co_u32_e32 v110, vcc, s4, v110
	v_addc_co_u32_e32 v111, vcc, v111, v1, vcc
	v_mov_b32_e32 v1, s21
	v_add_co_u32_e32 v113, vcc, s20, v113
	v_addc_co_u32_e32 v1, vcc, v1, v114, vcc
	;; [unrolled: 9-line block ×3, first 2 shown]
	v_add_co_u32_e32 v115, vcc, v115, v118
	v_addc_co_u32_e32 v1, vcc, v1, v117, vcc
	v_lshlrev_b32_e32 v3, 5, v3
	v_cmp_gt_u32_e64 s[0:1], 4, v0
	v_mov_b32_e32 v116, s5
	v_add_co_u32_e32 v115, vcc, s4, v115
	s_ashr_i32 s23, s8, 31
	v_mov_b32_e32 v27, 0
	v_mul_u32_u24_e32 v34, 0x104, v0
	s_mov_b32 s10, 0
	s_and_b64 s[18:19], s[0:1], s[2:3]
	v_addc_co_u32_e32 v116, vcc, v116, v1, vcc
	s_movk_i32 s20, 0x80
	s_movk_i32 s21, 0x1f00
	s_mov_b32 s24, 0xc0c0105
	v_add_u32_e32 v117, v2, v3
	v_add_u32_e32 v118, v4, v25
	;; [unrolled: 1-line block ×4, first 2 shown]
	v_mov_b32_e32 v121, 8
	v_mov_b32_e32 v112, 0
	;; [unrolled: 1-line block ×4, first 2 shown]
	s_branch .LBB202_6
.LBB202_4:                              ;   in Loop: Header=BB202_6 Depth=1
	s_or_b64 exec, exec, s[4:5]
	s_waitcnt lgkmcnt(0)
	s_barrier
	ds_read_b128 v[1:4], v32
	ds_read2_b32 v[138:139], v34 offset0:32 offset1:33
	ds_read_b128 v[122:125], v30
	ds_read_b128 v[126:129], v30 offset:16
	ds_read_b128 v[130:133], v30 offset:32
	;; [unrolled: 1-line block ×3, first 2 shown]
	ds_read2_b32 v[140:141], v35 offset0:4 offset1:5
	ds_read2_b32 v[142:143], v34 offset0:34 offset1:35
	s_waitcnt lgkmcnt(5)
	v_dot4_i32_i8 v138, v138, v122, 0
	s_waitcnt lgkmcnt(4)
	v_dot4_i32_i8 v148, v139, v126, v138
	ds_read2_b32 v[138:139], v34 offset0:36 offset1:37
	ds_read2_b32 v[144:145], v34 offset0:38 offset1:39
	;; [unrolled: 1-line block ×3, first 2 shown]
	s_waitcnt lgkmcnt(4)
	v_mul_f32_e32 v140, v1, v140
	s_waitcnt lgkmcnt(3)
	v_dot4_i32_i8 v142, v142, v123, v148
	v_dot4_i32_i8 v142, v143, v127, v142
	s_waitcnt lgkmcnt(2)
	v_dot4_i32_i8 v138, v138, v124, v142
	v_dot4_i32_i8 v138, v139, v128, v138
	;; [unrolled: 3-line block ×3, first 2 shown]
	v_add_u32_e32 v148, 0x2100, v34
	v_cvt_f32_i32_e32 v150, v138
	ds_read2_b32 v[138:139], v34 offset0:58 offset1:59
	ds_read2_b32 v[142:143], v34 offset0:60 offset1:61
	;; [unrolled: 1-line block ×3, first 2 shown]
	ds_read2_b32 v[148:149], v148 offset1:1
	v_add_u32_e32 v156, 0x2110, v34
	v_fmac_f32_e32 v27, v140, v150
	ds_read2_b32 v[150:151], v36 offset0:4 offset1:5
	ds_read2_b32 v[152:153], v38 offset0:4 offset1:5
	;; [unrolled: 1-line block ×3, first 2 shown]
	v_add_u32_e32 v158, 0x2118, v34
	s_waitcnt lgkmcnt(3)
	v_dot4_i32_i8 v140, v148, v122, 0
	v_add_u32_e32 v148, 0x2108, v34
	v_dot4_i32_i8 v140, v149, v126, v140
	ds_read2_b32 v[148:149], v148 offset1:1
	v_add_u32_e32 v160, 0x4180, v34
	ds_read2_b32 v[156:157], v156 offset1:1
	ds_read2_b32 v[158:159], v158 offset1:1
	;; [unrolled: 1-line block ×3, first 2 shown]
	s_waitcnt lgkmcnt(6)
	v_mul_f32_e32 v150, v1, v150
	v_add_u32_e32 v164, 0x4198, v34
	s_waitcnt lgkmcnt(3)
	v_dot4_i32_i8 v140, v148, v123, v140
	v_dot4_i32_i8 v140, v149, v127, v140
	s_waitcnt lgkmcnt(2)
	v_dot4_i32_i8 v140, v156, v124, v140
	v_dot4_i32_i8 v140, v157, v128, v140
	;; [unrolled: 3-line block ×3, first 2 shown]
	v_cvt_f32_i32_e32 v140, v140
	ds_read2_b32 v[148:149], v37 offset0:4 offset1:5
	ds_read2_b32 v[156:157], v36 offset0:6 offset1:7
	;; [unrolled: 1-line block ×3, first 2 shown]
	v_add_u32_e32 v166, 0x6200, v34
	v_fmac_f32_e32 v112, v150, v140
	s_waitcnt lgkmcnt(3)
	v_dot4_i32_i8 v140, v160, v122, 0
	v_add_u32_e32 v150, 0x4188, v34
	v_dot4_i32_i8 v140, v161, v126, v140
	ds_read2_b32 v[160:161], v150 offset1:1
	v_add_u32_e32 v150, 0x4190, v34
	ds_read2_b32 v[162:163], v150 offset1:1
	ds_read2_b32 v[164:165], v164 offset1:1
	;; [unrolled: 1-line block ×3, first 2 shown]
	v_add_u32_e32 v150, 0x6218, v34
	s_waitcnt lgkmcnt(6)
	v_mul_f32_e32 v148, v1, v148
	s_waitcnt lgkmcnt(3)
	v_dot4_i32_i8 v140, v160, v123, v140
	v_dot4_i32_i8 v140, v161, v127, v140
	s_waitcnt lgkmcnt(0)
	v_dot4_i32_i8 v122, v166, v122, 0
	v_dot4_i32_i8 v122, v167, v126, v122
	v_add_u32_e32 v126, 0x6208, v34
	ds_read2_b32 v[160:161], v126 offset1:1
	v_dot4_i32_i8 v140, v162, v124, v140
	v_dot4_i32_i8 v140, v163, v128, v140
	;; [unrolled: 1-line block ×3, first 2 shown]
	v_add_u32_e32 v126, 0x6210, v34
	v_add_u32_e32 v166, 0x2120, v34
	v_dot4_i32_i8 v140, v165, v129, v140
	ds_read2_b32 v[162:163], v126 offset1:1
	ds_read2_b32 v[164:165], v150 offset1:1
	;; [unrolled: 1-line block ×3, first 2 shown]
	s_waitcnt lgkmcnt(3)
	v_dot4_i32_i8 v122, v160, v123, v122
	v_dot4_i32_i8 v122, v161, v127, v122
	s_waitcnt lgkmcnt(2)
	v_dot4_i32_i8 v122, v162, v124, v122
	v_dot4_i32_i8 v122, v163, v128, v122
	;; [unrolled: 3-line block ×3, first 2 shown]
	v_cvt_f32_i32_e32 v122, v122
	v_mul_f32_e32 v1, v1, v152
	ds_read2_b32 v[160:161], v37 offset0:6 offset1:7
	v_cvt_f32_i32_e32 v140, v140
	v_fmac_f32_e32 v25, v1, v122
	ds_read2_b32 v[122:123], v34 offset0:42 offset1:43
	v_dot4_i32_i8 v1, v146, v130, 0
	v_dot4_i32_i8 v1, v147, v134, v1
	ds_read2_b32 v[124:125], v34 offset0:44 offset1:45
	ds_read2_b32 v[126:127], v34 offset0:46 offset1:47
	;; [unrolled: 1-line block ×3, first 2 shown]
	v_fmac_f32_e32 v107, v148, v140
	s_waitcnt lgkmcnt(3)
	v_dot4_i32_i8 v1, v122, v131, v1
	v_dot4_i32_i8 v122, v166, v130, 0
	;; [unrolled: 1-line block ×3, first 2 shown]
	v_add_u32_e32 v122, 0x2128, v34
	v_dot4_i32_i8 v1, v123, v135, v1
	ds_read2_b32 v[122:123], v122 offset1:1
	s_waitcnt lgkmcnt(3)
	v_dot4_i32_i8 v1, v124, v132, v1
	v_dot4_i32_i8 v1, v125, v136, v1
	s_waitcnt lgkmcnt(2)
	v_dot4_i32_i8 v1, v126, v133, v1
	v_add_u32_e32 v124, 0x2130, v34
	v_add_u32_e32 v126, 0x2138, v34
	;; [unrolled: 1-line block ×3, first 2 shown]
	v_dot4_i32_i8 v1, v127, v137, v1
	ds_read2_b32 v[124:125], v124 offset1:1
	ds_read2_b32 v[126:127], v126 offset1:1
	;; [unrolled: 1-line block ×3, first 2 shown]
	s_waitcnt lgkmcnt(3)
	v_dot4_i32_i8 v122, v122, v131, v140
	v_dot4_i32_i8 v122, v123, v135, v122
	s_waitcnt lgkmcnt(2)
	v_dot4_i32_i8 v122, v124, v132, v122
	v_dot4_i32_i8 v122, v125, v136, v122
	s_waitcnt lgkmcnt(1)
	v_dot4_i32_i8 v122, v126, v133, v122
	v_cvt_f32_i32_e32 v1, v1
	v_dot4_i32_i8 v122, v127, v137, v122
	v_cvt_f32_i32_e32 v122, v122
	v_mul_f32_e32 v123, v2, v141
	v_fmac_f32_e32 v27, v123, v1
	v_mul_f32_e32 v1, v2, v151
	v_fmac_f32_e32 v112, v1, v122
	s_waitcnt lgkmcnt(0)
	v_dot4_i32_i8 v1, v128, v130, 0
	v_add_u32_e32 v122, 0x41a8, v34
	v_add_u32_e32 v124, 0x41b0, v34
	;; [unrolled: 1-line block ×4, first 2 shown]
	v_dot4_i32_i8 v1, v129, v134, v1
	ds_read2_b32 v[122:123], v122 offset1:1
	ds_read2_b32 v[124:125], v124 offset1:1
	;; [unrolled: 1-line block ×4, first 2 shown]
	v_mul_f32_e32 v148, v2, v149
	s_waitcnt lgkmcnt(3)
	v_dot4_i32_i8 v1, v122, v131, v1
	s_waitcnt lgkmcnt(0)
	v_dot4_i32_i8 v122, v128, v130, 0
	v_dot4_i32_i8 v128, v129, v134, v122
	v_add_u32_e32 v122, 0x6228, v34
	v_dot4_i32_i8 v1, v123, v135, v1
	ds_read2_b32 v[122:123], v122 offset1:1
	v_dot4_i32_i8 v1, v124, v132, v1
	v_dot4_i32_i8 v1, v125, v136, v1
	;; [unrolled: 1-line block ×3, first 2 shown]
	v_add_u32_e32 v124, 0x6230, v34
	v_add_u32_e32 v126, 0x6238, v34
	v_dot4_i32_i8 v1, v127, v137, v1
	v_add_u32_e32 v129, 0x2140, v34
	ds_read2_b32 v[124:125], v124 offset1:1
	ds_read2_b32 v[126:127], v126 offset1:1
	ds_read2_b32 v[140:141], v129 offset1:1
	s_waitcnt lgkmcnt(3)
	v_dot4_i32_i8 v122, v122, v131, v128
	v_dot4_i32_i8 v122, v123, v135, v122
	s_waitcnt lgkmcnt(2)
	v_dot4_i32_i8 v122, v124, v132, v122
	v_dot4_i32_i8 v122, v125, v136, v122
	s_waitcnt lgkmcnt(1)
	v_dot4_i32_i8 v122, v126, v133, v122
	v_cvt_f32_i32_e32 v1, v1
	v_dot4_i32_i8 v122, v127, v137, v122
	v_cvt_f32_i32_e32 v130, v122
	ds_read_b128 v[122:125], v30 offset:64
	ds_read_b128 v[126:129], v30 offset:80
	v_fmac_f32_e32 v107, v148, v1
	v_mul_f32_e32 v1, v2, v153
	v_fmac_f32_e32 v25, v1, v130
	ds_read2_b32 v[1:2], v34 offset0:50 offset1:51
	s_waitcnt lgkmcnt(2)
	v_dot4_i32_i8 v130, v146, v122, 0
	s_waitcnt lgkmcnt(1)
	v_dot4_i32_i8 v136, v147, v126, v130
	ds_read2_b32 v[130:131], v34 offset0:52 offset1:53
	ds_read2_b32 v[132:133], v34 offset0:54 offset1:55
	;; [unrolled: 1-line block ×3, first 2 shown]
	s_waitcnt lgkmcnt(3)
	v_dot4_i32_i8 v1, v1, v123, v136
	v_dot4_i32_i8 v1, v2, v127, v1
	s_waitcnt lgkmcnt(2)
	v_dot4_i32_i8 v1, v130, v124, v1
	v_dot4_i32_i8 v1, v131, v128, v1
	;; [unrolled: 3-line block ×3, first 2 shown]
	v_cvt_f32_i32_e32 v146, v1
	v_dot4_i32_i8 v1, v140, v122, 0
	v_dot4_i32_i8 v140, v141, v126, v1
	v_add_u32_e32 v1, 0x2148, v34
	ds_read2_b32 v[1:2], v1 offset1:1
	v_add_u32_e32 v130, 0x2150, v34
	v_add_u32_e32 v132, 0x2158, v34
	;; [unrolled: 1-line block ×3, first 2 shown]
	ds_read2_b32 v[130:131], v130 offset1:1
	ds_read2_b32 v[132:133], v132 offset1:1
	ds_read2_b32 v[136:137], v136 offset1:1
	s_waitcnt lgkmcnt(3)
	v_dot4_i32_i8 v1, v1, v123, v140
	v_dot4_i32_i8 v1, v2, v127, v1
	s_waitcnt lgkmcnt(2)
	v_dot4_i32_i8 v1, v130, v124, v1
	v_dot4_i32_i8 v1, v131, v128, v1
	;; [unrolled: 3-line block ×3, first 2 shown]
	v_cvt_f32_i32_e32 v1, v1
	v_mul_f32_e32 v2, v3, v158
	v_fmac_f32_e32 v27, v2, v146
	v_mul_f32_e32 v2, v3, v156
	v_fmac_f32_e32 v112, v2, v1
	s_waitcnt lgkmcnt(0)
	v_dot4_i32_i8 v1, v136, v122, 0
	v_dot4_i32_i8 v140, v137, v126, v1
	v_add_u32_e32 v1, 0x41c8, v34
	ds_read2_b32 v[1:2], v1 offset1:1
	v_add_u32_e32 v130, 0x41d0, v34
	v_add_u32_e32 v132, 0x41d8, v34
	;; [unrolled: 1-line block ×3, first 2 shown]
	ds_read2_b32 v[130:131], v130 offset1:1
	ds_read2_b32 v[132:133], v132 offset1:1
	;; [unrolled: 1-line block ×3, first 2 shown]
	s_waitcnt lgkmcnt(3)
	v_dot4_i32_i8 v1, v1, v123, v140
	v_dot4_i32_i8 v1, v2, v127, v1
	s_waitcnt lgkmcnt(2)
	v_dot4_i32_i8 v1, v130, v124, v1
	v_dot4_i32_i8 v1, v131, v128, v1
	;; [unrolled: 3-line block ×3, first 2 shown]
	v_cvt_f32_i32_e32 v141, v1
	s_waitcnt lgkmcnt(0)
	v_dot4_i32_i8 v1, v136, v122, 0
	v_dot4_i32_i8 v122, v137, v126, v1
	v_add_u32_e32 v1, 0x6248, v34
	ds_read2_b32 v[1:2], v1 offset1:1
	v_add_u32_e32 v126, 0x6250, v34
	v_add_u32_e32 v132, 0x6258, v34
	;; [unrolled: 1-line block ×3, first 2 shown]
	ds_read2_b32 v[130:131], v126 offset1:1
	ds_read2_b32 v[132:133], v132 offset1:1
	;; [unrolled: 1-line block ×3, first 2 shown]
	s_waitcnt lgkmcnt(3)
	v_dot4_i32_i8 v1, v1, v123, v122
	v_dot4_i32_i8 v1, v2, v127, v1
	s_waitcnt lgkmcnt(2)
	v_dot4_i32_i8 v1, v130, v124, v1
	v_dot4_i32_i8 v1, v131, v128, v1
	;; [unrolled: 3-line block ×3, first 2 shown]
	v_cvt_f32_i32_e32 v1, v1
	ds_read_b128 v[122:125], v30 offset:96
	ds_read_b128 v[126:129], v30 offset:112
	v_mul_f32_e32 v2, v3, v154
	v_mul_f32_e32 v140, v3, v160
	v_fmac_f32_e32 v25, v2, v1
	s_waitcnt lgkmcnt(1)
	v_dot4_i32_i8 v1, v134, v122, 0
	s_waitcnt lgkmcnt(0)
	v_dot4_i32_i8 v1, v135, v126, v1
	v_dot4_i32_i8 v1, v138, v123, v1
	;; [unrolled: 1-line block ×7, first 2 shown]
	v_cvt_f32_i32_e32 v3, v1
	v_dot4_i32_i8 v1, v136, v122, 0
	v_dot4_i32_i8 v136, v137, v126, v1
	v_add_u32_e32 v1, 0x2168, v34
	ds_read2_b32 v[1:2], v1 offset1:1
	v_add_u32_e32 v130, 0x2170, v34
	v_add_u32_e32 v132, 0x2178, v34
	;; [unrolled: 1-line block ×3, first 2 shown]
	ds_read2_b32 v[130:131], v130 offset1:1
	ds_read2_b32 v[132:133], v132 offset1:1
	;; [unrolled: 1-line block ×3, first 2 shown]
	s_waitcnt lgkmcnt(3)
	v_dot4_i32_i8 v1, v1, v123, v136
	v_dot4_i32_i8 v1, v2, v127, v1
	s_waitcnt lgkmcnt(2)
	v_dot4_i32_i8 v1, v130, v124, v1
	v_dot4_i32_i8 v1, v131, v128, v1
	;; [unrolled: 3-line block ×3, first 2 shown]
	v_cvt_f32_i32_e32 v1, v1
	v_mul_f32_e32 v2, v4, v159
	v_fmac_f32_e32 v27, v2, v3
	v_mul_f32_e32 v2, v4, v157
	v_fmac_f32_e32 v112, v2, v1
	s_waitcnt lgkmcnt(0)
	v_dot4_i32_i8 v1, v134, v122, 0
	v_dot4_i32_i8 v3, v135, v126, v1
	v_add_u32_e32 v1, 0x41e8, v34
	ds_read2_b32 v[1:2], v1 offset1:1
	v_add_u32_e32 v130, 0x41f0, v34
	v_add_u32_e32 v132, 0x41f8, v34
	;; [unrolled: 1-line block ×3, first 2 shown]
	ds_read2_b32 v[130:131], v130 offset1:1
	ds_read2_b32 v[132:133], v132 offset1:1
	;; [unrolled: 1-line block ×3, first 2 shown]
	s_waitcnt lgkmcnt(3)
	v_dot4_i32_i8 v1, v1, v123, v3
	v_dot4_i32_i8 v1, v2, v127, v1
	s_waitcnt lgkmcnt(2)
	v_dot4_i32_i8 v1, v130, v124, v1
	v_dot4_i32_i8 v1, v131, v128, v1
	;; [unrolled: 3-line block ×3, first 2 shown]
	v_cvt_f32_i32_e32 v3, v1
	s_waitcnt lgkmcnt(0)
	v_dot4_i32_i8 v1, v134, v122, 0
	v_dot4_i32_i8 v122, v135, v126, v1
	v_add_u32_e32 v1, 0x6268, v34
	ds_read2_b32 v[1:2], v1 offset1:1
	v_add_u32_e32 v126, 0x6270, v34
	ds_read2_b32 v[130:131], v126 offset1:1
	;; [unrolled: 2-line block ×3, first 2 shown]
	s_waitcnt lgkmcnt(2)
	v_dot4_i32_i8 v1, v1, v123, v122
	v_dot4_i32_i8 v1, v2, v127, v1
	s_waitcnt lgkmcnt(1)
	v_dot4_i32_i8 v1, v130, v124, v1
	v_dot4_i32_i8 v1, v131, v128, v1
	;; [unrolled: 3-line block ×3, first 2 shown]
	v_cvt_f32_i32_e32 v1, v1
	v_fmac_f32_e32 v107, v140, v141
	v_mul_f32_e32 v2, v4, v161
	v_fmac_f32_e32 v107, v2, v3
	v_mul_f32_e32 v2, v4, v155
	v_fmac_f32_e32 v25, v2, v1
	s_barrier
.LBB202_5:                              ;   in Loop: Header=BB202_6 Depth=1
	v_add_co_u32_e32 v23, vcc, 0x120, v23
	v_addc_co_u32_e32 v24, vcc, 0, v24, vcc
	v_add_co_u32_e32 v43, vcc, 0xb0, v43
	v_addc_co_u32_e32 v44, vcc, 0, v44, vcc
	;; [unrolled: 2-line block ×36, first 2 shown]
	s_add_i32 s10, s10, 8
	s_addk_i32 s20, 0x100
	v_add_co_u32_e32 v115, vcc, 0xb0, v115
	s_cmp_ge_i32 s10, s22
	v_addc_co_u32_e32 v116, vcc, 0, v116, vcc
	s_cbranch_scc1 .LBB202_17
.LBB202_6:                              ; =>This Inner Loop Header: Depth=1
	v_mov_b32_e32 v1, s23
	v_add_co_u32_e32 v2, vcc, s8, v43
	v_addc_co_u32_e32 v3, vcc, v44, v1, vcc
	global_load_dword v4, v[2:3], off
	v_add_co_u32_e32 v2, vcc, s8, v45
	v_addc_co_u32_e32 v3, vcc, v46, v1, vcc
	global_load_dword v124, v[2:3], off offset:2
	v_add_co_u32_e32 v2, vcc, s8, v47
	v_addc_co_u32_e32 v3, vcc, v48, v1, vcc
	v_add_co_u32_e32 v122, vcc, s8, v49
	v_addc_co_u32_e32 v123, vcc, v50, v1, vcc
	global_load_dword v125, v[122:123], off
	global_load_dword v126, v[2:3], off
	v_add_co_u32_e32 v2, vcc, s8, v51
	v_addc_co_u32_e32 v3, vcc, v52, v1, vcc
	v_add_co_u32_e32 v122, vcc, s8, v53
	v_addc_co_u32_e32 v123, vcc, v54, v1, vcc
	global_load_dword v127, v[2:3], off
	global_load_dword v128, v[122:123], off
	s_add_i32 s4, s20, 0xffffff80
	s_cmp_lt_i32 s4, s9
	s_waitcnt vmcnt(5)
	v_and_b32_e32 v3, 0xf0f0f0f, v4
	v_lshrrev_b32_e32 v4, 4, v4
	v_and_b32_e32 v4, 0xf0f0f0f, v4
	s_waitcnt vmcnt(4)
	v_ashrrev_i32_e32 v2, v28, v124
	v_lshlrev_b32_e32 v123, 4, v2
	v_lshlrev_b32_e32 v129, 18, v2
	;; [unrolled: 1-line block ×3, first 2 shown]
	v_lshrrev_b32_e32 v131, 12, v2
	v_lshrrev_b32_e32 v132, 5, v2
	v_lshlrev_b32_e32 v133, 2, v2
	v_and_b32_e32 v123, 16, v123
	s_waitcnt vmcnt(3)
	v_ashrrev_i32_e32 v124, v28, v125
	v_lshlrev_b32_e32 v125, 11, v2
	v_lshlrev_b32_e32 v2, 9, v2
	v_and_b32_e32 v125, 0x1000, v125
	v_and_b32_e32 v129, 0x100000, v129
	;; [unrolled: 1-line block ×7, first 2 shown]
	v_or3_b32 v123, v123, v3, v125
	v_or3_b32 v3, v3, v129, v130
	;; [unrolled: 1-line block ×4, first 2 shown]
	v_and_b32_e32 v129, 0x1f00, v123
	v_lshlrev_b16_e32 v123, 8, v123
	v_and_b32_sdwa v130, v3, s21 dst_sel:DWORD dst_unused:UNUSED_PAD src0_sel:WORD_1 src1_sel:DWORD
	v_lshlrev_b16_sdwa v3, v121, v3 dst_sel:DWORD dst_unused:UNUSED_PAD src0_sel:DWORD src1_sel:WORD_1
	v_and_b32_e32 v132, 0x1f00, v125
	v_lshlrev_b16_e32 v125, 8, v125
	v_and_b32_sdwa v131, v2, s21 dst_sel:DWORD dst_unused:UNUSED_PAD src0_sel:WORD_1 src1_sel:DWORD
	v_lshlrev_b16_sdwa v2, v121, v2 dst_sel:DWORD dst_unused:UNUSED_PAD src0_sel:DWORD src1_sel:WORD_1
	v_add_u16_e32 v129, 0xf000, v129
	v_add_u16_e32 v123, 0xf000, v123
	;; [unrolled: 1-line block ×5, first 2 shown]
	v_lshlrev_b32_e32 v134, 4, v124
	v_lshlrev_b32_e32 v135, 11, v124
	;; [unrolled: 1-line block ×4, first 2 shown]
	v_add_u16_e32 v131, 0xf000, v131
	v_add_u16_e32 v2, 0xf000, v2
	v_perm_b32 v123, v123, v129, s24
	v_perm_b32 v3, v3, v130, s24
	v_or_b32_sdwa v125, v132, v125 dst_sel:DWORD dst_unused:UNUSED_PAD src0_sel:DWORD src1_sel:BYTE_1
	s_waitcnt vmcnt(2)
	v_and_b32_e32 v122, 0xf0f0f0f, v126
	v_and_b32_e32 v134, 16, v134
	;; [unrolled: 1-line block ×5, first 2 shown]
	v_perm_b32 v2, v2, v131, s24
	v_lshl_or_b32 v3, v3, 16, v123
	v_add_u16_e32 v123, 0xf000, v125
	v_or3_b32 v4, v134, v122, v135
	v_or3_b32 v122, v122, v136, v137
	v_lshl_or_b32 v2, v2, 16, v123
	v_and_b32_e32 v133, 0x1f00, v4
	ds_write2_b32 v5, v3, v2 offset1:1
	v_lshlrev_b16_e32 v2, 8, v4
	v_and_b32_sdwa v3, v122, s21 dst_sel:DWORD dst_unused:UNUSED_PAD src0_sel:WORD_1 src1_sel:DWORD
	v_lshlrev_b16_sdwa v4, v121, v122 dst_sel:DWORD dst_unused:UNUSED_PAD src0_sel:DWORD src1_sel:WORD_1
	v_add_u16_e32 v133, 0xf000, v133
	v_add_u16_e32 v2, 0xf000, v2
	;; [unrolled: 1-line block ×4, first 2 shown]
	v_perm_b32 v2, v2, v133, s24
	v_perm_b32 v3, v4, v3, s24
	v_lshl_or_b32 v4, v3, 16, v2
	v_lshrrev_b32_e32 v2, 4, v126
	v_and_b32_e32 v125, 0xf0f0f0f, v2
	v_add_co_u32_e32 v2, vcc, s8, v55
	v_addc_co_u32_e32 v3, vcc, v56, v1, vcc
	v_add_co_u32_e32 v122, vcc, s8, v57
	v_addc_co_u32_e32 v123, vcc, v58, v1, vcc
	v_lshrrev_b32_e32 v126, 12, v124
	global_load_dword v129, v[122:123], off
	global_load_dword v130, v[2:3], off
	v_lshrrev_b32_e32 v3, 5, v124
	v_and_b32_e32 v2, 16, v126
	v_and_b32_e32 v3, 0x1000, v3
	v_or3_b32 v2, v2, v125, v3
	v_lshlrev_b32_e32 v3, 2, v124
	v_lshlrev_b32_e32 v122, 9, v124
	v_and_b32_e32 v3, 0x100000, v3
	v_and_b32_e32 v122, 0x10000000, v122
	v_or3_b32 v3, v125, v3, v122
	v_and_b32_sdwa v122, v3, s21 dst_sel:DWORD dst_unused:UNUSED_PAD src0_sel:WORD_1 src1_sel:DWORD
	v_lshlrev_b16_sdwa v3, v121, v3 dst_sel:DWORD dst_unused:UNUSED_PAD src0_sel:DWORD src1_sel:WORD_1
	v_add_u16_e32 v122, 0xf000, v122
	v_add_u16_e32 v3, 0xf000, v3
	v_perm_b32 v3, v3, v122, s24
	v_and_b32_e32 v122, 0x1f00, v2
	v_lshlrev_b16_e32 v2, 8, v2
	v_add_u16_e32 v2, 0xf000, v2
	v_or_b32_sdwa v2, v122, v2 dst_sel:DWORD dst_unused:UNUSED_PAD src0_sel:DWORD src1_sel:BYTE_1
	v_add_u16_e32 v2, 0xf000, v2
	v_lshl_or_b32 v2, v3, 16, v2
	ds_write2_b32 v6, v4, v2 offset1:1
	s_waitcnt vmcnt(2)
	v_ashrrev_i32_e32 v4, v28, v128
	v_lshlrev_b32_e32 v3, 4, v4
	v_lshlrev_b32_e32 v122, 11, v4
	v_and_b32_e32 v2, 0xf0f0f0f, v127
	v_and_b32_e32 v3, 16, v3
	;; [unrolled: 1-line block ×3, first 2 shown]
	v_or3_b32 v3, v3, v2, v122
	v_lshlrev_b32_e32 v122, 18, v4
	v_lshlrev_b32_e32 v123, 25, v4
	v_and_b32_e32 v122, 0x100000, v122
	v_and_b32_e32 v123, 0x10000000, v123
	v_or3_b32 v2, v2, v122, v123
	v_and_b32_e32 v122, 0x1f00, v3
	v_lshlrev_b16_e32 v3, 8, v3
	v_add_u16_e32 v122, 0xf000, v122
	v_add_u16_e32 v3, 0xf000, v3
	v_perm_b32 v3, v3, v122, s24
	v_and_b32_sdwa v122, v2, s21 dst_sel:DWORD dst_unused:UNUSED_PAD src0_sel:WORD_1 src1_sel:DWORD
	v_lshlrev_b16_sdwa v2, v121, v2 dst_sel:DWORD dst_unused:UNUSED_PAD src0_sel:DWORD src1_sel:WORD_1
	v_add_u16_e32 v122, 0xf000, v122
	v_add_u16_e32 v2, 0xf000, v2
	v_perm_b32 v2, v2, v122, s24
	v_lshl_or_b32 v124, v2, 16, v3
	v_lshrrev_b32_e32 v2, 4, v127
	v_and_b32_e32 v125, 0xf0f0f0f, v2
	v_add_co_u32_e32 v2, vcc, s8, v59
	v_addc_co_u32_e32 v3, vcc, v60, v1, vcc
	v_add_co_u32_e32 v122, vcc, s8, v61
	v_addc_co_u32_e32 v123, vcc, v62, v1, vcc
	global_load_dword v127, v[122:123], off
	global_load_dword v128, v[2:3], off
	v_lshrrev_b32_e32 v126, 12, v4
	v_lshrrev_b32_e32 v3, 5, v4
	v_and_b32_e32 v2, 16, v126
	v_and_b32_e32 v3, 0x1000, v3
	v_or3_b32 v2, v2, v125, v3
	v_lshlrev_b32_e32 v3, 2, v4
	v_lshlrev_b32_e32 v4, 9, v4
	v_and_b32_e32 v3, 0x100000, v3
	v_and_b32_e32 v4, 0x10000000, v4
	v_or3_b32 v3, v125, v3, v4
	v_and_b32_sdwa v4, v3, s21 dst_sel:DWORD dst_unused:UNUSED_PAD src0_sel:WORD_1 src1_sel:DWORD
	v_lshlrev_b16_sdwa v3, v121, v3 dst_sel:DWORD dst_unused:UNUSED_PAD src0_sel:DWORD src1_sel:WORD_1
	v_add_u16_e32 v4, 0xf000, v4
	v_add_u16_e32 v3, 0xf000, v3
	v_perm_b32 v3, v3, v4, s24
	v_and_b32_e32 v4, 0x1f00, v2
	v_lshlrev_b16_e32 v2, 8, v2
	v_add_u16_e32 v2, 0xf000, v2
	v_or_b32_sdwa v2, v4, v2 dst_sel:DWORD dst_unused:UNUSED_PAD src0_sel:DWORD src1_sel:BYTE_1
	v_add_u16_e32 v2, 0xf000, v2
	v_lshl_or_b32 v2, v3, 16, v2
	ds_write2_b32 v7, v124, v2 offset1:1
	s_waitcnt vmcnt(3)
	v_ashrrev_i32_e32 v4, v28, v129
	v_lshlrev_b32_e32 v3, 4, v4
	v_lshlrev_b32_e32 v122, 11, v4
	s_waitcnt vmcnt(2)
	v_and_b32_e32 v2, 0xf0f0f0f, v130
	v_and_b32_e32 v3, 16, v3
	;; [unrolled: 1-line block ×3, first 2 shown]
	v_or3_b32 v3, v3, v2, v122
	v_lshlrev_b32_e32 v122, 18, v4
	v_lshlrev_b32_e32 v123, 25, v4
	v_and_b32_e32 v122, 0x100000, v122
	v_and_b32_e32 v123, 0x10000000, v123
	v_or3_b32 v2, v2, v122, v123
	v_and_b32_e32 v122, 0x1f00, v3
	v_lshlrev_b16_e32 v3, 8, v3
	v_add_u16_e32 v122, 0xf000, v122
	v_add_u16_e32 v3, 0xf000, v3
	v_perm_b32 v3, v3, v122, s24
	v_and_b32_sdwa v122, v2, s21 dst_sel:DWORD dst_unused:UNUSED_PAD src0_sel:WORD_1 src1_sel:DWORD
	v_lshlrev_b16_sdwa v2, v121, v2 dst_sel:DWORD dst_unused:UNUSED_PAD src0_sel:DWORD src1_sel:WORD_1
	v_add_u16_e32 v122, 0xf000, v122
	v_add_u16_e32 v2, 0xf000, v2
	v_perm_b32 v2, v2, v122, s24
	v_lshl_or_b32 v124, v2, 16, v3
	v_lshrrev_b32_e32 v2, 4, v130
	v_and_b32_e32 v125, 0xf0f0f0f, v2
	v_add_co_u32_e32 v2, vcc, s8, v63
	v_addc_co_u32_e32 v3, vcc, v64, v1, vcc
	v_add_co_u32_e32 v122, vcc, s8, v65
	v_addc_co_u32_e32 v123, vcc, v66, v1, vcc
	v_lshrrev_b32_e32 v126, 12, v4
	global_load_dword v129, v[122:123], off
	global_load_dword v130, v[2:3], off
	v_lshrrev_b32_e32 v3, 5, v4
	v_and_b32_e32 v2, 16, v126
	v_and_b32_e32 v3, 0x1000, v3
	v_or3_b32 v2, v2, v125, v3
	v_lshlrev_b32_e32 v3, 2, v4
	v_lshlrev_b32_e32 v4, 9, v4
	v_and_b32_e32 v3, 0x100000, v3
	v_and_b32_e32 v4, 0x10000000, v4
	v_or3_b32 v3, v125, v3, v4
	v_and_b32_sdwa v4, v3, s21 dst_sel:DWORD dst_unused:UNUSED_PAD src0_sel:WORD_1 src1_sel:DWORD
	v_lshlrev_b16_sdwa v3, v121, v3 dst_sel:DWORD dst_unused:UNUSED_PAD src0_sel:DWORD src1_sel:WORD_1
	v_add_u16_e32 v4, 0xf000, v4
	v_add_u16_e32 v3, 0xf000, v3
	v_perm_b32 v3, v3, v4, s24
	v_and_b32_e32 v4, 0x1f00, v2
	v_lshlrev_b16_e32 v2, 8, v2
	v_add_u16_e32 v2, 0xf000, v2
	v_or_b32_sdwa v2, v4, v2 dst_sel:DWORD dst_unused:UNUSED_PAD src0_sel:DWORD src1_sel:BYTE_1
	v_add_u16_e32 v2, 0xf000, v2
	v_lshl_or_b32 v2, v3, 16, v2
	s_waitcnt vmcnt(3)
	v_ashrrev_i32_e32 v4, v28, v127
	v_lshlrev_b32_e32 v3, 4, v4
	v_lshlrev_b32_e32 v122, 11, v4
	ds_write2_b32 v8, v124, v2 offset1:1
	s_waitcnt vmcnt(2)
	v_and_b32_e32 v2, 0xf0f0f0f, v128
	v_and_b32_e32 v3, 16, v3
	v_and_b32_e32 v122, 0x1000, v122
	v_or3_b32 v3, v3, v2, v122
	v_lshlrev_b32_e32 v122, 18, v4
	v_lshlrev_b32_e32 v123, 25, v4
	v_and_b32_e32 v122, 0x100000, v122
	v_and_b32_e32 v123, 0x10000000, v123
	v_or3_b32 v2, v2, v122, v123
	v_and_b32_e32 v122, 0x1f00, v3
	v_lshlrev_b16_e32 v3, 8, v3
	v_add_u16_e32 v122, 0xf000, v122
	v_add_u16_e32 v3, 0xf000, v3
	v_perm_b32 v3, v3, v122, s24
	v_and_b32_sdwa v122, v2, s21 dst_sel:DWORD dst_unused:UNUSED_PAD src0_sel:WORD_1 src1_sel:DWORD
	v_lshlrev_b16_sdwa v2, v121, v2 dst_sel:DWORD dst_unused:UNUSED_PAD src0_sel:DWORD src1_sel:WORD_1
	v_add_u16_e32 v122, 0xf000, v122
	v_add_u16_e32 v2, 0xf000, v2
	v_perm_b32 v2, v2, v122, s24
	v_lshl_or_b32 v124, v2, 16, v3
	v_lshrrev_b32_e32 v2, 4, v128
	v_and_b32_e32 v125, 0xf0f0f0f, v2
	v_add_co_u32_e32 v2, vcc, s8, v67
	v_addc_co_u32_e32 v3, vcc, v68, v1, vcc
	v_add_co_u32_e32 v122, vcc, s8, v69
	v_addc_co_u32_e32 v123, vcc, v70, v1, vcc
	global_load_dword v127, v[122:123], off
	global_load_dword v128, v[2:3], off
	v_lshrrev_b32_e32 v126, 12, v4
	v_lshrrev_b32_e32 v3, 5, v4
	v_and_b32_e32 v2, 16, v126
	v_and_b32_e32 v3, 0x1000, v3
	v_or3_b32 v2, v2, v125, v3
	v_lshlrev_b32_e32 v3, 2, v4
	v_lshlrev_b32_e32 v4, 9, v4
	v_and_b32_e32 v3, 0x100000, v3
	v_and_b32_e32 v4, 0x10000000, v4
	v_or3_b32 v3, v125, v3, v4
	v_and_b32_sdwa v4, v3, s21 dst_sel:DWORD dst_unused:UNUSED_PAD src0_sel:WORD_1 src1_sel:DWORD
	v_lshlrev_b16_sdwa v3, v121, v3 dst_sel:DWORD dst_unused:UNUSED_PAD src0_sel:DWORD src1_sel:WORD_1
	v_add_u16_e32 v4, 0xf000, v4
	v_add_u16_e32 v3, 0xf000, v3
	v_perm_b32 v3, v3, v4, s24
	v_and_b32_e32 v4, 0x1f00, v2
	v_lshlrev_b16_e32 v2, 8, v2
	v_add_u16_e32 v2, 0xf000, v2
	v_or_b32_sdwa v2, v4, v2 dst_sel:DWORD dst_unused:UNUSED_PAD src0_sel:DWORD src1_sel:BYTE_1
	v_add_u16_e32 v2, 0xf000, v2
	v_lshl_or_b32 v2, v3, 16, v2
	ds_write2_b32 v9, v124, v2 offset1:1
	s_waitcnt vmcnt(3)
	v_ashrrev_i32_e32 v4, v28, v129
	v_lshlrev_b32_e32 v3, 4, v4
	v_lshlrev_b32_e32 v122, 11, v4
	s_waitcnt vmcnt(2)
	v_and_b32_e32 v2, 0xf0f0f0f, v130
	v_and_b32_e32 v3, 16, v3
	;; [unrolled: 1-line block ×3, first 2 shown]
	v_or3_b32 v3, v3, v2, v122
	v_lshlrev_b32_e32 v122, 18, v4
	v_lshlrev_b32_e32 v123, 25, v4
	v_and_b32_e32 v122, 0x100000, v122
	v_and_b32_e32 v123, 0x10000000, v123
	v_or3_b32 v2, v2, v122, v123
	v_and_b32_e32 v122, 0x1f00, v3
	v_lshlrev_b16_e32 v3, 8, v3
	v_add_u16_e32 v122, 0xf000, v122
	v_add_u16_e32 v3, 0xf000, v3
	v_perm_b32 v3, v3, v122, s24
	v_and_b32_sdwa v122, v2, s21 dst_sel:DWORD dst_unused:UNUSED_PAD src0_sel:WORD_1 src1_sel:DWORD
	v_lshlrev_b16_sdwa v2, v121, v2 dst_sel:DWORD dst_unused:UNUSED_PAD src0_sel:DWORD src1_sel:WORD_1
	v_add_u16_e32 v122, 0xf000, v122
	v_add_u16_e32 v2, 0xf000, v2
	v_perm_b32 v2, v2, v122, s24
	v_lshl_or_b32 v124, v2, 16, v3
	v_lshrrev_b32_e32 v2, 4, v130
	v_and_b32_e32 v125, 0xf0f0f0f, v2
	v_add_co_u32_e32 v2, vcc, s8, v71
	v_addc_co_u32_e32 v3, vcc, v72, v1, vcc
	v_add_co_u32_e32 v122, vcc, s8, v73
	v_addc_co_u32_e32 v123, vcc, v74, v1, vcc
	v_lshrrev_b32_e32 v126, 12, v4
	global_load_dword v129, v[122:123], off
	global_load_dword v130, v[2:3], off
	v_lshrrev_b32_e32 v3, 5, v4
	v_and_b32_e32 v2, 16, v126
	v_and_b32_e32 v3, 0x1000, v3
	v_or3_b32 v2, v2, v125, v3
	v_lshlrev_b32_e32 v3, 2, v4
	v_lshlrev_b32_e32 v4, 9, v4
	v_and_b32_e32 v3, 0x100000, v3
	v_and_b32_e32 v4, 0x10000000, v4
	v_or3_b32 v3, v125, v3, v4
	v_and_b32_sdwa v4, v3, s21 dst_sel:DWORD dst_unused:UNUSED_PAD src0_sel:WORD_1 src1_sel:DWORD
	v_lshlrev_b16_sdwa v3, v121, v3 dst_sel:DWORD dst_unused:UNUSED_PAD src0_sel:DWORD src1_sel:WORD_1
	v_add_u16_e32 v4, 0xf000, v4
	v_add_u16_e32 v3, 0xf000, v3
	v_perm_b32 v3, v3, v4, s24
	v_and_b32_e32 v4, 0x1f00, v2
	v_lshlrev_b16_e32 v2, 8, v2
	v_add_u16_e32 v2, 0xf000, v2
	v_or_b32_sdwa v2, v4, v2 dst_sel:DWORD dst_unused:UNUSED_PAD src0_sel:DWORD src1_sel:BYTE_1
	v_add_u16_e32 v2, 0xf000, v2
	v_lshl_or_b32 v2, v3, 16, v2
	s_waitcnt vmcnt(3)
	v_ashrrev_i32_e32 v4, v28, v127
	v_lshlrev_b32_e32 v3, 4, v4
	v_lshlrev_b32_e32 v122, 11, v4
	ds_write2_b32 v10, v124, v2 offset1:1
	s_waitcnt vmcnt(2)
	v_and_b32_e32 v2, 0xf0f0f0f, v128
	v_and_b32_e32 v3, 16, v3
	;; [unrolled: 1-line block ×3, first 2 shown]
	v_or3_b32 v3, v3, v2, v122
	v_lshlrev_b32_e32 v122, 18, v4
	v_lshlrev_b32_e32 v123, 25, v4
	v_and_b32_e32 v122, 0x100000, v122
	v_and_b32_e32 v123, 0x10000000, v123
	v_or3_b32 v2, v2, v122, v123
	v_and_b32_e32 v122, 0x1f00, v3
	v_lshlrev_b16_e32 v3, 8, v3
	v_add_u16_e32 v122, 0xf000, v122
	v_add_u16_e32 v3, 0xf000, v3
	v_perm_b32 v3, v3, v122, s24
	v_and_b32_sdwa v122, v2, s21 dst_sel:DWORD dst_unused:UNUSED_PAD src0_sel:WORD_1 src1_sel:DWORD
	v_lshlrev_b16_sdwa v2, v121, v2 dst_sel:DWORD dst_unused:UNUSED_PAD src0_sel:DWORD src1_sel:WORD_1
	v_add_u16_e32 v122, 0xf000, v122
	v_add_u16_e32 v2, 0xf000, v2
	v_perm_b32 v2, v2, v122, s24
	v_lshl_or_b32 v124, v2, 16, v3
	v_lshrrev_b32_e32 v2, 4, v128
	v_and_b32_e32 v125, 0xf0f0f0f, v2
	v_add_co_u32_e32 v2, vcc, s8, v75
	v_addc_co_u32_e32 v3, vcc, v76, v1, vcc
	v_add_co_u32_e32 v122, vcc, s8, v77
	v_addc_co_u32_e32 v123, vcc, v78, v1, vcc
	global_load_dword v127, v[122:123], off
	global_load_dword v128, v[2:3], off
	v_lshrrev_b32_e32 v126, 12, v4
	v_lshrrev_b32_e32 v3, 5, v4
	v_and_b32_e32 v2, 16, v126
	v_and_b32_e32 v3, 0x1000, v3
	v_or3_b32 v2, v2, v125, v3
	v_lshlrev_b32_e32 v3, 2, v4
	v_lshlrev_b32_e32 v4, 9, v4
	v_and_b32_e32 v3, 0x100000, v3
	v_and_b32_e32 v4, 0x10000000, v4
	v_or3_b32 v3, v125, v3, v4
	v_and_b32_sdwa v4, v3, s21 dst_sel:DWORD dst_unused:UNUSED_PAD src0_sel:WORD_1 src1_sel:DWORD
	v_lshlrev_b16_sdwa v3, v121, v3 dst_sel:DWORD dst_unused:UNUSED_PAD src0_sel:DWORD src1_sel:WORD_1
	v_add_u16_e32 v4, 0xf000, v4
	v_add_u16_e32 v3, 0xf000, v3
	v_perm_b32 v3, v3, v4, s24
	v_and_b32_e32 v4, 0x1f00, v2
	v_lshlrev_b16_e32 v2, 8, v2
	v_add_u16_e32 v2, 0xf000, v2
	v_or_b32_sdwa v2, v4, v2 dst_sel:DWORD dst_unused:UNUSED_PAD src0_sel:DWORD src1_sel:BYTE_1
	v_add_u16_e32 v2, 0xf000, v2
	v_lshl_or_b32 v2, v3, 16, v2
	ds_write2_b32 v11, v124, v2 offset1:1
	s_waitcnt vmcnt(3)
	v_ashrrev_i32_e32 v4, v28, v129
	v_lshlrev_b32_e32 v3, 4, v4
	v_lshlrev_b32_e32 v122, 11, v4
	s_waitcnt vmcnt(2)
	v_and_b32_e32 v2, 0xf0f0f0f, v130
	v_and_b32_e32 v3, 16, v3
	v_and_b32_e32 v122, 0x1000, v122
	v_or3_b32 v3, v3, v2, v122
	v_lshlrev_b32_e32 v122, 18, v4
	v_lshlrev_b32_e32 v123, 25, v4
	v_and_b32_e32 v122, 0x100000, v122
	v_and_b32_e32 v123, 0x10000000, v123
	v_or3_b32 v2, v2, v122, v123
	v_and_b32_e32 v122, 0x1f00, v3
	v_lshlrev_b16_e32 v3, 8, v3
	v_add_u16_e32 v122, 0xf000, v122
	v_add_u16_e32 v3, 0xf000, v3
	v_perm_b32 v3, v3, v122, s24
	v_and_b32_sdwa v122, v2, s21 dst_sel:DWORD dst_unused:UNUSED_PAD src0_sel:WORD_1 src1_sel:DWORD
	v_lshlrev_b16_sdwa v2, v121, v2 dst_sel:DWORD dst_unused:UNUSED_PAD src0_sel:DWORD src1_sel:WORD_1
	v_add_u16_e32 v122, 0xf000, v122
	v_add_u16_e32 v2, 0xf000, v2
	v_perm_b32 v2, v2, v122, s24
	v_lshl_or_b32 v124, v2, 16, v3
	v_lshrrev_b32_e32 v2, 4, v130
	v_and_b32_e32 v125, 0xf0f0f0f, v2
	v_add_co_u32_e32 v2, vcc, s8, v79
	v_addc_co_u32_e32 v3, vcc, v80, v1, vcc
	v_add_co_u32_e32 v122, vcc, s8, v81
	v_addc_co_u32_e32 v123, vcc, v82, v1, vcc
	v_lshrrev_b32_e32 v126, 12, v4
	global_load_dword v129, v[122:123], off
	global_load_dword v130, v[2:3], off
	v_lshrrev_b32_e32 v3, 5, v4
	v_and_b32_e32 v2, 16, v126
	v_and_b32_e32 v3, 0x1000, v3
	v_or3_b32 v2, v2, v125, v3
	v_lshlrev_b32_e32 v3, 2, v4
	v_lshlrev_b32_e32 v4, 9, v4
	v_and_b32_e32 v3, 0x100000, v3
	v_and_b32_e32 v4, 0x10000000, v4
	v_or3_b32 v3, v125, v3, v4
	v_and_b32_sdwa v4, v3, s21 dst_sel:DWORD dst_unused:UNUSED_PAD src0_sel:WORD_1 src1_sel:DWORD
	v_lshlrev_b16_sdwa v3, v121, v3 dst_sel:DWORD dst_unused:UNUSED_PAD src0_sel:DWORD src1_sel:WORD_1
	v_add_u16_e32 v4, 0xf000, v4
	v_add_u16_e32 v3, 0xf000, v3
	v_perm_b32 v3, v3, v4, s24
	v_and_b32_e32 v4, 0x1f00, v2
	v_lshlrev_b16_e32 v2, 8, v2
	v_add_u16_e32 v2, 0xf000, v2
	v_or_b32_sdwa v2, v4, v2 dst_sel:DWORD dst_unused:UNUSED_PAD src0_sel:DWORD src1_sel:BYTE_1
	v_add_u16_e32 v2, 0xf000, v2
	v_lshl_or_b32 v2, v3, 16, v2
	s_waitcnt vmcnt(3)
	v_ashrrev_i32_e32 v4, v28, v127
	v_lshlrev_b32_e32 v3, 4, v4
	v_lshlrev_b32_e32 v122, 11, v4
	ds_write2_b32 v12, v124, v2 offset1:1
	s_waitcnt vmcnt(2)
	v_and_b32_e32 v2, 0xf0f0f0f, v128
	v_and_b32_e32 v3, 16, v3
	;; [unrolled: 1-line block ×3, first 2 shown]
	v_or3_b32 v3, v3, v2, v122
	v_lshlrev_b32_e32 v122, 18, v4
	v_lshlrev_b32_e32 v123, 25, v4
	v_and_b32_e32 v122, 0x100000, v122
	v_and_b32_e32 v123, 0x10000000, v123
	v_or3_b32 v2, v2, v122, v123
	v_and_b32_e32 v122, 0x1f00, v3
	v_lshlrev_b16_e32 v3, 8, v3
	v_add_u16_e32 v122, 0xf000, v122
	v_add_u16_e32 v3, 0xf000, v3
	v_perm_b32 v3, v3, v122, s24
	v_and_b32_sdwa v122, v2, s21 dst_sel:DWORD dst_unused:UNUSED_PAD src0_sel:WORD_1 src1_sel:DWORD
	v_lshlrev_b16_sdwa v2, v121, v2 dst_sel:DWORD dst_unused:UNUSED_PAD src0_sel:DWORD src1_sel:WORD_1
	v_add_u16_e32 v122, 0xf000, v122
	v_add_u16_e32 v2, 0xf000, v2
	v_perm_b32 v2, v2, v122, s24
	v_lshl_or_b32 v124, v2, 16, v3
	v_lshrrev_b32_e32 v2, 4, v128
	v_and_b32_e32 v125, 0xf0f0f0f, v2
	v_add_co_u32_e32 v2, vcc, s8, v83
	v_addc_co_u32_e32 v3, vcc, v84, v1, vcc
	v_add_co_u32_e32 v122, vcc, s8, v85
	v_addc_co_u32_e32 v123, vcc, v86, v1, vcc
	global_load_dword v127, v[122:123], off
	global_load_dword v128, v[2:3], off
	v_lshrrev_b32_e32 v126, 12, v4
	v_lshrrev_b32_e32 v3, 5, v4
	v_and_b32_e32 v2, 16, v126
	v_and_b32_e32 v3, 0x1000, v3
	v_or3_b32 v2, v2, v125, v3
	v_lshlrev_b32_e32 v3, 2, v4
	v_lshlrev_b32_e32 v4, 9, v4
	v_and_b32_e32 v3, 0x100000, v3
	v_and_b32_e32 v4, 0x10000000, v4
	v_or3_b32 v3, v125, v3, v4
	v_and_b32_sdwa v4, v3, s21 dst_sel:DWORD dst_unused:UNUSED_PAD src0_sel:WORD_1 src1_sel:DWORD
	v_lshlrev_b16_sdwa v3, v121, v3 dst_sel:DWORD dst_unused:UNUSED_PAD src0_sel:DWORD src1_sel:WORD_1
	v_add_u16_e32 v4, 0xf000, v4
	v_add_u16_e32 v3, 0xf000, v3
	v_perm_b32 v3, v3, v4, s24
	v_and_b32_e32 v4, 0x1f00, v2
	v_lshlrev_b16_e32 v2, 8, v2
	v_add_u16_e32 v2, 0xf000, v2
	v_or_b32_sdwa v2, v4, v2 dst_sel:DWORD dst_unused:UNUSED_PAD src0_sel:DWORD src1_sel:BYTE_1
	v_add_u16_e32 v2, 0xf000, v2
	v_lshl_or_b32 v2, v3, 16, v2
	ds_write2_b32 v13, v124, v2 offset1:1
	s_waitcnt vmcnt(3)
	v_ashrrev_i32_e32 v4, v28, v129
	v_lshlrev_b32_e32 v3, 4, v4
	v_lshlrev_b32_e32 v122, 11, v4
	s_waitcnt vmcnt(2)
	v_and_b32_e32 v2, 0xf0f0f0f, v130
	v_and_b32_e32 v3, 16, v3
	v_and_b32_e32 v122, 0x1000, v122
	v_or3_b32 v3, v3, v2, v122
	v_lshlrev_b32_e32 v122, 18, v4
	v_lshlrev_b32_e32 v123, 25, v4
	v_and_b32_e32 v122, 0x100000, v122
	v_and_b32_e32 v123, 0x10000000, v123
	v_or3_b32 v2, v2, v122, v123
	v_and_b32_e32 v122, 0x1f00, v3
	v_lshlrev_b16_e32 v3, 8, v3
	v_add_u16_e32 v122, 0xf000, v122
	v_add_u16_e32 v3, 0xf000, v3
	v_perm_b32 v3, v3, v122, s24
	v_and_b32_sdwa v122, v2, s21 dst_sel:DWORD dst_unused:UNUSED_PAD src0_sel:WORD_1 src1_sel:DWORD
	v_lshlrev_b16_sdwa v2, v121, v2 dst_sel:DWORD dst_unused:UNUSED_PAD src0_sel:DWORD src1_sel:WORD_1
	v_add_u16_e32 v122, 0xf000, v122
	v_add_u16_e32 v2, 0xf000, v2
	v_perm_b32 v2, v2, v122, s24
	v_lshl_or_b32 v124, v2, 16, v3
	v_lshrrev_b32_e32 v2, 4, v130
	v_and_b32_e32 v125, 0xf0f0f0f, v2
	v_add_co_u32_e32 v2, vcc, s8, v87
	v_addc_co_u32_e32 v3, vcc, v88, v1, vcc
	v_add_co_u32_e32 v122, vcc, s8, v89
	v_addc_co_u32_e32 v123, vcc, v90, v1, vcc
	v_lshrrev_b32_e32 v126, 12, v4
	global_load_dword v129, v[122:123], off
	global_load_dword v130, v[2:3], off
	v_lshrrev_b32_e32 v3, 5, v4
	v_and_b32_e32 v2, 16, v126
	v_and_b32_e32 v3, 0x1000, v3
	v_or3_b32 v2, v2, v125, v3
	v_lshlrev_b32_e32 v3, 2, v4
	v_lshlrev_b32_e32 v4, 9, v4
	v_and_b32_e32 v3, 0x100000, v3
	v_and_b32_e32 v4, 0x10000000, v4
	v_or3_b32 v3, v125, v3, v4
	v_and_b32_sdwa v4, v3, s21 dst_sel:DWORD dst_unused:UNUSED_PAD src0_sel:WORD_1 src1_sel:DWORD
	v_lshlrev_b16_sdwa v3, v121, v3 dst_sel:DWORD dst_unused:UNUSED_PAD src0_sel:DWORD src1_sel:WORD_1
	v_add_u16_e32 v4, 0xf000, v4
	v_add_u16_e32 v3, 0xf000, v3
	v_perm_b32 v3, v3, v4, s24
	v_and_b32_e32 v4, 0x1f00, v2
	v_lshlrev_b16_e32 v2, 8, v2
	v_add_u16_e32 v2, 0xf000, v2
	v_or_b32_sdwa v2, v4, v2 dst_sel:DWORD dst_unused:UNUSED_PAD src0_sel:DWORD src1_sel:BYTE_1
	v_add_u16_e32 v2, 0xf000, v2
	v_lshl_or_b32 v2, v3, 16, v2
	s_waitcnt vmcnt(3)
	v_ashrrev_i32_e32 v4, v28, v127
	v_lshlrev_b32_e32 v3, 4, v4
	v_lshlrev_b32_e32 v122, 11, v4
	ds_write2_b32 v14, v124, v2 offset1:1
	s_waitcnt vmcnt(2)
	v_and_b32_e32 v2, 0xf0f0f0f, v128
	v_and_b32_e32 v3, 16, v3
	;; [unrolled: 1-line block ×3, first 2 shown]
	v_or3_b32 v3, v3, v2, v122
	v_lshlrev_b32_e32 v122, 18, v4
	v_lshlrev_b32_e32 v123, 25, v4
	v_and_b32_e32 v122, 0x100000, v122
	v_and_b32_e32 v123, 0x10000000, v123
	v_or3_b32 v2, v2, v122, v123
	v_and_b32_e32 v122, 0x1f00, v3
	v_lshlrev_b16_e32 v3, 8, v3
	v_add_u16_e32 v122, 0xf000, v122
	v_add_u16_e32 v3, 0xf000, v3
	v_perm_b32 v3, v3, v122, s24
	v_and_b32_sdwa v122, v2, s21 dst_sel:DWORD dst_unused:UNUSED_PAD src0_sel:WORD_1 src1_sel:DWORD
	v_lshlrev_b16_sdwa v2, v121, v2 dst_sel:DWORD dst_unused:UNUSED_PAD src0_sel:DWORD src1_sel:WORD_1
	v_add_u16_e32 v122, 0xf000, v122
	v_add_u16_e32 v2, 0xf000, v2
	v_perm_b32 v2, v2, v122, s24
	v_lshl_or_b32 v124, v2, 16, v3
	v_lshrrev_b32_e32 v2, 4, v128
	v_and_b32_e32 v125, 0xf0f0f0f, v2
	v_add_co_u32_e32 v2, vcc, s8, v91
	v_addc_co_u32_e32 v3, vcc, v92, v1, vcc
	v_add_co_u32_e32 v122, vcc, s8, v93
	v_addc_co_u32_e32 v123, vcc, v94, v1, vcc
	global_load_dword v127, v[122:123], off
	global_load_dword v128, v[2:3], off
	v_lshrrev_b32_e32 v126, 12, v4
	v_lshrrev_b32_e32 v3, 5, v4
	v_and_b32_e32 v2, 16, v126
	v_and_b32_e32 v3, 0x1000, v3
	v_or3_b32 v2, v2, v125, v3
	v_lshlrev_b32_e32 v3, 2, v4
	v_lshlrev_b32_e32 v4, 9, v4
	v_and_b32_e32 v3, 0x100000, v3
	v_and_b32_e32 v4, 0x10000000, v4
	v_or3_b32 v3, v125, v3, v4
	v_and_b32_sdwa v4, v3, s21 dst_sel:DWORD dst_unused:UNUSED_PAD src0_sel:WORD_1 src1_sel:DWORD
	v_lshlrev_b16_sdwa v3, v121, v3 dst_sel:DWORD dst_unused:UNUSED_PAD src0_sel:DWORD src1_sel:WORD_1
	v_add_u16_e32 v4, 0xf000, v4
	v_add_u16_e32 v3, 0xf000, v3
	v_perm_b32 v3, v3, v4, s24
	v_and_b32_e32 v4, 0x1f00, v2
	v_lshlrev_b16_e32 v2, 8, v2
	v_add_u16_e32 v2, 0xf000, v2
	v_or_b32_sdwa v2, v4, v2 dst_sel:DWORD dst_unused:UNUSED_PAD src0_sel:DWORD src1_sel:BYTE_1
	v_add_u16_e32 v2, 0xf000, v2
	v_lshl_or_b32 v2, v3, 16, v2
	ds_write2_b32 v15, v124, v2 offset1:1
	s_waitcnt vmcnt(3)
	v_ashrrev_i32_e32 v4, v28, v129
	v_lshlrev_b32_e32 v3, 4, v4
	v_lshlrev_b32_e32 v122, 11, v4
	s_waitcnt vmcnt(2)
	v_and_b32_e32 v2, 0xf0f0f0f, v130
	v_and_b32_e32 v3, 16, v3
	;; [unrolled: 1-line block ×3, first 2 shown]
	v_or3_b32 v3, v3, v2, v122
	v_lshlrev_b32_e32 v122, 18, v4
	v_lshlrev_b32_e32 v123, 25, v4
	v_and_b32_e32 v122, 0x100000, v122
	v_and_b32_e32 v123, 0x10000000, v123
	v_or3_b32 v2, v2, v122, v123
	v_and_b32_e32 v122, 0x1f00, v3
	v_lshlrev_b16_e32 v3, 8, v3
	v_add_u16_e32 v122, 0xf000, v122
	v_add_u16_e32 v3, 0xf000, v3
	v_perm_b32 v3, v3, v122, s24
	v_and_b32_sdwa v122, v2, s21 dst_sel:DWORD dst_unused:UNUSED_PAD src0_sel:WORD_1 src1_sel:DWORD
	v_lshlrev_b16_sdwa v2, v121, v2 dst_sel:DWORD dst_unused:UNUSED_PAD src0_sel:DWORD src1_sel:WORD_1
	v_add_u16_e32 v122, 0xf000, v122
	v_add_u16_e32 v2, 0xf000, v2
	v_perm_b32 v2, v2, v122, s24
	v_lshl_or_b32 v124, v2, 16, v3
	v_lshrrev_b32_e32 v2, 4, v130
	v_and_b32_e32 v125, 0xf0f0f0f, v2
	v_add_co_u32_e32 v2, vcc, s8, v95
	v_addc_co_u32_e32 v3, vcc, v96, v1, vcc
	v_add_co_u32_e32 v122, vcc, s8, v97
	v_addc_co_u32_e32 v123, vcc, v98, v1, vcc
	v_lshrrev_b32_e32 v126, 12, v4
	global_load_dword v129, v[122:123], off
	global_load_dword v130, v[2:3], off
	v_lshrrev_b32_e32 v3, 5, v4
	v_and_b32_e32 v2, 16, v126
	v_and_b32_e32 v3, 0x1000, v3
	v_or3_b32 v2, v2, v125, v3
	v_lshlrev_b32_e32 v3, 2, v4
	v_lshlrev_b32_e32 v4, 9, v4
	v_and_b32_e32 v3, 0x100000, v3
	v_and_b32_e32 v4, 0x10000000, v4
	v_or3_b32 v3, v125, v3, v4
	v_and_b32_sdwa v4, v3, s21 dst_sel:DWORD dst_unused:UNUSED_PAD src0_sel:WORD_1 src1_sel:DWORD
	v_lshlrev_b16_sdwa v3, v121, v3 dst_sel:DWORD dst_unused:UNUSED_PAD src0_sel:DWORD src1_sel:WORD_1
	v_add_u16_e32 v4, 0xf000, v4
	v_add_u16_e32 v3, 0xf000, v3
	v_perm_b32 v3, v3, v4, s24
	v_and_b32_e32 v4, 0x1f00, v2
	v_lshlrev_b16_e32 v2, 8, v2
	v_add_u16_e32 v2, 0xf000, v2
	v_or_b32_sdwa v2, v4, v2 dst_sel:DWORD dst_unused:UNUSED_PAD src0_sel:DWORD src1_sel:BYTE_1
	v_add_u16_e32 v2, 0xf000, v2
	v_lshl_or_b32 v2, v3, 16, v2
	s_waitcnt vmcnt(3)
	v_ashrrev_i32_e32 v4, v28, v127
	v_lshlrev_b32_e32 v3, 4, v4
	v_lshlrev_b32_e32 v122, 11, v4
	ds_write2_b32 v16, v124, v2 offset1:1
	s_waitcnt vmcnt(2)
	v_and_b32_e32 v2, 0xf0f0f0f, v128
	v_and_b32_e32 v3, 16, v3
	;; [unrolled: 1-line block ×3, first 2 shown]
	v_or3_b32 v3, v3, v2, v122
	v_lshlrev_b32_e32 v122, 18, v4
	v_lshlrev_b32_e32 v123, 25, v4
	v_and_b32_e32 v122, 0x100000, v122
	v_and_b32_e32 v123, 0x10000000, v123
	v_or3_b32 v2, v2, v122, v123
	v_and_b32_e32 v122, 0x1f00, v3
	v_lshlrev_b16_e32 v3, 8, v3
	v_add_u16_e32 v122, 0xf000, v122
	v_add_u16_e32 v3, 0xf000, v3
	v_perm_b32 v3, v3, v122, s24
	v_and_b32_sdwa v122, v2, s21 dst_sel:DWORD dst_unused:UNUSED_PAD src0_sel:WORD_1 src1_sel:DWORD
	v_lshlrev_b16_sdwa v2, v121, v2 dst_sel:DWORD dst_unused:UNUSED_PAD src0_sel:DWORD src1_sel:WORD_1
	v_add_u16_e32 v122, 0xf000, v122
	v_add_u16_e32 v2, 0xf000, v2
	v_perm_b32 v2, v2, v122, s24
	v_lshl_or_b32 v124, v2, 16, v3
	v_lshrrev_b32_e32 v2, 4, v128
	v_and_b32_e32 v125, 0xf0f0f0f, v2
	v_add_co_u32_e32 v2, vcc, s8, v99
	v_addc_co_u32_e32 v3, vcc, v100, v1, vcc
	v_add_co_u32_e32 v122, vcc, s8, v101
	v_addc_co_u32_e32 v123, vcc, v102, v1, vcc
	global_load_dword v127, v[122:123], off
	global_load_dword v128, v[2:3], off
	v_lshrrev_b32_e32 v126, 12, v4
	v_lshrrev_b32_e32 v3, 5, v4
	v_and_b32_e32 v2, 16, v126
	v_and_b32_e32 v3, 0x1000, v3
	v_or3_b32 v2, v2, v125, v3
	v_lshlrev_b32_e32 v3, 2, v4
	v_lshlrev_b32_e32 v4, 9, v4
	v_and_b32_e32 v3, 0x100000, v3
	v_and_b32_e32 v4, 0x10000000, v4
	v_or3_b32 v3, v125, v3, v4
	v_and_b32_sdwa v4, v3, s21 dst_sel:DWORD dst_unused:UNUSED_PAD src0_sel:WORD_1 src1_sel:DWORD
	v_lshlrev_b16_sdwa v3, v121, v3 dst_sel:DWORD dst_unused:UNUSED_PAD src0_sel:DWORD src1_sel:WORD_1
	v_add_u16_e32 v4, 0xf000, v4
	v_add_u16_e32 v3, 0xf000, v3
	v_perm_b32 v3, v3, v4, s24
	v_and_b32_e32 v4, 0x1f00, v2
	v_lshlrev_b16_e32 v2, 8, v2
	v_add_u16_e32 v2, 0xf000, v2
	v_or_b32_sdwa v2, v4, v2 dst_sel:DWORD dst_unused:UNUSED_PAD src0_sel:DWORD src1_sel:BYTE_1
	v_add_u16_e32 v2, 0xf000, v2
	v_lshl_or_b32 v2, v3, 16, v2
	ds_write2_b32 v17, v124, v2 offset1:1
	s_waitcnt vmcnt(3)
	v_ashrrev_i32_e32 v2, v28, v129
	v_lshlrev_b32_e32 v4, 4, v2
	v_lshlrev_b32_e32 v122, 11, v2
	s_waitcnt vmcnt(2)
	v_and_b32_e32 v3, 0xf0f0f0f, v130
	v_and_b32_e32 v4, 16, v4
	;; [unrolled: 1-line block ×3, first 2 shown]
	v_or3_b32 v4, v4, v3, v122
	v_lshlrev_b32_e32 v122, 18, v2
	v_lshlrev_b32_e32 v123, 25, v2
	v_and_b32_e32 v122, 0x100000, v122
	v_and_b32_e32 v123, 0x10000000, v123
	v_or3_b32 v3, v3, v122, v123
	v_and_b32_e32 v122, 0x1f00, v4
	v_lshlrev_b16_e32 v4, 8, v4
	v_add_u16_e32 v122, 0xf000, v122
	v_add_u16_e32 v4, 0xf000, v4
	v_perm_b32 v4, v4, v122, s24
	v_and_b32_sdwa v122, v3, s21 dst_sel:DWORD dst_unused:UNUSED_PAD src0_sel:WORD_1 src1_sel:DWORD
	v_lshlrev_b16_sdwa v3, v121, v3 dst_sel:DWORD dst_unused:UNUSED_PAD src0_sel:DWORD src1_sel:WORD_1
	v_add_u16_e32 v122, 0xf000, v122
	v_add_u16_e32 v3, 0xf000, v3
	v_perm_b32 v3, v3, v122, s24
	v_lshl_or_b32 v4, v3, 16, v4
	v_lshrrev_b32_e32 v3, 4, v130
	v_lshrrev_b32_e32 v122, 12, v2
	;; [unrolled: 1-line block ×3, first 2 shown]
	v_and_b32_e32 v3, 0xf0f0f0f, v3
	v_and_b32_e32 v122, 16, v122
	;; [unrolled: 1-line block ×3, first 2 shown]
	v_or3_b32 v124, v122, v3, v123
	v_lshlrev_b32_e32 v122, 2, v2
	v_lshlrev_b32_e32 v2, 9, v2
	v_and_b32_e32 v122, 0x100000, v122
	v_and_b32_e32 v2, 0x10000000, v2
	v_or3_b32 v125, v3, v122, v2
	v_add_co_u32_e32 v2, vcc, s8, v103
	v_addc_co_u32_e32 v3, vcc, v104, v1, vcc
	v_add_co_u32_e32 v122, vcc, s8, v105
	v_addc_co_u32_e32 v123, vcc, v106, v1, vcc
	v_and_b32_sdwa v126, v125, s21 dst_sel:DWORD dst_unused:UNUSED_PAD src0_sel:WORD_1 src1_sel:DWORD
	global_load_dword v122, v[122:123], off
	s_nop 0
	global_load_dword v123, v[2:3], off
	v_lshlrev_b16_sdwa v3, v121, v125 dst_sel:DWORD dst_unused:UNUSED_PAD src0_sel:DWORD src1_sel:WORD_1
	v_add_u16_e32 v2, 0xf000, v126
	v_add_u16_e32 v3, 0xf000, v3
	v_perm_b32 v2, v3, v2, s24
	v_and_b32_e32 v3, 0x1f00, v124
	v_lshlrev_b16_e32 v124, 8, v124
	v_add_u16_e32 v124, 0xf000, v124
	v_or_b32_sdwa v3, v3, v124 dst_sel:DWORD dst_unused:UNUSED_PAD src0_sel:DWORD src1_sel:BYTE_1
	v_add_u16_e32 v3, 0xf000, v3
	v_lshl_or_b32 v2, v2, 16, v3
	ds_write2_b32 v18, v4, v2 offset1:1
	s_waitcnt vmcnt(3)
	v_ashrrev_i32_e32 v4, v28, v127
	v_lshlrev_b32_e32 v3, 4, v4
	v_lshlrev_b32_e32 v124, 11, v4
	s_waitcnt vmcnt(2)
	v_and_b32_e32 v2, 0xf0f0f0f, v128
	v_and_b32_e32 v3, 16, v3
	;; [unrolled: 1-line block ×3, first 2 shown]
	v_or3_b32 v3, v3, v2, v124
	v_lshlrev_b32_e32 v124, 18, v4
	v_lshlrev_b32_e32 v125, 25, v4
	v_and_b32_e32 v124, 0x100000, v124
	v_and_b32_e32 v125, 0x10000000, v125
	v_or3_b32 v2, v2, v124, v125
	v_and_b32_e32 v124, 0x1f00, v3
	v_lshlrev_b16_e32 v3, 8, v3
	v_add_u16_e32 v124, 0xf000, v124
	v_add_u16_e32 v3, 0xf000, v3
	v_perm_b32 v124, v3, v124, s24
	v_and_b32_sdwa v3, v2, s21 dst_sel:DWORD dst_unused:UNUSED_PAD src0_sel:WORD_1 src1_sel:DWORD
	v_lshlrev_b16_sdwa v126, v121, v2 dst_sel:DWORD dst_unused:UNUSED_PAD src0_sel:DWORD src1_sel:WORD_1
	v_add_co_u32_e32 v2, vcc, s8, v108
	v_add_u16_e32 v125, 0xf000, v3
	v_addc_co_u32_e32 v3, vcc, v109, v1, vcc
	global_load_ushort v127, v[2:3], off
	v_add_co_u32_e32 v2, vcc, s8, v110
	v_addc_co_u32_e32 v3, vcc, v111, v1, vcc
	global_load_ushort v129, v[2:3], off
	v_add_co_u32_e32 v2, vcc, s8, v113
	;; [unrolled: 3-line block ×3, first 2 shown]
	v_addc_co_u32_e32 v3, vcc, v116, v1, vcc
	global_load_ushort v1, v[2:3], off
	v_add_u16_e32 v2, 0xf000, v126
	v_perm_b32 v2, v2, v125, s24
	v_lshl_or_b32 v2, v2, 16, v124
	v_lshrrev_b32_e32 v3, 4, v128
	v_lshrrev_b32_e32 v124, 12, v4
	v_lshrrev_b32_e32 v125, 5, v4
	v_and_b32_e32 v3, 0xf0f0f0f, v3
	v_and_b32_e32 v124, 16, v124
	;; [unrolled: 1-line block ×3, first 2 shown]
	v_or3_b32 v124, v124, v3, v125
	v_lshlrev_b32_e32 v125, 2, v4
	v_lshlrev_b32_e32 v4, 9, v4
	v_and_b32_e32 v125, 0x100000, v125
	v_and_b32_e32 v4, 0x10000000, v4
	v_or3_b32 v3, v3, v125, v4
	v_and_b32_sdwa v4, v3, s21 dst_sel:DWORD dst_unused:UNUSED_PAD src0_sel:WORD_1 src1_sel:DWORD
	v_lshlrev_b16_sdwa v3, v121, v3 dst_sel:DWORD dst_unused:UNUSED_PAD src0_sel:DWORD src1_sel:WORD_1
	v_add_u16_e32 v4, 0xf000, v4
	v_add_u16_e32 v3, 0xf000, v3
	v_perm_b32 v3, v3, v4, s24
	v_and_b32_e32 v4, 0x1f00, v124
	v_lshlrev_b16_e32 v124, 8, v124
	v_add_u16_e32 v124, 0xf000, v124
	v_or_b32_sdwa v4, v4, v124 dst_sel:DWORD dst_unused:UNUSED_PAD src0_sel:DWORD src1_sel:BYTE_1
	v_add_u16_e32 v4, 0xf000, v4
	v_lshl_or_b32 v3, v3, 16, v4
	ds_write2_b32 v19, v2, v3 offset1:1
	s_waitcnt vmcnt(5)
	v_ashrrev_i32_e32 v2, v28, v122
	v_lshlrev_b32_e32 v4, 4, v2
	v_lshlrev_b32_e32 v122, 11, v2
	s_waitcnt vmcnt(4)
	v_and_b32_e32 v3, 0xf0f0f0f, v123
	v_and_b32_e32 v4, 16, v4
	;; [unrolled: 1-line block ×3, first 2 shown]
	v_or3_b32 v4, v4, v3, v122
	v_lshlrev_b32_e32 v122, 18, v2
	v_lshlrev_b32_e32 v124, 25, v2
	v_and_b32_e32 v122, 0x100000, v122
	v_and_b32_e32 v124, 0x10000000, v124
	v_or3_b32 v3, v3, v122, v124
	v_and_b32_e32 v122, 0x1f00, v4
	v_lshlrev_b16_e32 v4, 8, v4
	v_add_u16_e32 v122, 0xf000, v122
	v_add_u16_e32 v4, 0xf000, v4
	v_perm_b32 v4, v4, v122, s24
	v_and_b32_sdwa v122, v3, s21 dst_sel:DWORD dst_unused:UNUSED_PAD src0_sel:WORD_1 src1_sel:DWORD
	v_lshlrev_b16_sdwa v3, v121, v3 dst_sel:DWORD dst_unused:UNUSED_PAD src0_sel:DWORD src1_sel:WORD_1
	v_add_u16_e32 v122, 0xf000, v122
	v_add_u16_e32 v3, 0xf000, v3
	v_perm_b32 v3, v3, v122, s24
	v_lshl_or_b32 v3, v3, 16, v4
	v_lshrrev_b32_e32 v4, 4, v123
	v_lshrrev_b32_e32 v122, 12, v2
	;; [unrolled: 1-line block ×3, first 2 shown]
	v_and_b32_e32 v4, 0xf0f0f0f, v4
	v_and_b32_e32 v122, 16, v122
	;; [unrolled: 1-line block ×3, first 2 shown]
	v_or3_b32 v122, v122, v4, v123
	v_lshlrev_b32_e32 v123, 2, v2
	v_lshlrev_b32_e32 v2, 9, v2
	v_and_b32_e32 v123, 0x100000, v123
	v_and_b32_e32 v2, 0x10000000, v2
	v_or3_b32 v2, v4, v123, v2
	v_and_b32_sdwa v4, v2, s21 dst_sel:DWORD dst_unused:UNUSED_PAD src0_sel:WORD_1 src1_sel:DWORD
	v_lshlrev_b16_sdwa v2, v121, v2 dst_sel:DWORD dst_unused:UNUSED_PAD src0_sel:DWORD src1_sel:WORD_1
	v_add_u16_e32 v4, 0xf000, v4
	v_add_u16_e32 v2, 0xf000, v2
	v_perm_b32 v2, v2, v4, s24
	v_and_b32_e32 v4, 0x1f00, v122
	v_lshlrev_b16_e32 v122, 8, v122
	v_add_u16_e32 v122, 0xf000, v122
	v_or_b32_sdwa v4, v4, v122 dst_sel:DWORD dst_unused:UNUSED_PAD src0_sel:DWORD src1_sel:BYTE_1
	v_add_u16_e32 v4, 0xf000, v4
	v_lshl_or_b32 v2, v2, 16, v4
	s_waitcnt vmcnt(3)
	v_cvt_f32_f16_e32 v4, v127
	ds_write2_b32 v20, v3, v2 offset1:1
	s_waitcnt vmcnt(1)
	v_cvt_f32_f16_e32 v2, v130
	v_cvt_f32_f16_e32 v122, v129
	ds_write_b32 v117, v4
	ds_write_b32 v118, v122
	s_waitcnt vmcnt(0)
	v_cvt_f32_f16_e32 v1, v1
	ds_write_b32 v119, v2
	ds_write_b32 v120, v1
	s_cbranch_scc0 .LBB202_5
; %bb.7:                                ;   in Loop: Header=BB202_6 Depth=1
	v_add_u32_e32 v1, s10, v29
	v_cmp_gt_i32_e32 vcc, s12, v1
	s_and_b64 s[26:27], s[2:3], vcc
	s_and_saveexec_b64 s[4:5], s[26:27]
	s_cbranch_execz .LBB202_9
; %bb.8:                                ;   in Loop: Header=BB202_6 Depth=1
	v_add_u32_e32 v1, s10, v41
	v_mad_i64_i32 v[1:2], s[26:27], v1, 36, v[21:22]
	global_load_dword v1, v[1:2], off offset:4
	s_waitcnt vmcnt(0)
	ds_write_b32 v31, v1
.LBB202_9:                              ;   in Loop: Header=BB202_6 Depth=1
	s_or_b64 exec, exec, s[4:5]
	v_add_u32_e32 v122, s10, v0
	v_cmp_gt_i32_e32 vcc, s12, v122
	s_and_b64 s[26:27], s[18:19], vcc
	s_and_saveexec_b64 s[4:5], s[26:27]
	s_cbranch_execz .LBB202_11
; %bb.10:                               ;   in Loop: Header=BB202_6 Depth=1
	v_add_u32_e32 v1, s10, v42
	v_mad_i64_i32 v[1:2], s[26:27], v1, 36, s[6:7]
	global_load_dword v1, v[1:2], off
	s_waitcnt vmcnt(0)
	v_cvt_f32_f16_e32 v1, v1
	ds_write_b32 v33, v1
.LBB202_11:                             ;   in Loop: Header=BB202_6 Depth=1
	s_or_b64 exec, exec, s[4:5]
	s_waitcnt lgkmcnt(0)
	s_barrier
	ds_read_b128 v[1:4], v32
	ds_read2_b32 v[139:140], v34 offset1:1
	ds_read_b128 v[123:126], v30
	ds_read_b128 v[127:130], v30 offset:16
	ds_read_b128 v[131:134], v30 offset:32
	;; [unrolled: 1-line block ×3, first 2 shown]
	ds_read2_b32 v[141:142], v35 offset1:1
	ds_read2_b32 v[143:144], v34 offset0:2 offset1:3
	s_waitcnt lgkmcnt(5)
	v_dot4_i32_i8 v139, v139, v123, 0
	s_waitcnt lgkmcnt(4)
	v_dot4_i32_i8 v149, v140, v127, v139
	ds_read2_b32 v[139:140], v34 offset0:4 offset1:5
	ds_read2_b32 v[145:146], v34 offset0:6 offset1:7
	;; [unrolled: 1-line block ×3, first 2 shown]
	s_waitcnt lgkmcnt(4)
	v_mul_f32_e32 v141, v1, v141
	s_waitcnt lgkmcnt(3)
	v_dot4_i32_i8 v143, v143, v124, v149
	v_dot4_i32_i8 v143, v144, v128, v143
	s_waitcnt lgkmcnt(2)
	v_dot4_i32_i8 v139, v139, v125, v143
	v_dot4_i32_i8 v139, v140, v129, v139
	;; [unrolled: 3-line block ×3, first 2 shown]
	v_add_u32_e32 v149, 0x2080, v34
	v_cvt_f32_i32_e32 v151, v139
	ds_read2_b32 v[139:140], v34 offset0:26 offset1:27
	ds_read2_b32 v[143:144], v34 offset0:28 offset1:29
	;; [unrolled: 1-line block ×3, first 2 shown]
	ds_read2_b32 v[149:150], v149 offset1:1
	v_add_u32_e32 v157, 0x2090, v34
	v_fmac_f32_e32 v27, v141, v151
	ds_read2_b32 v[151:152], v36 offset1:1
	ds_read2_b32 v[153:154], v38 offset1:1
	ds_read2_b32 v[155:156], v38 offset0:2 offset1:3
	v_add_u32_e32 v159, 0x2098, v34
	s_waitcnt lgkmcnt(3)
	v_dot4_i32_i8 v141, v149, v123, 0
	v_add_u32_e32 v149, 0x2088, v34
	v_dot4_i32_i8 v141, v150, v127, v141
	ds_read2_b32 v[149:150], v149 offset1:1
	v_add_u32_e32 v161, 0x4100, v34
	ds_read2_b32 v[157:158], v157 offset1:1
	ds_read2_b32 v[159:160], v159 offset1:1
	;; [unrolled: 1-line block ×3, first 2 shown]
	s_waitcnt lgkmcnt(6)
	v_mul_f32_e32 v151, v1, v151
	v_add_u32_e32 v165, 0x4118, v34
	s_waitcnt lgkmcnt(3)
	v_dot4_i32_i8 v141, v149, v124, v141
	v_dot4_i32_i8 v141, v150, v128, v141
	s_waitcnt lgkmcnt(2)
	v_dot4_i32_i8 v141, v157, v125, v141
	v_dot4_i32_i8 v141, v158, v129, v141
	;; [unrolled: 3-line block ×3, first 2 shown]
	v_cvt_f32_i32_e32 v141, v141
	ds_read2_b32 v[149:150], v37 offset1:1
	ds_read2_b32 v[157:158], v36 offset0:2 offset1:3
	ds_read2_b32 v[159:160], v35 offset0:2 offset1:3
	v_add_u32_e32 v167, 0x6180, v34
	s_cmp_ge_i32 s20, s9
	v_fmac_f32_e32 v112, v151, v141
	s_waitcnt lgkmcnt(3)
	v_dot4_i32_i8 v141, v161, v123, 0
	v_add_u32_e32 v151, 0x4108, v34
	v_dot4_i32_i8 v141, v162, v127, v141
	ds_read2_b32 v[161:162], v151 offset1:1
	v_add_u32_e32 v151, 0x4110, v34
	ds_read2_b32 v[163:164], v151 offset1:1
	ds_read2_b32 v[165:166], v165 offset1:1
	;; [unrolled: 1-line block ×3, first 2 shown]
	v_add_u32_e32 v151, 0x6198, v34
	s_waitcnt lgkmcnt(6)
	v_mul_f32_e32 v149, v1, v149
	s_waitcnt lgkmcnt(3)
	v_dot4_i32_i8 v141, v161, v124, v141
	v_dot4_i32_i8 v141, v162, v128, v141
	s_waitcnt lgkmcnt(0)
	v_dot4_i32_i8 v123, v167, v123, 0
	v_dot4_i32_i8 v123, v168, v127, v123
	v_add_u32_e32 v127, 0x6188, v34
	ds_read2_b32 v[161:162], v127 offset1:1
	v_dot4_i32_i8 v141, v163, v125, v141
	v_dot4_i32_i8 v141, v164, v129, v141
	;; [unrolled: 1-line block ×3, first 2 shown]
	v_add_u32_e32 v127, 0x6190, v34
	v_add_u32_e32 v167, 0x20a0, v34
	v_dot4_i32_i8 v141, v166, v130, v141
	ds_read2_b32 v[163:164], v127 offset1:1
	ds_read2_b32 v[165:166], v151 offset1:1
	;; [unrolled: 1-line block ×3, first 2 shown]
	s_waitcnt lgkmcnt(3)
	v_dot4_i32_i8 v123, v161, v124, v123
	v_dot4_i32_i8 v123, v162, v128, v123
	s_waitcnt lgkmcnt(2)
	v_dot4_i32_i8 v123, v163, v125, v123
	v_dot4_i32_i8 v123, v164, v129, v123
	;; [unrolled: 3-line block ×3, first 2 shown]
	v_cvt_f32_i32_e32 v123, v123
	v_mul_f32_e32 v1, v1, v153
	ds_read2_b32 v[161:162], v37 offset0:2 offset1:3
	v_cvt_f32_i32_e32 v141, v141
	v_fmac_f32_e32 v25, v1, v123
	ds_read2_b32 v[123:124], v34 offset0:10 offset1:11
	v_dot4_i32_i8 v1, v147, v131, 0
	v_dot4_i32_i8 v1, v148, v135, v1
	ds_read2_b32 v[125:126], v34 offset0:12 offset1:13
	ds_read2_b32 v[127:128], v34 offset0:14 offset1:15
	;; [unrolled: 1-line block ×3, first 2 shown]
	v_fmac_f32_e32 v107, v149, v141
	s_waitcnt lgkmcnt(3)
	v_dot4_i32_i8 v1, v123, v132, v1
	v_dot4_i32_i8 v123, v167, v131, 0
	;; [unrolled: 1-line block ×3, first 2 shown]
	v_add_u32_e32 v123, 0x20a8, v34
	v_dot4_i32_i8 v1, v124, v136, v1
	ds_read2_b32 v[123:124], v123 offset1:1
	s_waitcnt lgkmcnt(3)
	v_dot4_i32_i8 v1, v125, v133, v1
	v_dot4_i32_i8 v1, v126, v137, v1
	s_waitcnt lgkmcnt(2)
	v_dot4_i32_i8 v1, v127, v134, v1
	v_add_u32_e32 v125, 0x20b0, v34
	v_add_u32_e32 v127, 0x20b8, v34
	v_add_u32_e32 v129, 0x4120, v34
	v_dot4_i32_i8 v1, v128, v138, v1
	ds_read2_b32 v[125:126], v125 offset1:1
	ds_read2_b32 v[127:128], v127 offset1:1
	;; [unrolled: 1-line block ×3, first 2 shown]
	s_waitcnt lgkmcnt(3)
	v_dot4_i32_i8 v123, v123, v132, v141
	v_dot4_i32_i8 v123, v124, v136, v123
	s_waitcnt lgkmcnt(2)
	v_dot4_i32_i8 v123, v125, v133, v123
	v_dot4_i32_i8 v123, v126, v137, v123
	s_waitcnt lgkmcnt(1)
	v_dot4_i32_i8 v123, v127, v134, v123
	v_cvt_f32_i32_e32 v1, v1
	v_dot4_i32_i8 v123, v128, v138, v123
	v_cvt_f32_i32_e32 v123, v123
	v_mul_f32_e32 v124, v2, v142
	v_fmac_f32_e32 v27, v124, v1
	v_mul_f32_e32 v1, v2, v152
	v_fmac_f32_e32 v112, v1, v123
	s_waitcnt lgkmcnt(0)
	v_dot4_i32_i8 v1, v129, v131, 0
	v_add_u32_e32 v123, 0x4128, v34
	v_add_u32_e32 v125, 0x4130, v34
	;; [unrolled: 1-line block ×4, first 2 shown]
	v_dot4_i32_i8 v1, v130, v135, v1
	ds_read2_b32 v[123:124], v123 offset1:1
	ds_read2_b32 v[125:126], v125 offset1:1
	;; [unrolled: 1-line block ×4, first 2 shown]
	v_mul_f32_e32 v149, v2, v150
	s_waitcnt lgkmcnt(3)
	v_dot4_i32_i8 v1, v123, v132, v1
	s_waitcnt lgkmcnt(0)
	v_dot4_i32_i8 v123, v129, v131, 0
	v_dot4_i32_i8 v129, v130, v135, v123
	v_add_u32_e32 v123, 0x61a8, v34
	v_dot4_i32_i8 v1, v124, v136, v1
	ds_read2_b32 v[123:124], v123 offset1:1
	v_dot4_i32_i8 v1, v125, v133, v1
	v_dot4_i32_i8 v1, v126, v137, v1
	;; [unrolled: 1-line block ×3, first 2 shown]
	v_add_u32_e32 v125, 0x61b0, v34
	v_add_u32_e32 v127, 0x61b8, v34
	v_dot4_i32_i8 v1, v128, v138, v1
	v_add_u32_e32 v130, 0x20c0, v34
	ds_read2_b32 v[125:126], v125 offset1:1
	ds_read2_b32 v[127:128], v127 offset1:1
	ds_read2_b32 v[141:142], v130 offset1:1
	s_waitcnt lgkmcnt(3)
	v_dot4_i32_i8 v123, v123, v132, v129
	v_dot4_i32_i8 v123, v124, v136, v123
	s_waitcnt lgkmcnt(2)
	v_dot4_i32_i8 v123, v125, v133, v123
	v_dot4_i32_i8 v123, v126, v137, v123
	s_waitcnt lgkmcnt(1)
	v_dot4_i32_i8 v123, v127, v134, v123
	v_cvt_f32_i32_e32 v1, v1
	v_dot4_i32_i8 v123, v128, v138, v123
	v_cvt_f32_i32_e32 v131, v123
	ds_read_b128 v[123:126], v30 offset:64
	ds_read_b128 v[127:130], v30 offset:80
	v_fmac_f32_e32 v107, v149, v1
	v_mul_f32_e32 v1, v2, v154
	v_fmac_f32_e32 v25, v1, v131
	ds_read2_b32 v[1:2], v34 offset0:18 offset1:19
	s_waitcnt lgkmcnt(2)
	v_dot4_i32_i8 v131, v147, v123, 0
	s_waitcnt lgkmcnt(1)
	v_dot4_i32_i8 v137, v148, v127, v131
	ds_read2_b32 v[131:132], v34 offset0:20 offset1:21
	ds_read2_b32 v[133:134], v34 offset0:22 offset1:23
	;; [unrolled: 1-line block ×3, first 2 shown]
	s_waitcnt lgkmcnt(3)
	v_dot4_i32_i8 v1, v1, v124, v137
	v_dot4_i32_i8 v1, v2, v128, v1
	s_waitcnt lgkmcnt(2)
	v_dot4_i32_i8 v1, v131, v125, v1
	v_dot4_i32_i8 v1, v132, v129, v1
	;; [unrolled: 3-line block ×3, first 2 shown]
	v_cvt_f32_i32_e32 v147, v1
	v_dot4_i32_i8 v1, v141, v123, 0
	v_dot4_i32_i8 v141, v142, v127, v1
	v_add_u32_e32 v1, 0x20c8, v34
	ds_read2_b32 v[1:2], v1 offset1:1
	v_add_u32_e32 v131, 0x20d0, v34
	v_add_u32_e32 v133, 0x20d8, v34
	;; [unrolled: 1-line block ×3, first 2 shown]
	ds_read2_b32 v[131:132], v131 offset1:1
	ds_read2_b32 v[133:134], v133 offset1:1
	;; [unrolled: 1-line block ×3, first 2 shown]
	s_waitcnt lgkmcnt(3)
	v_dot4_i32_i8 v1, v1, v124, v141
	v_dot4_i32_i8 v1, v2, v128, v1
	s_waitcnt lgkmcnt(2)
	v_dot4_i32_i8 v1, v131, v125, v1
	v_dot4_i32_i8 v1, v132, v129, v1
	;; [unrolled: 3-line block ×3, first 2 shown]
	v_cvt_f32_i32_e32 v1, v1
	v_mul_f32_e32 v2, v3, v159
	v_fmac_f32_e32 v27, v2, v147
	v_mul_f32_e32 v2, v3, v157
	v_fmac_f32_e32 v112, v2, v1
	s_waitcnt lgkmcnt(0)
	v_dot4_i32_i8 v1, v137, v123, 0
	v_dot4_i32_i8 v141, v138, v127, v1
	v_add_u32_e32 v1, 0x4148, v34
	ds_read2_b32 v[1:2], v1 offset1:1
	v_add_u32_e32 v131, 0x4150, v34
	v_add_u32_e32 v133, 0x4158, v34
	v_add_u32_e32 v137, 0x61c0, v34
	ds_read2_b32 v[131:132], v131 offset1:1
	ds_read2_b32 v[133:134], v133 offset1:1
	;; [unrolled: 1-line block ×3, first 2 shown]
	s_waitcnt lgkmcnt(3)
	v_dot4_i32_i8 v1, v1, v124, v141
	v_dot4_i32_i8 v1, v2, v128, v1
	s_waitcnt lgkmcnt(2)
	v_dot4_i32_i8 v1, v131, v125, v1
	v_dot4_i32_i8 v1, v132, v129, v1
	;; [unrolled: 3-line block ×3, first 2 shown]
	v_cvt_f32_i32_e32 v142, v1
	s_waitcnt lgkmcnt(0)
	v_dot4_i32_i8 v1, v137, v123, 0
	v_dot4_i32_i8 v123, v138, v127, v1
	v_add_u32_e32 v1, 0x61c8, v34
	ds_read2_b32 v[1:2], v1 offset1:1
	v_add_u32_e32 v127, 0x61d0, v34
	v_add_u32_e32 v133, 0x61d8, v34
	;; [unrolled: 1-line block ×3, first 2 shown]
	ds_read2_b32 v[131:132], v127 offset1:1
	ds_read2_b32 v[133:134], v133 offset1:1
	;; [unrolled: 1-line block ×3, first 2 shown]
	s_waitcnt lgkmcnt(3)
	v_dot4_i32_i8 v1, v1, v124, v123
	v_dot4_i32_i8 v1, v2, v128, v1
	s_waitcnt lgkmcnt(2)
	v_dot4_i32_i8 v1, v131, v125, v1
	v_dot4_i32_i8 v1, v132, v129, v1
	;; [unrolled: 3-line block ×3, first 2 shown]
	v_cvt_f32_i32_e32 v1, v1
	ds_read_b128 v[123:126], v30 offset:96
	ds_read_b128 v[127:130], v30 offset:112
	v_mul_f32_e32 v2, v3, v155
	v_mul_f32_e32 v141, v3, v161
	v_fmac_f32_e32 v25, v2, v1
	s_waitcnt lgkmcnt(1)
	v_dot4_i32_i8 v1, v135, v123, 0
	s_waitcnt lgkmcnt(0)
	v_dot4_i32_i8 v1, v136, v127, v1
	v_dot4_i32_i8 v1, v139, v124, v1
	v_dot4_i32_i8 v1, v140, v128, v1
	v_dot4_i32_i8 v1, v143, v125, v1
	v_dot4_i32_i8 v1, v144, v129, v1
	v_dot4_i32_i8 v1, v145, v126, v1
	v_dot4_i32_i8 v1, v146, v130, v1
	v_cvt_f32_i32_e32 v3, v1
	v_dot4_i32_i8 v1, v137, v123, 0
	v_dot4_i32_i8 v137, v138, v127, v1
	v_add_u32_e32 v1, 0x20e8, v34
	ds_read2_b32 v[1:2], v1 offset1:1
	v_add_u32_e32 v131, 0x20f0, v34
	v_add_u32_e32 v133, 0x20f8, v34
	;; [unrolled: 1-line block ×3, first 2 shown]
	ds_read2_b32 v[131:132], v131 offset1:1
	ds_read2_b32 v[133:134], v133 offset1:1
	;; [unrolled: 1-line block ×3, first 2 shown]
	s_waitcnt lgkmcnt(3)
	v_dot4_i32_i8 v1, v1, v124, v137
	v_dot4_i32_i8 v1, v2, v128, v1
	s_waitcnt lgkmcnt(2)
	v_dot4_i32_i8 v1, v131, v125, v1
	v_dot4_i32_i8 v1, v132, v129, v1
	;; [unrolled: 3-line block ×3, first 2 shown]
	v_cvt_f32_i32_e32 v1, v1
	v_mul_f32_e32 v2, v4, v160
	v_fmac_f32_e32 v27, v2, v3
	v_mul_f32_e32 v2, v4, v158
	v_fmac_f32_e32 v112, v2, v1
	s_waitcnt lgkmcnt(0)
	v_dot4_i32_i8 v1, v135, v123, 0
	v_dot4_i32_i8 v3, v136, v127, v1
	v_add_u32_e32 v1, 0x4168, v34
	ds_read2_b32 v[1:2], v1 offset1:1
	v_add_u32_e32 v131, 0x4170, v34
	v_add_u32_e32 v133, 0x4178, v34
	;; [unrolled: 1-line block ×3, first 2 shown]
	ds_read2_b32 v[131:132], v131 offset1:1
	ds_read2_b32 v[133:134], v133 offset1:1
	;; [unrolled: 1-line block ×3, first 2 shown]
	s_waitcnt lgkmcnt(3)
	v_dot4_i32_i8 v1, v1, v124, v3
	v_dot4_i32_i8 v1, v2, v128, v1
	s_waitcnt lgkmcnt(2)
	v_dot4_i32_i8 v1, v131, v125, v1
	v_dot4_i32_i8 v1, v132, v129, v1
	;; [unrolled: 3-line block ×3, first 2 shown]
	v_cvt_f32_i32_e32 v3, v1
	s_waitcnt lgkmcnt(0)
	v_dot4_i32_i8 v1, v135, v123, 0
	v_dot4_i32_i8 v123, v136, v127, v1
	v_add_u32_e32 v1, 0x61e8, v34
	ds_read2_b32 v[1:2], v1 offset1:1
	v_add_u32_e32 v127, 0x61f0, v34
	ds_read2_b32 v[131:132], v127 offset1:1
	;; [unrolled: 2-line block ×3, first 2 shown]
	s_waitcnt lgkmcnt(2)
	v_dot4_i32_i8 v1, v1, v124, v123
	v_dot4_i32_i8 v1, v2, v128, v1
	s_waitcnt lgkmcnt(1)
	v_dot4_i32_i8 v1, v131, v125, v1
	v_dot4_i32_i8 v1, v132, v129, v1
	;; [unrolled: 3-line block ×3, first 2 shown]
	v_cvt_f32_i32_e32 v1, v1
	v_fmac_f32_e32 v107, v141, v142
	v_mul_f32_e32 v2, v4, v162
	v_fmac_f32_e32 v107, v2, v3
	v_mul_f32_e32 v2, v4, v156
	v_fmac_f32_e32 v25, v2, v1
	s_barrier
	s_cbranch_scc1 .LBB202_5
; %bb.12:                               ;   in Loop: Header=BB202_6 Depth=1
	v_add_u32_e32 v1, s10, v39
	v_cmp_gt_i32_e32 vcc, s12, v1
	s_and_b64 s[26:27], s[2:3], vcc
	s_and_saveexec_b64 s[4:5], s[26:27]
	s_cbranch_execz .LBB202_14
; %bb.13:                               ;   in Loop: Header=BB202_6 Depth=1
	v_add_u32_e32 v1, s10, v40
	v_mad_i64_i32 v[1:2], s[26:27], v1, 36, v[21:22]
	global_load_dword v1, v[1:2], off offset:4
	s_waitcnt vmcnt(0)
	ds_write_b32 v31, v1
.LBB202_14:                             ;   in Loop: Header=BB202_6 Depth=1
	s_or_b64 exec, exec, s[4:5]
	s_and_saveexec_b64 s[4:5], s[0:1]
	s_cbranch_execz .LBB202_4
; %bb.15:                               ;   in Loop: Header=BB202_6 Depth=1
	v_add_u32_e32 v1, 4, v122
	v_cmp_gt_i32_e32 vcc, s12, v1
	s_and_b64 s[26:27], s[2:3], vcc
	s_and_b64 exec, exec, s[26:27]
	s_cbranch_execz .LBB202_4
; %bb.16:                               ;   in Loop: Header=BB202_6 Depth=1
	global_load_dword v1, v[23:24], off
	s_waitcnt vmcnt(0)
	v_cvt_f32_f16_e32 v1, v1
	ds_write_b32 v33, v1
	s_branch .LBB202_4
.LBB202_17:
	s_mul_i32 s0, s14, s11
	s_waitcnt vmcnt(0)
	v_cmp_gt_i32_e32 vcc, s0, v26
	s_and_saveexec_b64 s[0:1], vcc
	s_cbranch_execz .LBB202_26
; %bb.18:
	v_mul_lo_u32 v1, v26, s13
	v_add_u32_e32 v0, s15, v0
	v_cmp_gt_u32_e32 vcc, s13, v0
	s_and_saveexec_b64 s[0:1], vcc
	s_cbranch_execz .LBB202_20
; %bb.19:
	v_add_u32_e32 v2, v1, v0
	v_mov_b32_e32 v3, 0
	v_lshlrev_b64 v[2:3], 1, v[2:3]
	v_cvt_f16_f32_e32 v5, v27
	v_mov_b32_e32 v4, s17
	v_add_co_u32_e32 v2, vcc, s16, v2
	v_addc_co_u32_e32 v3, vcc, v4, v3, vcc
	global_store_short v[2:3], v5, off
.LBB202_20:
	s_or_b64 exec, exec, s[0:1]
	v_add_u32_e32 v2, 32, v0
	v_cmp_gt_u32_e32 vcc, s13, v2
	s_and_saveexec_b64 s[0:1], vcc
	s_cbranch_execz .LBB202_22
; %bb.21:
	v_add_u32_e32 v2, v1, v2
	v_mov_b32_e32 v3, 0
	v_lshlrev_b64 v[2:3], 1, v[2:3]
	v_cvt_f16_f32_e32 v5, v112
	v_mov_b32_e32 v4, s17
	v_add_co_u32_e32 v2, vcc, s16, v2
	v_addc_co_u32_e32 v3, vcc, v4, v3, vcc
	global_store_short v[2:3], v5, off
.LBB202_22:
	s_or_b64 exec, exec, s[0:1]
	;; [unrolled: 15-line block ×3, first 2 shown]
	v_add_u32_e32 v0, 0x60, v0
	v_cmp_gt_u32_e32 vcc, s13, v0
	s_and_b64 exec, exec, vcc
	s_cbranch_execz .LBB202_26
; %bb.25:
	v_add_u32_e32 v0, v1, v0
	v_mov_b32_e32 v1, 0
	v_lshlrev_b64 v[0:1], 1, v[0:1]
	v_cvt_f16_f32_e32 v3, v25
	v_mov_b32_e32 v2, s17
	v_add_co_u32_e32 v0, vcc, s16, v0
	v_addc_co_u32_e32 v1, vcc, v2, v1, vcc
	global_store_short v[0:1], v3, off
.LBB202_26:
	s_endpgm
	.section	.rodata,"a",@progbits
	.p2align	6, 0x0
	.amdhsa_kernel _ZL8moe_q5_0IN3c104HalfELb1EEvPKvS3_PT_PKiS7_S7_iiiiiii
		.amdhsa_group_segment_fixed_size 38656
		.amdhsa_private_segment_fixed_size 0
		.amdhsa_kernarg_size 76
		.amdhsa_user_sgpr_count 6
		.amdhsa_user_sgpr_private_segment_buffer 1
		.amdhsa_user_sgpr_dispatch_ptr 0
		.amdhsa_user_sgpr_queue_ptr 0
		.amdhsa_user_sgpr_kernarg_segment_ptr 1
		.amdhsa_user_sgpr_dispatch_id 0
		.amdhsa_user_sgpr_flat_scratch_init 0
		.amdhsa_user_sgpr_private_segment_size 0
		.amdhsa_uses_dynamic_stack 0
		.amdhsa_system_sgpr_private_segment_wavefront_offset 0
		.amdhsa_system_sgpr_workgroup_id_x 1
		.amdhsa_system_sgpr_workgroup_id_y 1
		.amdhsa_system_sgpr_workgroup_id_z 0
		.amdhsa_system_sgpr_workgroup_info 0
		.amdhsa_system_vgpr_workitem_id 1
		.amdhsa_next_free_vgpr 169
		.amdhsa_next_free_sgpr 98
		.amdhsa_reserve_vcc 1
		.amdhsa_reserve_flat_scratch 0
		.amdhsa_float_round_mode_32 0
		.amdhsa_float_round_mode_16_64 0
		.amdhsa_float_denorm_mode_32 3
		.amdhsa_float_denorm_mode_16_64 3
		.amdhsa_dx10_clamp 1
		.amdhsa_ieee_mode 1
		.amdhsa_fp16_overflow 0
		.amdhsa_exception_fp_ieee_invalid_op 0
		.amdhsa_exception_fp_denorm_src 0
		.amdhsa_exception_fp_ieee_div_zero 0
		.amdhsa_exception_fp_ieee_overflow 0
		.amdhsa_exception_fp_ieee_underflow 0
		.amdhsa_exception_fp_ieee_inexact 0
		.amdhsa_exception_int_div_zero 0
	.end_amdhsa_kernel
	.section	.text._ZL8moe_q5_0IN3c104HalfELb1EEvPKvS3_PT_PKiS7_S7_iiiiiii,"axG",@progbits,_ZL8moe_q5_0IN3c104HalfELb1EEvPKvS3_PT_PKiS7_S7_iiiiiii,comdat
.Lfunc_end202:
	.size	_ZL8moe_q5_0IN3c104HalfELb1EEvPKvS3_PT_PKiS7_S7_iiiiiii, .Lfunc_end202-_ZL8moe_q5_0IN3c104HalfELb1EEvPKvS3_PT_PKiS7_S7_iiiiiii
                                        ; -- End function
	.set _ZL8moe_q5_0IN3c104HalfELb1EEvPKvS3_PT_PKiS7_S7_iiiiiii.num_vgpr, 169
	.set _ZL8moe_q5_0IN3c104HalfELb1EEvPKvS3_PT_PKiS7_S7_iiiiiii.num_agpr, 0
	.set _ZL8moe_q5_0IN3c104HalfELb1EEvPKvS3_PT_PKiS7_S7_iiiiiii.numbered_sgpr, 28
	.set _ZL8moe_q5_0IN3c104HalfELb1EEvPKvS3_PT_PKiS7_S7_iiiiiii.num_named_barrier, 0
	.set _ZL8moe_q5_0IN3c104HalfELb1EEvPKvS3_PT_PKiS7_S7_iiiiiii.private_seg_size, 0
	.set _ZL8moe_q5_0IN3c104HalfELb1EEvPKvS3_PT_PKiS7_S7_iiiiiii.uses_vcc, 1
	.set _ZL8moe_q5_0IN3c104HalfELb1EEvPKvS3_PT_PKiS7_S7_iiiiiii.uses_flat_scratch, 0
	.set _ZL8moe_q5_0IN3c104HalfELb1EEvPKvS3_PT_PKiS7_S7_iiiiiii.has_dyn_sized_stack, 0
	.set _ZL8moe_q5_0IN3c104HalfELb1EEvPKvS3_PT_PKiS7_S7_iiiiiii.has_recursion, 0
	.set _ZL8moe_q5_0IN3c104HalfELb1EEvPKvS3_PT_PKiS7_S7_iiiiiii.has_indirect_call, 0
	.section	.AMDGPU.csdata,"",@progbits
; Kernel info:
; codeLenInByte = 14244
; TotalNumSgprs: 32
; NumVgprs: 169
; ScratchSize: 0
; MemoryBound: 0
; FloatMode: 240
; IeeeMode: 1
; LDSByteSize: 38656 bytes/workgroup (compile time only)
; SGPRBlocks: 12
; VGPRBlocks: 42
; NumSGPRsForWavesPerEU: 102
; NumVGPRsForWavesPerEU: 169
; Occupancy: 1
; WaveLimiterHint : 1
; COMPUTE_PGM_RSRC2:SCRATCH_EN: 0
; COMPUTE_PGM_RSRC2:USER_SGPR: 6
; COMPUTE_PGM_RSRC2:TRAP_HANDLER: 0
; COMPUTE_PGM_RSRC2:TGID_X_EN: 1
; COMPUTE_PGM_RSRC2:TGID_Y_EN: 1
; COMPUTE_PGM_RSRC2:TGID_Z_EN: 0
; COMPUTE_PGM_RSRC2:TIDIG_COMP_CNT: 1
	.section	.text._ZL8moe_q5_1IN3c104HalfELb0EEvPKvS3_PT_PKiS7_S7_iiiiiii,"axG",@progbits,_ZL8moe_q5_1IN3c104HalfELb0EEvPKvS3_PT_PKiS7_S7_iiiiiii,comdat
	.globl	_ZL8moe_q5_1IN3c104HalfELb0EEvPKvS3_PT_PKiS7_S7_iiiiiii ; -- Begin function _ZL8moe_q5_1IN3c104HalfELb0EEvPKvS3_PT_PKiS7_S7_iiiiiii
	.p2align	8
	.type	_ZL8moe_q5_1IN3c104HalfELb0EEvPKvS3_PT_PKiS7_S7_iiiiiii,@function
_ZL8moe_q5_1IN3c104HalfELb0EEvPKvS3_PT_PKiS7_S7_iiiiiii: ; @_ZL8moe_q5_1IN3c104HalfELb0EEvPKvS3_PT_PKiS7_S7_iiiiiii
; %bb.0:
	s_load_dwordx4 s[0:3], s[4:5], 0x18
	s_mov_b32 s8, s7
	s_mov_b32 s9, 0
	s_lshl_b64 s[10:11], s[8:9], 2
	s_waitcnt lgkmcnt(0)
	s_add_u32 s2, s2, s10
	s_addc_u32 s3, s3, s11
	s_load_dword s2, s[2:3], 0x0
	s_waitcnt lgkmcnt(0)
	s_cmpk_gt_u32 s2, 0xff
	s_cbranch_scc1 .LBB203_30
; %bb.1:
	s_load_dwordx2 s[10:11], s[4:5], 0x28
	s_lshl_b32 s3, s8, 3
	s_waitcnt lgkmcnt(0)
	s_load_dword s7, s[10:11], 0x0
	s_waitcnt lgkmcnt(0)
	s_cmp_gt_u32 s3, s7
	s_cbranch_scc1 .LBB203_30
; %bb.2:
	v_add_u32_e32 v2, s3, v1
	v_mov_b32_e32 v3, 0
	v_lshlrev_b64 v[4:5], 2, v[2:3]
	v_mov_b32_e32 v2, s1
	v_add_co_u32_e32 v4, vcc, s0, v4
	v_addc_co_u32_e32 v5, vcc, v2, v5, vcc
	global_load_dword v6, v[4:5], off
	s_load_dwordx2 s[14:15], s[4:5], 0x30
	s_load_dwordx2 s[12:13], s[4:5], 0x10
	s_load_dwordx4 s[8:11], s[4:5], 0x3c
	s_lshl_b32 s18, s6, 7
	v_mov_b32_e32 v48, v3
	s_waitcnt lgkmcnt(0)
	s_cmp_lt_i32 s15, 32
	v_mov_b32_e32 v51, v3
	v_mov_b32_e32 v7, v3
	s_cbranch_scc1 .LBB203_21
; %bb.3:
	s_load_dwordx4 s[4:7], s[4:5], 0x0
	s_ashr_i32 s0, s15, 31
	s_ashr_i32 s1, s9, 31
	s_lshr_b32 s0, s0, 27
	s_lshr_b32 s1, s1, 27
	s_add_i32 s0, s15, s0
	s_add_i32 s1, s9, s1
	s_mul_i32 s2, s2, s14
	s_ashr_i32 s19, s0, 5
	s_ashr_i32 s9, s1, 5
	;; [unrolled: 1-line block ×3, first 2 shown]
	s_waitcnt lgkmcnt(0)
	s_add_u32 s2, s4, s2
	s_mul_i32 s3, s19, s18
	v_mul_lo_u32 v10, s19, v1
	s_addc_u32 s1, s5, s1
	s_mul_hi_i32 s4, s3, 24
	s_mul_i32 s3, s3, 24
	s_add_u32 s14, s2, s3
	s_addc_u32 s20, s1, s4
	s_lshl_b32 s1, s19, 3
	v_add_u32_e32 v12, s1, v10
	v_add_u32_e32 v14, s1, v12
	;; [unrolled: 1-line block ×11, first 2 shown]
	v_lshlrev_b32_e32 v3, 3, v0
	s_movk_i32 s16, 0x104
	v_add_u32_e32 v34, s1, v32
	v_lshrrev_b32_e32 v43, 3, v0
	v_mad_u32_u24 v11, v1, s16, v3
	v_add_u32_e32 v36, s1, v34
	v_lshl_add_u32 v3, v1, 2, v43
	v_add_u32_e32 v38, s1, v36
	v_and_b32_e32 v42, 7, v0
	v_add_u32_e32 v46, 32, v3
	v_add_u32_e32 v40, s1, v38
	v_lshlrev_b32_e32 v5, 2, v42
	s_mov_b32 s1, 0x8200
	v_and_b32_e32 v47, 0xffc, v46
	v_add3_u32 v51, v47, v5, s1
	v_add_u32_e32 v47, 64, v3
	v_mul_lo_u32 v44, s19, v3
	v_and_b32_e32 v4, 0x7fc, v3
	v_lshlrev_b32_e32 v48, 5, v3
	v_and_b32_e32 v49, 0xffc, v47
	v_add_u32_e32 v3, 0x60, v3
	v_add3_u32 v69, v49, v5, s1
	v_and_b32_e32 v49, 0xffc, v3
	s_abs_i32 s2, s11
	v_add3_u32 v4, v4, v5, s1
	v_add3_u32 v5, v49, v5, s1
	v_cvt_f32_u32_e32 v49, s2
	s_andn2_b32 s0, s0, 31
	v_add_u32_e32 v45, s0, v44
	v_lshlrev_b32_e32 v68, 5, v46
	v_rcp_iflag_f32_e32 v52, v49
	v_add_u32_e32 v46, s0, v45
	v_lshlrev_b32_e32 v70, 5, v47
	v_add_u32_e32 v47, s0, v46
	v_mul_f32_e32 v52, 0x4f7ffffe, v52
	v_cvt_u32_f32_e32 v54, v52
	s_sub_i32 s0, 0, s2
	v_mov_b32_e32 v49, 0x9280
	v_mov_b32_e32 v52, 0x9680
	v_mul_lo_u32 v55, s0, v54
	v_lshl_add_u32 v49, v1, 7, v49
	v_lshl_add_u32 v52, v1, 4, v52
	v_lshlrev_b32_e32 v2, 2, v0
	v_mul_hi_u32 v1, v54, v55
	v_and_b32_e32 v9, 12, v2
	v_and_b32_e32 v57, 28, v2
	v_add_u32_e32 v53, v52, v2
	s_waitcnt vmcnt(0)
	v_sub_u32_e32 v2, 0, v6
	v_max_i32_e32 v2, v6, v2
	v_add_u32_e32 v1, v54, v1
	v_mul_hi_u32 v1, v2, v1
	v_xor_b32_e32 v61, s11, v6
	v_ashrrev_i32_e32 v61, 31, v61
	v_add_u32_e32 v60, 32, v0
	v_mul_lo_u32 v56, v1, s2
	v_add_u32_e32 v59, 64, v0
	v_add_u32_e32 v58, 0x60, v0
	v_lshrrev_b32_e32 v55, 3, v60
	v_sub_u32_e32 v2, v2, v56
	v_add_u32_e32 v56, 1, v1
	v_cmp_le_u32_e64 s[0:1], s2, v2
	v_cndmask_b32_e64 v1, v1, v56, s[0:1]
	v_subrev_u32_e32 v56, s2, v2
	v_cndmask_b32_e64 v2, v2, v56, s[0:1]
	v_add_u32_e32 v56, 1, v1
	v_cmp_le_u32_e64 s[0:1], s2, v2
	v_cndmask_b32_e64 v1, v1, v56, s[0:1]
	v_xor_b32_e32 v1, v1, v61
	v_sub_u32_e32 v1, v1, v61
	v_mul_lo_u32 v56, v1, s9
	v_lshlrev_b32_e32 v61, 5, v0
	v_and_b32_e32 v58, 0x1fc, v58
	v_and_b32_e32 v59, 0x1fc, v59
	;; [unrolled: 1-line block ×4, first 2 shown]
	v_lshlrev_b32_e32 v3, 5, v3
	v_and_b32_e32 v50, 31, v0
	v_cmp_gt_u32_e32 vcc, 4, v0
	v_cmp_gt_i32_e64 s[0:1], s8, v1
	v_mov_b32_e32 v2, s7
	v_add_co_u32_e64 v1, s[2:3], s6, v57
	v_add_u32_e32 v62, v61, v58
	v_add_u32_e32 v63, v61, v59
	;; [unrolled: 1-line block ×4, first 2 shown]
	v_mov_b32_e32 v66, 0x80
	v_lshrrev_b32_e32 v8, 2, v0
	v_mov_b32_e32 v7, 0
	v_add_u32_e32 v13, 0x820, v11
	v_add_u32_e32 v15, 0x1040, v11
	;; [unrolled: 1-line block ×15, first 2 shown]
	v_lshl_or_b32 v50, v50, 2, v49
	v_mul_u32_u24_e32 v54, 0x104, v0
	s_mov_b32 s21, 0
	v_addc_co_u32_e64 v2, s[2:3], 0, v2, s[2:3]
	s_and_b64 s[4:5], vcc, s[0:1]
	v_ashrrev_i32_e32 v57, 31, v56
	v_add_u32_e32 v58, 0x8e00, v62
	v_add_u32_e32 v59, 0x8a00, v63
	;; [unrolled: 1-line block ×8, first 2 shown]
	v_mad_u32_u24 v66, v0, s16, v66
	v_add_u32_e32 v67, v4, v48
	v_add_u32_e32 v68, v51, v68
	;; [unrolled: 1-line block ×4, first 2 shown]
	v_mov_b32_e32 v51, 0
	v_mov_b32_e32 v48, 0
	;; [unrolled: 1-line block ×3, first 2 shown]
	s_branch .LBB203_5
.LBB203_4:                              ;   in Loop: Header=BB203_5 Depth=1
	s_add_i32 s21, s21, 8
	s_cmp_ge_i32 s21, s19
	s_cbranch_scc1 .LBB203_21
.LBB203_5:                              ; =>This Loop Header: Depth=1
                                        ;     Child Loop BB203_11 Depth 2
                                        ;     Child Loop BB203_19 Depth 2
	s_mul_i32 s3, s21, 24
	s_mul_hi_u32 s2, s21, 24
	s_add_u32 s16, s14, s3
	s_addc_u32 s17, s20, s2
	v_mad_u64_u32 v[4:5], s[2:3], v8, 24, s[16:17]
	v_mad_u64_u32 v[71:72], s[2:3], v10, 24, v[4:5]
	v_add_co_u32_e64 v73, s[2:3], v71, v9
	v_addc_co_u32_e64 v74, s[2:3], 0, v72, s[2:3]
	v_mad_u64_u32 v[77:78], s[2:3], v16, 24, v[4:5]
	v_mad_u64_u32 v[75:76], s[2:3], v14, 24, v[4:5]
	v_mad_u64_u32 v[79:80], s[2:3], v12, 24, v[4:5]
	global_load_dword v87, v[73:74], off offset:8
	global_load_dword v88, v[77:78], off offset:4
	;; [unrolled: 1-line block ×5, first 2 shown]
	v_add_co_u32_e64 v71, s[2:3], v79, v9
	v_addc_co_u32_e64 v72, s[2:3], 0, v80, s[2:3]
	global_load_dword v92, v[71:72], off offset:8
	v_add_co_u32_e64 v71, s[2:3], v75, v9
	v_addc_co_u32_e64 v72, s[2:3], 0, v76, s[2:3]
	v_add_co_u32_e64 v73, s[2:3], v77, v9
	v_addc_co_u32_e64 v74, s[2:3], 0, v78, s[2:3]
	global_load_dword v93, v[71:72], off offset:8
	global_load_dword v94, v[73:74], off offset:8
	v_mad_u64_u32 v[71:72], s[2:3], v18, 24, v[4:5]
	v_mad_u64_u32 v[73:74], s[2:3], v20, 24, v[4:5]
	;; [unrolled: 1-line block ×4, first 2 shown]
	v_add_co_u32_e64 v79, s[2:3], v71, v9
	v_addc_co_u32_e64 v80, s[2:3], 0, v72, s[2:3]
	v_add_co_u32_e64 v81, s[2:3], v73, v9
	v_addc_co_u32_e64 v82, s[2:3], 0, v74, s[2:3]
	;; [unrolled: 2-line block ×4, first 2 shown]
	global_load_dword v95, v[79:80], off offset:8
	global_load_dword v96, v[81:82], off offset:8
	;; [unrolled: 1-line block ×8, first 2 shown]
	s_waitcnt vmcnt(15)
	v_lshrrev_b32_e32 v73, 4, v87
	v_and_b32_e32 v72, 0xf0f0f0f, v87
	v_and_b32_e32 v73, 0xf0f0f0f, v73
	s_waitcnt vmcnt(12)
	v_ashrrev_i32_e32 v74, v9, v90
	s_waitcnt vmcnt(11)
	v_ashrrev_i32_e32 v71, v9, v91
	v_lshlrev_b32_e32 v76, 4, v71
	v_lshlrev_b32_e32 v77, 11, v71
	v_lshrrev_b32_e32 v80, 12, v71
	v_lshrrev_b32_e32 v81, 5, v71
	v_lshlrev_b32_e32 v78, 18, v71
	v_lshlrev_b32_e32 v79, 25, v71
	;; [unrolled: 1-line block ×4, first 2 shown]
	v_and_b32_e32 v76, 16, v76
	v_and_b32_e32 v77, 0x1000, v77
	;; [unrolled: 1-line block ×8, first 2 shown]
	v_or3_b32 v72, v76, v72, v77
	v_or3_b32 v73, v80, v73, v81
	;; [unrolled: 1-line block ×4, first 2 shown]
	v_lshlrev_b32_e32 v83, 4, v74
	ds_write2_b32 v11, v72, v71 offset1:1
	v_lshlrev_b32_e32 v72, 11, v74
	s_waitcnt vmcnt(10)
	v_and_b32_e32 v75, 0xf0f0f0f, v92
	v_and_b32_e32 v71, 16, v83
	;; [unrolled: 1-line block ×3, first 2 shown]
	v_or3_b32 v71, v71, v75, v72
	v_lshlrev_b32_e32 v72, 18, v74
	v_lshlrev_b32_e32 v73, 25, v74
	v_and_b32_e32 v72, 0x100000, v72
	v_and_b32_e32 v73, 0x10000000, v73
	v_or3_b32 v71, v71, v72, v73
	v_lshrrev_b32_e32 v72, 4, v92
	v_lshrrev_b32_e32 v73, 12, v74
	;; [unrolled: 1-line block ×3, first 2 shown]
	v_and_b32_e32 v72, 0xf0f0f0f, v72
	v_and_b32_e32 v73, 16, v73
	;; [unrolled: 1-line block ×3, first 2 shown]
	v_or3_b32 v72, v73, v72, v75
	v_lshlrev_b32_e32 v73, 2, v74
	v_lshlrev_b32_e32 v74, 9, v74
	v_and_b32_e32 v73, 0x100000, v73
	v_and_b32_e32 v74, 0x10000000, v74
	v_or3_b32 v72, v72, v73, v74
	ds_write2_b32 v13, v71, v72 offset1:1
	v_ashrrev_i32_e32 v71, v9, v89
	v_lshlrev_b32_e32 v73, 4, v71
	v_lshlrev_b32_e32 v74, 11, v71
	s_waitcnt vmcnt(9)
	v_and_b32_e32 v72, 0xf0f0f0f, v93
	v_and_b32_e32 v73, 16, v73
	;; [unrolled: 1-line block ×3, first 2 shown]
	v_or3_b32 v72, v73, v72, v74
	v_lshlrev_b32_e32 v73, 18, v71
	v_lshlrev_b32_e32 v74, 25, v71
	v_and_b32_e32 v73, 0x100000, v73
	v_and_b32_e32 v74, 0x10000000, v74
	v_or3_b32 v72, v72, v73, v74
	v_lshrrev_b32_e32 v73, 4, v93
	v_lshrrev_b32_e32 v74, 12, v71
	;; [unrolled: 1-line block ×3, first 2 shown]
	v_and_b32_e32 v73, 0xf0f0f0f, v73
	v_and_b32_e32 v74, 16, v74
	;; [unrolled: 1-line block ×3, first 2 shown]
	v_or3_b32 v73, v74, v73, v75
	v_lshlrev_b32_e32 v74, 2, v71
	v_lshlrev_b32_e32 v71, 9, v71
	v_and_b32_e32 v74, 0x100000, v74
	v_and_b32_e32 v71, 0x10000000, v71
	v_or3_b32 v71, v73, v74, v71
	ds_write2_b32 v15, v72, v71 offset1:1
	v_ashrrev_i32_e32 v71, v9, v88
	v_lshlrev_b32_e32 v73, 4, v71
	v_lshlrev_b32_e32 v74, 11, v71
	s_waitcnt vmcnt(8)
	v_and_b32_e32 v72, 0xf0f0f0f, v94
	v_and_b32_e32 v73, 16, v73
	;; [unrolled: 1-line block ×3, first 2 shown]
	v_or3_b32 v72, v73, v72, v74
	v_lshlrev_b32_e32 v73, 18, v71
	v_lshlrev_b32_e32 v74, 25, v71
	v_and_b32_e32 v73, 0x100000, v73
	v_and_b32_e32 v74, 0x10000000, v74
	v_or3_b32 v72, v72, v73, v74
	v_lshrrev_b32_e32 v73, 4, v94
	v_lshrrev_b32_e32 v74, 12, v71
	;; [unrolled: 1-line block ×3, first 2 shown]
	v_and_b32_e32 v73, 0xf0f0f0f, v73
	v_and_b32_e32 v74, 16, v74
	;; [unrolled: 1-line block ×3, first 2 shown]
	v_or3_b32 v73, v74, v73, v75
	v_lshlrev_b32_e32 v74, 2, v71
	v_lshlrev_b32_e32 v71, 9, v71
	v_and_b32_e32 v74, 0x100000, v74
	v_and_b32_e32 v71, 0x10000000, v71
	v_or3_b32 v71, v73, v74, v71
	s_waitcnt vmcnt(0)
	v_ashrrev_i32_e32 v87, v9, v102
	ds_write2_b32 v17, v72, v71 offset1:1
	v_lshlrev_b32_e32 v72, 4, v87
	v_lshlrev_b32_e32 v73, 11, v87
	v_and_b32_e32 v71, 0xf0f0f0f, v95
	v_and_b32_e32 v72, 16, v72
	v_and_b32_e32 v73, 0x1000, v73
	v_or3_b32 v71, v72, v71, v73
	v_lshlrev_b32_e32 v72, 18, v87
	v_lshlrev_b32_e32 v73, 25, v87
	v_and_b32_e32 v72, 0x100000, v72
	v_and_b32_e32 v73, 0x10000000, v73
	v_or3_b32 v88, v71, v72, v73
	v_lshrrev_b32_e32 v71, 4, v95
	v_lshrrev_b32_e32 v72, 12, v87
	;; [unrolled: 1-line block ×3, first 2 shown]
	v_and_b32_e32 v71, 0xf0f0f0f, v71
	v_and_b32_e32 v72, 16, v72
	;; [unrolled: 1-line block ×3, first 2 shown]
	v_or3_b32 v89, v72, v71, v73
	v_lshlrev_b32_e32 v71, 2, v87
	v_and_b32_e32 v90, 0x100000, v71
	v_mad_u64_u32 v[71:72], s[2:3], v26, 24, v[4:5]
	v_mad_u64_u32 v[73:74], s[2:3], v28, 24, v[4:5]
	v_add_co_u32_e64 v75, s[2:3], v71, v9
	v_addc_co_u32_e64 v76, s[2:3], 0, v72, s[2:3]
	v_add_co_u32_e64 v77, s[2:3], v73, v9
	v_addc_co_u32_e64 v78, s[2:3], 0, v74, s[2:3]
	v_mad_u64_u32 v[79:80], s[2:3], v30, 24, v[4:5]
	v_mad_u64_u32 v[81:82], s[2:3], v32, 24, v[4:5]
	v_add_co_u32_e64 v83, s[2:3], v79, v9
	v_addc_co_u32_e64 v84, s[2:3], 0, v80, s[2:3]
	v_add_co_u32_e64 v85, s[2:3], v81, v9
	v_addc_co_u32_e64 v86, s[2:3], 0, v82, s[2:3]
	global_load_dword v91, v[75:76], off offset:8
	global_load_dword v92, v[77:78], off offset:8
	;; [unrolled: 1-line block ×8, first 2 shown]
	v_lshlrev_b32_e32 v71, 9, v87
	v_and_b32_e32 v71, 0x10000000, v71
	v_or3_b32 v71, v89, v90, v71
	ds_write2_b32 v19, v88, v71 offset1:1
	v_ashrrev_i32_e32 v71, v9, v101
	v_lshlrev_b32_e32 v73, 4, v71
	v_lshlrev_b32_e32 v74, 11, v71
	v_and_b32_e32 v72, 0xf0f0f0f, v96
	v_and_b32_e32 v73, 16, v73
	v_and_b32_e32 v74, 0x1000, v74
	v_or3_b32 v72, v73, v72, v74
	v_lshlrev_b32_e32 v73, 18, v71
	v_lshlrev_b32_e32 v74, 25, v71
	v_and_b32_e32 v73, 0x100000, v73
	v_and_b32_e32 v74, 0x10000000, v74
	v_or3_b32 v72, v72, v73, v74
	v_lshrrev_b32_e32 v73, 4, v96
	v_lshrrev_b32_e32 v74, 12, v71
	v_lshrrev_b32_e32 v75, 5, v71
	v_and_b32_e32 v73, 0xf0f0f0f, v73
	v_and_b32_e32 v74, 16, v74
	v_and_b32_e32 v75, 0x1000, v75
	v_or3_b32 v73, v74, v73, v75
	v_lshlrev_b32_e32 v74, 2, v71
	v_lshlrev_b32_e32 v71, 9, v71
	v_and_b32_e32 v74, 0x100000, v74
	v_and_b32_e32 v71, 0x10000000, v71
	v_or3_b32 v71, v73, v74, v71
	ds_write2_b32 v21, v72, v71 offset1:1
	v_ashrrev_i32_e32 v71, v9, v100
	v_lshlrev_b32_e32 v73, 4, v71
	v_lshlrev_b32_e32 v74, 11, v71
	v_and_b32_e32 v72, 0xf0f0f0f, v97
	v_and_b32_e32 v73, 16, v73
	v_and_b32_e32 v74, 0x1000, v74
	v_or3_b32 v72, v73, v72, v74
	v_lshlrev_b32_e32 v73, 18, v71
	v_lshlrev_b32_e32 v74, 25, v71
	v_and_b32_e32 v73, 0x100000, v73
	v_and_b32_e32 v74, 0x10000000, v74
	v_or3_b32 v72, v72, v73, v74
	v_lshrrev_b32_e32 v73, 4, v97
	v_lshrrev_b32_e32 v74, 12, v71
	v_lshrrev_b32_e32 v75, 5, v71
	v_and_b32_e32 v73, 0xf0f0f0f, v73
	v_and_b32_e32 v74, 16, v74
	v_and_b32_e32 v75, 0x1000, v75
	v_or3_b32 v73, v74, v73, v75
	v_lshlrev_b32_e32 v74, 2, v71
	v_lshlrev_b32_e32 v71, 9, v71
	v_and_b32_e32 v74, 0x100000, v74
	v_and_b32_e32 v71, 0x10000000, v71
	v_or3_b32 v71, v73, v74, v71
	ds_write2_b32 v23, v72, v71 offset1:1
	v_ashrrev_i32_e32 v71, v9, v99
	v_lshlrev_b32_e32 v73, 4, v71
	v_lshlrev_b32_e32 v74, 11, v71
	v_and_b32_e32 v72, 0xf0f0f0f, v98
	v_and_b32_e32 v73, 16, v73
	v_and_b32_e32 v74, 0x1000, v74
	v_or3_b32 v72, v73, v72, v74
	v_lshlrev_b32_e32 v73, 18, v71
	v_lshlrev_b32_e32 v74, 25, v71
	v_and_b32_e32 v73, 0x100000, v73
	v_and_b32_e32 v74, 0x10000000, v74
	v_or3_b32 v72, v72, v73, v74
	v_lshrrev_b32_e32 v73, 4, v98
	v_lshrrev_b32_e32 v74, 12, v71
	v_lshrrev_b32_e32 v75, 5, v71
	v_and_b32_e32 v73, 0xf0f0f0f, v73
	v_and_b32_e32 v74, 16, v74
	v_and_b32_e32 v75, 0x1000, v75
	v_or3_b32 v73, v74, v73, v75
	v_lshlrev_b32_e32 v74, 2, v71
	v_lshlrev_b32_e32 v71, 9, v71
	v_and_b32_e32 v74, 0x100000, v74
	v_and_b32_e32 v71, 0x10000000, v71
	v_or3_b32 v71, v73, v74, v71
	ds_write2_b32 v25, v72, v71 offset1:1
	s_waitcnt vmcnt(0)
	v_ashrrev_i32_e32 v85, v9, v104
	v_lshlrev_b32_e32 v72, 4, v85
	v_lshlrev_b32_e32 v73, 11, v85
	v_and_b32_e32 v71, 0xf0f0f0f, v91
	v_and_b32_e32 v72, 16, v72
	;; [unrolled: 1-line block ×3, first 2 shown]
	v_or3_b32 v71, v72, v71, v73
	v_lshlrev_b32_e32 v72, 18, v85
	v_lshlrev_b32_e32 v73, 25, v85
	v_and_b32_e32 v72, 0x100000, v72
	v_and_b32_e32 v73, 0x10000000, v73
	v_or3_b32 v86, v71, v72, v73
	v_lshrrev_b32_e32 v71, 4, v91
	v_lshrrev_b32_e32 v72, 12, v85
	;; [unrolled: 1-line block ×3, first 2 shown]
	v_and_b32_e32 v71, 0xf0f0f0f, v71
	v_and_b32_e32 v72, 16, v72
	;; [unrolled: 1-line block ×3, first 2 shown]
	v_or3_b32 v87, v72, v71, v73
	v_lshlrev_b32_e32 v71, 2, v85
	v_and_b32_e32 v88, 0x100000, v71
	v_mad_u64_u32 v[71:72], s[2:3], v34, 24, v[4:5]
	v_mad_u64_u32 v[73:74], s[2:3], v36, 24, v[4:5]
	v_add_co_u32_e64 v75, s[2:3], v71, v9
	v_addc_co_u32_e64 v76, s[2:3], 0, v72, s[2:3]
	v_add_co_u32_e64 v77, s[2:3], v73, v9
	v_addc_co_u32_e64 v78, s[2:3], 0, v74, s[2:3]
	v_mad_u64_u32 v[79:80], s[2:3], v38, 24, v[4:5]
	v_mad_u64_u32 v[4:5], s[2:3], v40, 24, v[4:5]
	v_add_co_u32_e64 v81, s[2:3], v79, v9
	v_addc_co_u32_e64 v82, s[2:3], 0, v80, s[2:3]
	v_add_co_u32_e64 v83, s[2:3], v4, v9
	v_addc_co_u32_e64 v84, s[2:3], 0, v5, s[2:3]
	global_load_dword v89, v[75:76], off offset:8
	global_load_dword v90, v[77:78], off offset:8
	;; [unrolled: 1-line block ×8, first 2 shown]
	v_lshlrev_b32_e32 v4, 9, v85
	v_and_b32_e32 v4, 0x10000000, v4
	v_or3_b32 v4, v87, v88, v4
	ds_write2_b32 v27, v86, v4 offset1:1
	v_ashrrev_i32_e32 v4, v9, v103
	v_lshlrev_b32_e32 v71, 4, v4
	v_lshlrev_b32_e32 v72, 11, v4
	v_and_b32_e32 v5, 0xf0f0f0f, v92
	v_and_b32_e32 v71, 16, v71
	v_and_b32_e32 v72, 0x1000, v72
	v_or3_b32 v5, v71, v5, v72
	v_lshlrev_b32_e32 v71, 18, v4
	v_lshlrev_b32_e32 v72, 25, v4
	v_and_b32_e32 v71, 0x100000, v71
	v_and_b32_e32 v72, 0x10000000, v72
	v_or3_b32 v5, v5, v71, v72
	v_lshrrev_b32_e32 v71, 4, v92
	v_lshrrev_b32_e32 v72, 12, v4
	v_lshrrev_b32_e32 v73, 5, v4
	v_and_b32_e32 v71, 0xf0f0f0f, v71
	v_and_b32_e32 v72, 16, v72
	v_and_b32_e32 v73, 0x1000, v73
	v_or3_b32 v71, v72, v71, v73
	v_lshlrev_b32_e32 v72, 2, v4
	v_lshlrev_b32_e32 v4, 9, v4
	v_and_b32_e32 v72, 0x100000, v72
	v_and_b32_e32 v4, 0x10000000, v4
	v_or3_b32 v4, v71, v72, v4
	ds_write2_b32 v29, v5, v4 offset1:1
	v_ashrrev_i32_e32 v4, v9, v102
	v_lshlrev_b32_e32 v71, 4, v4
	v_lshlrev_b32_e32 v72, 11, v4
	v_and_b32_e32 v5, 0xf0f0f0f, v93
	v_and_b32_e32 v71, 16, v71
	v_and_b32_e32 v72, 0x1000, v72
	v_or3_b32 v5, v71, v5, v72
	v_lshlrev_b32_e32 v71, 18, v4
	v_lshlrev_b32_e32 v72, 25, v4
	v_and_b32_e32 v71, 0x100000, v71
	v_and_b32_e32 v72, 0x10000000, v72
	v_or3_b32 v5, v5, v71, v72
	v_lshrrev_b32_e32 v71, 4, v93
	v_lshrrev_b32_e32 v72, 12, v4
	v_lshrrev_b32_e32 v73, 5, v4
	v_and_b32_e32 v71, 0xf0f0f0f, v71
	v_and_b32_e32 v72, 16, v72
	v_and_b32_e32 v73, 0x1000, v73
	v_or3_b32 v71, v72, v71, v73
	v_lshlrev_b32_e32 v72, 2, v4
	v_lshlrev_b32_e32 v4, 9, v4
	v_and_b32_e32 v72, 0x100000, v72
	;; [unrolled: 25-line block ×3, first 2 shown]
	v_and_b32_e32 v4, 0x10000000, v4
	v_or3_b32 v4, v71, v72, v4
	ds_write2_b32 v33, v5, v4 offset1:1
	s_waitcnt vmcnt(0)
	v_ashrrev_i32_e32 v4, v9, v100
	v_lshlrev_b32_e32 v71, 4, v4
	v_lshlrev_b32_e32 v72, 11, v4
	v_and_b32_e32 v5, 0xf0f0f0f, v89
	v_and_b32_e32 v71, 16, v71
	;; [unrolled: 1-line block ×3, first 2 shown]
	v_or3_b32 v5, v71, v5, v72
	v_lshlrev_b32_e32 v71, 18, v4
	v_lshlrev_b32_e32 v72, 25, v4
	v_and_b32_e32 v71, 0x100000, v71
	v_and_b32_e32 v72, 0x10000000, v72
	v_or3_b32 v77, v5, v71, v72
	v_lshrrev_b32_e32 v5, 4, v89
	v_lshrrev_b32_e32 v71, 12, v4
	;; [unrolled: 1-line block ×3, first 2 shown]
	v_and_b32_e32 v5, 0xf0f0f0f, v5
	v_and_b32_e32 v71, 16, v71
	;; [unrolled: 1-line block ×3, first 2 shown]
	v_or3_b32 v71, v71, v5, v72
	v_lshlrev_b32_e32 v5, 2, v4
	v_and_b32_e32 v72, 0x100000, v5
	v_lshlrev_b32_e32 v73, 9, v4
	v_mad_u64_u32 v[4:5], s[2:3], v42, 24, s[16:17]
	v_and_b32_e32 v73, 0x10000000, v73
	v_or3_b32 v78, v71, v72, v73
	v_mad_u64_u32 v[71:72], s[2:3], v44, 24, v[4:5]
	v_mad_u64_u32 v[73:74], s[2:3], v45, 24, v[4:5]
	;; [unrolled: 1-line block ×4, first 2 shown]
	global_load_dword v79, v[71:72], off
	global_load_dword v80, v[73:74], off
	;; [unrolled: 1-line block ×3, first 2 shown]
	v_ashrrev_i32_e32 v71, v9, v99
	global_load_dword v4, v[4:5], off
	v_lshlrev_b32_e32 v72, 4, v71
	v_lshlrev_b32_e32 v73, 11, v71
	v_and_b32_e32 v5, 0xf0f0f0f, v90
	v_and_b32_e32 v72, 16, v72
	v_and_b32_e32 v73, 0x1000, v73
	v_or3_b32 v5, v72, v5, v73
	v_lshlrev_b32_e32 v72, 18, v71
	v_lshlrev_b32_e32 v73, 25, v71
	v_and_b32_e32 v72, 0x100000, v72
	v_and_b32_e32 v73, 0x10000000, v73
	v_or3_b32 v5, v5, v72, v73
	v_lshrrev_b32_e32 v72, 4, v90
	v_lshrrev_b32_e32 v73, 12, v71
	;; [unrolled: 1-line block ×3, first 2 shown]
	v_and_b32_e32 v72, 0xf0f0f0f, v72
	v_and_b32_e32 v73, 16, v73
	v_and_b32_e32 v74, 0x1000, v74
	v_or3_b32 v72, v73, v72, v74
	v_lshlrev_b32_e32 v73, 2, v71
	v_lshlrev_b32_e32 v71, 9, v71
	v_and_b32_e32 v73, 0x100000, v73
	v_and_b32_e32 v71, 0x10000000, v71
	v_or3_b32 v71, v72, v73, v71
	ds_write2_b32 v37, v5, v71 offset1:1
	v_ashrrev_i32_e32 v5, v9, v98
	v_lshlrev_b32_e32 v72, 4, v5
	v_lshlrev_b32_e32 v73, 11, v5
	v_and_b32_e32 v71, 0xf0f0f0f, v91
	v_and_b32_e32 v72, 16, v72
	;; [unrolled: 1-line block ×3, first 2 shown]
	v_or3_b32 v71, v72, v71, v73
	v_lshlrev_b32_e32 v72, 18, v5
	v_lshlrev_b32_e32 v73, 25, v5
	v_and_b32_e32 v72, 0x100000, v72
	v_and_b32_e32 v73, 0x10000000, v73
	v_or3_b32 v71, v71, v72, v73
	v_lshrrev_b32_e32 v72, 4, v91
	v_lshrrev_b32_e32 v73, 12, v5
	v_lshrrev_b32_e32 v74, 5, v5
	v_and_b32_e32 v72, 0xf0f0f0f, v72
	v_and_b32_e32 v73, 16, v73
	;; [unrolled: 1-line block ×3, first 2 shown]
	v_or3_b32 v72, v73, v72, v74
	v_lshlrev_b32_e32 v73, 2, v5
	v_lshlrev_b32_e32 v5, 9, v5
	v_and_b32_e32 v73, 0x100000, v73
	v_and_b32_e32 v5, 0x10000000, v5
	v_or3_b32 v5, v72, v73, v5
	ds_write2_b32 v39, v71, v5 offset1:1
	v_ashrrev_i32_e32 v5, v9, v97
	v_lshlrev_b32_e32 v72, 4, v5
	v_lshlrev_b32_e32 v73, 11, v5
	v_and_b32_e32 v71, 0xf0f0f0f, v96
	v_and_b32_e32 v72, 16, v72
	;; [unrolled: 1-line block ×3, first 2 shown]
	v_or3_b32 v71, v72, v71, v73
	v_lshlrev_b32_e32 v72, 18, v5
	v_lshlrev_b32_e32 v73, 25, v5
	v_and_b32_e32 v72, 0x100000, v72
	v_and_b32_e32 v73, 0x10000000, v73
	v_or3_b32 v71, v71, v72, v73
	v_lshrrev_b32_e32 v72, 4, v96
	v_lshrrev_b32_e32 v73, 12, v5
	v_lshrrev_b32_e32 v74, 5, v5
	v_and_b32_e32 v72, 0xf0f0f0f, v72
	v_and_b32_e32 v73, 16, v73
	;; [unrolled: 1-line block ×3, first 2 shown]
	v_or3_b32 v72, v73, v72, v74
	v_lshlrev_b32_e32 v73, 2, v5
	v_lshlrev_b32_e32 v5, 9, v5
	v_and_b32_e32 v73, 0x100000, v73
	v_and_b32_e32 v5, 0x10000000, v5
	s_lshl_b32 s16, s21, 5
	v_or3_b32 v5, v72, v73, v5
	s_cmp_lt_i32 s16, s15
	ds_write2_b32 v35, v77, v78 offset1:1
	ds_write2_b32 v41, v71, v5 offset1:1
	s_waitcnt vmcnt(3)
	ds_write_b32 v67, v79
	s_waitcnt vmcnt(2)
	ds_write_b32 v68, v80
	;; [unrolled: 2-line block ×4, first 2 shown]
	s_cbranch_scc0 .LBB203_4
; %bb.6:                                ;   in Loop: Header=BB203_5 Depth=1
	v_add_u32_e32 v4, s21, v43
	v_cmp_gt_i32_e64 s[2:3], s9, v4
	s_and_b64 s[22:23], s[0:1], s[2:3]
	s_and_saveexec_b64 s[2:3], s[22:23]
	s_cbranch_execz .LBB203_8
; %bb.7:                                ;   in Loop: Header=BB203_5 Depth=1
	v_add_u32_e32 v4, v56, v4
	v_mad_i64_i32 v[4:5], s[22:23], v4, 36, v[1:2]
	global_load_dword v4, v[4:5], off offset:4
	s_waitcnt vmcnt(0)
	ds_write_b32 v50, v4
.LBB203_8:                              ;   in Loop: Header=BB203_5 Depth=1
	s_or_b64 exec, exec, s[2:3]
	v_add_u32_e32 v4, s21, v0
	v_cmp_gt_i32_e64 s[2:3], s9, v4
	s_and_b64 s[22:23], s[4:5], s[2:3]
	s_and_saveexec_b64 s[2:3], s[22:23]
	s_cbranch_execz .LBB203_10
; %bb.9:                                ;   in Loop: Header=BB203_5 Depth=1
	v_add_u32_e32 v5, v56, v4
	v_mad_i64_i32 v[71:72], s[22:23], v5, 36, s[6:7]
	global_load_dword v5, v[71:72], off
	s_waitcnt vmcnt(0)
	ds_write_b32 v53, v5
.LBB203_10:                             ;   in Loop: Header=BB203_5 Depth=1
	s_or_b64 exec, exec, s[2:3]
	s_mov_b32 s2, -4
	v_mov_b32_e32 v5, v49
	v_mov_b32_e32 v71, v54
	;; [unrolled: 1-line block ×7, first 2 shown]
	s_waitcnt lgkmcnt(0)
	s_barrier
.LBB203_11:                             ;   Parent Loop BB203_5 Depth=1
                                        ; =>  This Inner Loop Header: Depth=2
	ds_read_b128 v[77:80], v5
	ds_read_b128 v[81:84], v5 offset:16
	ds_read2_b32 v[85:86], v71 offset1:1
	ds_read2_b32 v[87:88], v71 offset0:2 offset1:3
	ds_read2_b32 v[89:90], v71 offset0:4 offset1:5
	;; [unrolled: 1-line block ×3, first 2 shown]
	v_add_u32_e32 v93, 0x2080, v71
	v_add_u32_e32 v95, 0x2088, v71
	v_add_u32_e32 v97, 0x2090, v71
	v_add_u32_e32 v99, 0x2098, v71
	v_add_u32_e32 v101, 0x4100, v71
	v_add_u32_e32 v103, 0x4108, v71
	v_add_u32_e32 v105, 0x4110, v71
	v_add_u32_e32 v107, 0x4118, v71
	v_add_u32_e32 v109, 0x6180, v71
	v_add_u32_e32 v111, 0x6188, v71
	v_add_u32_e32 v113, 0x6190, v71
	v_add_u32_e32 v115, 0x6198, v71
	ds_read_b32 v117, v72
	ds_read_b32 v118, v73
	;; [unrolled: 1-line block ×5, first 2 shown]
	ds_read2_b32 v[93:94], v93 offset1:1
	ds_read2_b32 v[95:96], v95 offset1:1
	;; [unrolled: 1-line block ×12, first 2 shown]
	s_waitcnt lgkmcnt(14)
	v_dot4_i32_i8 v85, v85, v77, 0
	v_dot4_i32_i8 v85, v86, v81, v85
	s_waitcnt lgkmcnt(11)
	v_dot4_i32_i8 v86, v93, v77, 0
	s_waitcnt lgkmcnt(7)
	;; [unrolled: 2-line block ×3, first 2 shown]
	v_dot4_i32_i8 v77, v109, v77, 0
	v_dot4_i32_i8 v85, v87, v78, v85
	v_dot4_i32_i8 v86, v94, v81, v86
	v_dot4_i32_i8 v87, v102, v81, v93
	v_dot4_i32_i8 v77, v110, v81, v77
	v_dot4_i32_i8 v81, v88, v82, v85
	v_dot4_i32_i8 v85, v95, v78, v86
	v_dot4_i32_i8 v86, v103, v78, v87
	s_waitcnt lgkmcnt(2)
	v_dot4_i32_i8 v77, v111, v78, v77
	v_dot4_i32_i8 v78, v89, v79, v81
	v_dot4_i32_i8 v81, v96, v82, v85
	v_dot4_i32_i8 v85, v104, v82, v86
	v_dot4_i32_i8 v77, v112, v82, v77
	v_dot4_i32_i8 v78, v90, v83, v78
	v_dot4_i32_i8 v81, v97, v79, v81
	v_dot4_i32_i8 v82, v105, v79, v85
	s_waitcnt lgkmcnt(1)
	v_dot4_i32_i8 v77, v113, v79, v77
	v_dot4_i32_i8 v78, v91, v80, v78
	v_dot4_i32_i8 v79, v98, v83, v81
	v_dot4_i32_i8 v81, v106, v83, v82
	v_dot4_i32_i8 v77, v114, v83, v77
	v_dot4_i32_i8 v78, v92, v84, v78
	v_dot4_i32_i8 v79, v99, v80, v79
	v_dot4_i32_i8 v81, v107, v80, v81
	s_waitcnt lgkmcnt(0)
	v_dot4_i32_i8 v77, v115, v80, v77
	v_cvt_f32_i32_e32 v78, v78
	v_dot4_i32_i8 v79, v100, v84, v79
	v_dot4_i32_i8 v80, v108, v84, v81
	;; [unrolled: 1-line block ×3, first 2 shown]
	v_cvt_f32_i32_e32 v79, v79
	v_cvt_f32_i32_e32 v80, v80
	v_cvt_f32_i32_e32 v77, v77
	v_pk_mul_f16 v118, v117, v118
	v_pk_mul_f16 v119, v117, v119
	;; [unrolled: 1-line block ×4, first 2 shown]
	v_fma_mix_f32 v78, v118, v78, v118 op_sel:[0,0,1] op_sel_hi:[1,0,1]
	s_add_i32 s2, s2, 4
	v_add_f32_e32 v7, v7, v78
	v_fma_mix_f32 v78, v119, v79, v119 op_sel:[0,0,1] op_sel_hi:[1,0,1]
	v_fma_mix_f32 v79, v120, v80, v120 op_sel:[0,0,1] op_sel_hi:[1,0,1]
	v_fma_mix_f32 v77, v117, v77, v117 op_sel:[0,0,1] op_sel_hi:[1,0,1]
	v_add_u32_e32 v76, 4, v76
	v_add_u32_e32 v75, 4, v75
	;; [unrolled: 1-line block ×7, first 2 shown]
	s_cmp_lt_u32 s2, 12
	v_add_f32_e32 v51, v51, v78
	v_add_f32_e32 v48, v48, v79
	;; [unrolled: 1-line block ×3, first 2 shown]
	s_cbranch_scc1 .LBB203_11
; %bb.12:                               ;   in Loop: Header=BB203_5 Depth=1
	s_bitset1_b32 s16, 7
	s_cmp_ge_i32 s16, s15
	s_barrier
	s_cbranch_scc1 .LBB203_4
; %bb.13:                               ;   in Loop: Header=BB203_5 Depth=1
	v_add_u32_e32 v5, s21, v55
	v_cmp_gt_i32_e64 s[2:3], s9, v5
	s_and_b64 s[16:17], s[0:1], s[2:3]
	s_and_saveexec_b64 s[2:3], s[16:17]
	s_cbranch_execz .LBB203_15
; %bb.14:                               ;   in Loop: Header=BB203_5 Depth=1
	v_add_u32_e32 v5, v56, v5
	v_mad_i64_i32 v[71:72], s[16:17], v5, 36, v[1:2]
	global_load_dword v5, v[71:72], off offset:4
	s_waitcnt vmcnt(0)
	ds_write_b32 v50, v5
.LBB203_15:                             ;   in Loop: Header=BB203_5 Depth=1
	s_or_b64 exec, exec, s[2:3]
	s_and_saveexec_b64 s[16:17], vcc
	s_cbranch_execz .LBB203_18
; %bb.16:                               ;   in Loop: Header=BB203_5 Depth=1
	v_or_b32_e32 v5, 4, v4
	v_cmp_gt_i32_e64 s[2:3], s9, v5
	s_and_b64 s[2:3], s[0:1], s[2:3]
	s_and_b64 exec, exec, s[2:3]
	s_cbranch_execz .LBB203_18
; %bb.17:                               ;   in Loop: Header=BB203_5 Depth=1
	v_ashrrev_i32_e32 v5, 31, v4
	v_add_co_u32_e64 v4, s[2:3], v56, v4
	v_addc_co_u32_e64 v71, s[2:3], v57, v5, s[2:3]
	v_mad_u64_u32 v[4:5], s[2:3], v4, 36, s[6:7]
	v_mad_i32_i24 v5, v71, 36, v5
	global_load_dword v4, v[4:5], off offset:144
	s_waitcnt vmcnt(0)
	ds_write_b32 v53, v4
.LBB203_18:                             ;   in Loop: Header=BB203_5 Depth=1
	s_or_b64 exec, exec, s[16:17]
	s_mov_b32 s2, 12
	v_mov_b32_e32 v4, v52
	v_mov_b32_e32 v5, v49
	;; [unrolled: 1-line block ×7, first 2 shown]
	s_waitcnt lgkmcnt(0)
	s_barrier
.LBB203_19:                             ;   Parent Loop BB203_5 Depth=1
                                        ; =>  This Inner Loop Header: Depth=2
	v_add_u32_e32 v92, 0x2080, v71
	v_add_u32_e32 v94, 0x2088, v71
	;; [unrolled: 1-line block ×12, first 2 shown]
	ds_read_b128 v[76:79], v5
	ds_read_b32 v116, v4
	ds_read_b128 v[80:83], v5 offset:16
	ds_read2_b32 v[84:85], v71 offset1:1
	ds_read_b32 v117, v72
	ds_read2_b32 v[86:87], v71 offset0:2 offset1:3
	ds_read2_b32 v[88:89], v71 offset0:4 offset1:5
	;; [unrolled: 1-line block ×3, first 2 shown]
	ds_read_b32 v118, v73
	ds_read_b32 v119, v74
	;; [unrolled: 1-line block ×3, first 2 shown]
	ds_read2_b32 v[92:93], v92 offset1:1
	ds_read2_b32 v[94:95], v94 offset1:1
	;; [unrolled: 1-line block ×12, first 2 shown]
	s_waitcnt lgkmcnt(14)
	v_dot4_i32_i8 v84, v84, v76, 0
	v_dot4_i32_i8 v84, v85, v80, v84
	s_waitcnt lgkmcnt(11)
	v_dot4_i32_i8 v85, v92, v76, 0
	s_waitcnt lgkmcnt(7)
	;; [unrolled: 2-line block ×3, first 2 shown]
	v_dot4_i32_i8 v76, v108, v76, 0
	v_dot4_i32_i8 v84, v86, v77, v84
	v_dot4_i32_i8 v85, v93, v80, v85
	v_dot4_i32_i8 v86, v101, v80, v92
	v_dot4_i32_i8 v76, v109, v80, v76
	v_dot4_i32_i8 v80, v87, v81, v84
	v_dot4_i32_i8 v84, v94, v77, v85
	v_dot4_i32_i8 v85, v102, v77, v86
	s_waitcnt lgkmcnt(2)
	v_dot4_i32_i8 v76, v110, v77, v76
	v_dot4_i32_i8 v77, v88, v78, v80
	v_dot4_i32_i8 v80, v95, v81, v84
	v_dot4_i32_i8 v84, v103, v81, v85
	v_dot4_i32_i8 v76, v111, v81, v76
	v_dot4_i32_i8 v77, v89, v82, v77
	v_dot4_i32_i8 v80, v96, v78, v80
	v_dot4_i32_i8 v81, v104, v78, v84
	s_waitcnt lgkmcnt(1)
	;; [unrolled: 9-line block ×3, first 2 shown]
	v_dot4_i32_i8 v76, v114, v79, v76
	v_cvt_f32_i32_e32 v77, v77
	v_dot4_i32_i8 v78, v99, v83, v78
	v_dot4_i32_i8 v79, v107, v83, v80
	;; [unrolled: 1-line block ×3, first 2 shown]
	v_cvt_f32_i32_e32 v78, v78
	v_cvt_f32_i32_e32 v79, v79
	v_cvt_f32_i32_e32 v76, v76
	v_pk_mul_f16 v117, v116, v117
	v_pk_mul_f16 v118, v116, v118
	;; [unrolled: 1-line block ×4, first 2 shown]
	v_fma_mix_f32 v77, v117, v77, v117 op_sel:[0,0,1] op_sel_hi:[1,0,1]
	s_add_i32 s2, s2, 4
	v_add_f32_e32 v7, v7, v77
	v_fma_mix_f32 v77, v118, v78, v118 op_sel:[0,0,1] op_sel_hi:[1,0,1]
	v_fma_mix_f32 v78, v119, v79, v119 op_sel:[0,0,1] op_sel_hi:[1,0,1]
	;; [unrolled: 1-line block ×3, first 2 shown]
	v_add_u32_e32 v75, 4, v75
	v_add_u32_e32 v74, 4, v74
	;; [unrolled: 1-line block ×7, first 2 shown]
	s_cmp_lt_u32 s2, 28
	v_add_f32_e32 v51, v51, v77
	v_add_f32_e32 v48, v48, v78
	;; [unrolled: 1-line block ×3, first 2 shown]
	s_cbranch_scc1 .LBB203_19
; %bb.20:                               ;   in Loop: Header=BB203_5 Depth=1
	s_barrier
	s_branch .LBB203_4
.LBB203_21:
	s_mul_i32 s0, s11, s8
	s_waitcnt vmcnt(0)
	v_cmp_gt_i32_e32 vcc, s0, v6
	s_and_saveexec_b64 s[0:1], vcc
	s_cbranch_execz .LBB203_30
; %bb.22:
	v_mul_lo_u32 v1, v6, s10
	v_add_u32_e32 v0, s18, v0
	v_cmp_gt_u32_e32 vcc, s10, v0
	s_and_saveexec_b64 s[0:1], vcc
	s_cbranch_execz .LBB203_24
; %bb.23:
	v_add_u32_e32 v4, v1, v0
	v_mov_b32_e32 v5, 0
	v_lshlrev_b64 v[4:5], 1, v[4:5]
	v_cvt_f16_f32_e32 v6, v7
	v_mov_b32_e32 v2, s13
	v_add_co_u32_e32 v4, vcc, s12, v4
	v_addc_co_u32_e32 v5, vcc, v2, v5, vcc
	global_store_short v[4:5], v6, off
.LBB203_24:
	s_or_b64 exec, exec, s[0:1]
	v_add_u32_e32 v2, 32, v0
	v_cmp_gt_u32_e32 vcc, s10, v2
	s_and_saveexec_b64 s[0:1], vcc
	s_cbranch_execz .LBB203_26
; %bb.25:
	v_add_u32_e32 v4, v1, v2
	v_mov_b32_e32 v5, 0
	v_lshlrev_b64 v[4:5], 1, v[4:5]
	v_cvt_f16_f32_e32 v6, v51
	v_mov_b32_e32 v2, s13
	v_add_co_u32_e32 v4, vcc, s12, v4
	v_addc_co_u32_e32 v5, vcc, v2, v5, vcc
	global_store_short v[4:5], v6, off
.LBB203_26:
	s_or_b64 exec, exec, s[0:1]
	;; [unrolled: 15-line block ×3, first 2 shown]
	v_add_u32_e32 v0, 0x60, v0
	v_cmp_gt_u32_e32 vcc, s10, v0
	s_and_b64 exec, exec, vcc
	s_cbranch_execz .LBB203_30
; %bb.29:
	v_add_u32_e32 v0, v1, v0
	v_mov_b32_e32 v1, 0
	v_lshlrev_b64 v[0:1], 1, v[0:1]
	v_cvt_f16_f32_e32 v3, v3
	v_mov_b32_e32 v2, s13
	v_add_co_u32_e32 v0, vcc, s12, v0
	v_addc_co_u32_e32 v1, vcc, v2, v1, vcc
	global_store_short v[0:1], v3, off
.LBB203_30:
	s_endpgm
	.section	.rodata,"a",@progbits
	.p2align	6, 0x0
	.amdhsa_kernel _ZL8moe_q5_1IN3c104HalfELb0EEvPKvS3_PT_PKiS7_S7_iiiiiii
		.amdhsa_group_segment_fixed_size 38656
		.amdhsa_private_segment_fixed_size 0
		.amdhsa_kernarg_size 76
		.amdhsa_user_sgpr_count 6
		.amdhsa_user_sgpr_private_segment_buffer 1
		.amdhsa_user_sgpr_dispatch_ptr 0
		.amdhsa_user_sgpr_queue_ptr 0
		.amdhsa_user_sgpr_kernarg_segment_ptr 1
		.amdhsa_user_sgpr_dispatch_id 0
		.amdhsa_user_sgpr_flat_scratch_init 0
		.amdhsa_user_sgpr_private_segment_size 0
		.amdhsa_uses_dynamic_stack 0
		.amdhsa_system_sgpr_private_segment_wavefront_offset 0
		.amdhsa_system_sgpr_workgroup_id_x 1
		.amdhsa_system_sgpr_workgroup_id_y 1
		.amdhsa_system_sgpr_workgroup_id_z 0
		.amdhsa_system_sgpr_workgroup_info 0
		.amdhsa_system_vgpr_workitem_id 1
		.amdhsa_next_free_vgpr 129
		.amdhsa_next_free_sgpr 98
		.amdhsa_reserve_vcc 1
		.amdhsa_reserve_flat_scratch 0
		.amdhsa_float_round_mode_32 0
		.amdhsa_float_round_mode_16_64 0
		.amdhsa_float_denorm_mode_32 3
		.amdhsa_float_denorm_mode_16_64 3
		.amdhsa_dx10_clamp 1
		.amdhsa_ieee_mode 1
		.amdhsa_fp16_overflow 0
		.amdhsa_exception_fp_ieee_invalid_op 0
		.amdhsa_exception_fp_denorm_src 0
		.amdhsa_exception_fp_ieee_div_zero 0
		.amdhsa_exception_fp_ieee_overflow 0
		.amdhsa_exception_fp_ieee_underflow 0
		.amdhsa_exception_fp_ieee_inexact 0
		.amdhsa_exception_int_div_zero 0
	.end_amdhsa_kernel
	.section	.text._ZL8moe_q5_1IN3c104HalfELb0EEvPKvS3_PT_PKiS7_S7_iiiiiii,"axG",@progbits,_ZL8moe_q5_1IN3c104HalfELb0EEvPKvS3_PT_PKiS7_S7_iiiiiii,comdat
.Lfunc_end203:
	.size	_ZL8moe_q5_1IN3c104HalfELb0EEvPKvS3_PT_PKiS7_S7_iiiiiii, .Lfunc_end203-_ZL8moe_q5_1IN3c104HalfELb0EEvPKvS3_PT_PKiS7_S7_iiiiiii
                                        ; -- End function
	.set _ZL8moe_q5_1IN3c104HalfELb0EEvPKvS3_PT_PKiS7_S7_iiiiiii.num_vgpr, 122
	.set _ZL8moe_q5_1IN3c104HalfELb0EEvPKvS3_PT_PKiS7_S7_iiiiiii.num_agpr, 0
	.set _ZL8moe_q5_1IN3c104HalfELb0EEvPKvS3_PT_PKiS7_S7_iiiiiii.numbered_sgpr, 24
	.set _ZL8moe_q5_1IN3c104HalfELb0EEvPKvS3_PT_PKiS7_S7_iiiiiii.num_named_barrier, 0
	.set _ZL8moe_q5_1IN3c104HalfELb0EEvPKvS3_PT_PKiS7_S7_iiiiiii.private_seg_size, 0
	.set _ZL8moe_q5_1IN3c104HalfELb0EEvPKvS3_PT_PKiS7_S7_iiiiiii.uses_vcc, 1
	.set _ZL8moe_q5_1IN3c104HalfELb0EEvPKvS3_PT_PKiS7_S7_iiiiiii.uses_flat_scratch, 0
	.set _ZL8moe_q5_1IN3c104HalfELb0EEvPKvS3_PT_PKiS7_S7_iiiiiii.has_dyn_sized_stack, 0
	.set _ZL8moe_q5_1IN3c104HalfELb0EEvPKvS3_PT_PKiS7_S7_iiiiiii.has_recursion, 0
	.set _ZL8moe_q5_1IN3c104HalfELb0EEvPKvS3_PT_PKiS7_S7_iiiiiii.has_indirect_call, 0
	.section	.AMDGPU.csdata,"",@progbits
; Kernel info:
; codeLenInByte = 6396
; TotalNumSgprs: 28
; NumVgprs: 122
; ScratchSize: 0
; MemoryBound: 0
; FloatMode: 240
; IeeeMode: 1
; LDSByteSize: 38656 bytes/workgroup (compile time only)
; SGPRBlocks: 12
; VGPRBlocks: 32
; NumSGPRsForWavesPerEU: 102
; NumVGPRsForWavesPerEU: 129
; Occupancy: 1
; WaveLimiterHint : 1
; COMPUTE_PGM_RSRC2:SCRATCH_EN: 0
; COMPUTE_PGM_RSRC2:USER_SGPR: 6
; COMPUTE_PGM_RSRC2:TRAP_HANDLER: 0
; COMPUTE_PGM_RSRC2:TGID_X_EN: 1
; COMPUTE_PGM_RSRC2:TGID_Y_EN: 1
; COMPUTE_PGM_RSRC2:TGID_Z_EN: 0
; COMPUTE_PGM_RSRC2:TIDIG_COMP_CNT: 1
	.section	.text._ZL8moe_q5_1IN3c104HalfELb1EEvPKvS3_PT_PKiS7_S7_iiiiiii,"axG",@progbits,_ZL8moe_q5_1IN3c104HalfELb1EEvPKvS3_PT_PKiS7_S7_iiiiiii,comdat
	.globl	_ZL8moe_q5_1IN3c104HalfELb1EEvPKvS3_PT_PKiS7_S7_iiiiiii ; -- Begin function _ZL8moe_q5_1IN3c104HalfELb1EEvPKvS3_PT_PKiS7_S7_iiiiiii
	.p2align	8
	.type	_ZL8moe_q5_1IN3c104HalfELb1EEvPKvS3_PT_PKiS7_S7_iiiiiii,@function
_ZL8moe_q5_1IN3c104HalfELb1EEvPKvS3_PT_PKiS7_S7_iiiiiii: ; @_ZL8moe_q5_1IN3c104HalfELb1EEvPKvS3_PT_PKiS7_S7_iiiiiii
; %bb.0:
	s_load_dwordx4 s[0:3], s[4:5], 0x18
	s_mov_b32 s8, s7
	s_mov_b32 s9, 0
	s_lshl_b64 s[10:11], s[8:9], 2
	s_waitcnt lgkmcnt(0)
	s_add_u32 s2, s2, s10
	s_addc_u32 s3, s3, s11
	s_load_dword s2, s[2:3], 0x0
	s_waitcnt lgkmcnt(0)
	s_cmpk_gt_u32 s2, 0xff
	s_cbranch_scc1 .LBB204_30
; %bb.1:
	s_load_dwordx2 s[10:11], s[4:5], 0x28
	s_lshl_b32 s3, s8, 3
	s_waitcnt lgkmcnt(0)
	s_load_dword s7, s[10:11], 0x0
	s_waitcnt lgkmcnt(0)
	s_cmp_gt_u32 s3, s7
	s_cbranch_scc1 .LBB204_30
; %bb.2:
	v_add_u32_e32 v17, s3, v1
	v_mov_b32_e32 v18, 0
	v_lshlrev_b64 v[2:3], 2, v[17:18]
	v_mov_b32_e32 v4, s1
	v_add_co_u32_e32 v2, vcc, s0, v2
	v_addc_co_u32_e32 v3, vcc, v4, v3, vcc
	global_load_dword v23, v[2:3], off
	s_load_dwordx8 s[8:15], s[4:5], 0x30
	s_load_dwordx2 s[16:17], s[4:5], 0x10
	s_waitcnt lgkmcnt(0)
	s_lshl_b32 s15, s6, 7
	v_mov_b32_e32 v49, v18
	v_mov_b32_e32 v52, v18
	s_cmp_lt_i32 s9, 32
	v_mov_b32_e32 v24, v18
	s_cbranch_scc1 .LBB204_21
; %bb.3:
	s_ashr_i32 s0, s9, 31
	s_lshr_b32 s0, s0, 27
	s_load_dwordx4 s[4:7], s[4:5], 0x0
	s_add_i32 s0, s9, s0
	s_ashr_i32 s20, s0, 5
	s_ashr_i32 s0, s12, 31
	s_lshr_b32 s0, s0, 27
	s_add_i32 s0, s12, s0
	s_mul_i32 s2, s2, s8
	s_ashr_i32 s12, s0, 5
	s_ashr_i32 s0, s2, 31
	s_waitcnt lgkmcnt(0)
	s_add_u32 s1, s4, s2
	s_mul_i32 s2, s20, s15
	s_addc_u32 s0, s5, s0
	s_mul_hi_i32 s3, s2, 24
	s_mul_i32 s2, s2, 24
	s_add_u32 s8, s1, s2
	s_addc_u32 s21, s0, s3
	s_not_b32 s0, s15
	s_add_i32 s2, s10, s0
	v_lshlrev_b32_e32 v19, 2, v0
	v_min_i32_e32 v2, s2, v1
	v_lshlrev_b32_e32 v18, 3, v0
	s_movk_i32 s18, 0x104
	v_mul_lo_u32 v27, v2, s20
	v_mad_u64_u32 v[2:3], s[0:1], v2, s18, v[18:19]
	v_add_u32_e32 v3, 8, v1
	v_min_i32_e32 v3, s2, v3
	v_mul_lo_u32 v28, v3, s20
	v_mad_u64_u32 v[3:4], s[0:1], v3, s18, v[18:19]
	v_add_u32_e32 v4, 16, v1
	v_min_i32_e32 v4, s2, v4
	;; [unrolled: 4-line block ×15, first 2 shown]
	v_mul_lo_u32 v42, v17, s20
	v_mad_u64_u32 v[17:18], s[0:1], v17, s18, v[18:19]
	v_lshrrev_b32_e32 v44, 3, v0
	v_lshl_add_u32 v18, v1, 2, v44
	v_min_i32_e32 v20, s2, v18
	v_ashrrev_i32_e32 v21, 31, v20
	v_lshrrev_b32_e32 v21, 30, v21
	v_mul_lo_u32 v45, v20, s20
	v_add_u32_e32 v21, v20, v21
	v_lshlrev_b32_e32 v49, 5, v20
	v_add_u32_e32 v20, 32, v18
	v_min_i32_e32 v20, s2, v20
	v_ashrrev_i32_e32 v47, 31, v20
	v_lshrrev_b32_e32 v47, 30, v47
	v_mul_lo_u32 v46, v20, s20
	v_add_u32_e32 v47, v20, v47
	v_lshlrev_b32_e32 v68, 5, v20
	v_add_u32_e32 v20, 64, v18
	v_min_i32_e32 v20, s2, v20
	v_and_b32_e32 v43, 7, v0
	v_ashrrev_i32_e32 v48, 31, v20
	v_add_u32_e32 v18, 0x60, v18
	v_lshlrev_b32_e32 v22, 2, v43
	s_mov_b32 s0, 0x8200
	v_and_b32_e32 v47, -4, v47
	v_lshrrev_b32_e32 v48, 30, v48
	v_min_i32_e32 v18, s2, v18
	v_add3_u32 v52, v47, v22, s0
	v_mul_lo_u32 v47, v20, s20
	v_add_u32_e32 v48, v20, v48
	v_lshlrev_b32_e32 v70, 5, v20
	v_ashrrev_i32_e32 v20, 31, v18
	v_lshrrev_b32_e32 v20, 30, v20
	v_add_u32_e32 v20, v18, v20
	v_and_b32_e32 v21, -4, v21
	v_and_b32_e32 v48, -4, v48
	;; [unrolled: 1-line block ×3, first 2 shown]
	s_abs_i32 s2, s14
	v_add3_u32 v21, v21, v22, s0
	v_add3_u32 v69, v48, v22, s0
	;; [unrolled: 1-line block ×3, first 2 shown]
	v_cvt_f32_u32_e32 v20, s2
	s_sub_i32 s0, 0, s2
	v_mov_b32_e32 v50, 0x9280
	v_mov_b32_e32 v53, 0x9680
	v_rcp_iflag_f32_e32 v20, v20
	v_lshl_add_u32 v50, v1, 7, v50
	v_lshl_add_u32 v1, v1, 4, v53
	v_and_b32_e32 v26, 12, v19
	v_mul_f32_e32 v20, 0x4f7ffffe, v20
	v_cvt_u32_f32_e32 v20, v20
	v_and_b32_e32 v57, 28, v19
	v_add_u32_e32 v53, v1, v19
	s_waitcnt vmcnt(0)
	v_xor_b32_e32 v61, s14, v23
	v_mul_lo_u32 v54, s0, v20
	v_ashrrev_i32_e32 v61, 31, v61
	v_mul_lo_u32 v48, v18, s20
	v_add_u32_e32 v60, 32, v0
	v_mul_hi_u32 v19, v20, v54
	v_sub_u32_e32 v54, 0, v23
	v_max_i32_e32 v56, v23, v54
	v_add_u32_e32 v59, 64, v0
	v_add_u32_e32 v19, v20, v19
	v_mul_hi_u32 v19, v56, v19
	v_add_u32_e32 v58, 0x60, v0
	v_lshrrev_b32_e32 v55, 3, v60
	v_and_b32_e32 v58, 0x1fc, v58
	v_mul_lo_u32 v20, v19, s2
	v_and_b32_e32 v59, 0x1fc, v59
	v_and_b32_e32 v60, 0x1fc, v60
	;; [unrolled: 1-line block ×3, first 2 shown]
	v_sub_u32_e32 v20, v56, v20
	v_add_u32_e32 v56, 1, v19
	v_cmp_le_u32_e64 s[0:1], s2, v20
	v_cndmask_b32_e64 v19, v19, v56, s[0:1]
	v_subrev_u32_e32 v56, s2, v20
	v_cndmask_b32_e64 v20, v20, v56, s[0:1]
	v_add_u32_e32 v56, 1, v19
	v_cmp_le_u32_e64 s[0:1], s2, v20
	v_cndmask_b32_e64 v19, v19, v56, s[0:1]
	v_xor_b32_e32 v19, v19, v61
	v_sub_u32_e32 v19, v19, v61
	v_mul_lo_u32 v56, v19, s12
	v_lshlrev_b32_e32 v61, 5, v0
	v_lshlrev_b32_e32 v18, 5, v18
	v_and_b32_e32 v51, 31, v0
	v_cmp_gt_u32_e32 vcc, 4, v0
	v_cmp_gt_i32_e64 s[0:1], s11, v19
	v_mov_b32_e32 v20, s7
	v_add_co_u32_e64 v19, s[2:3], s6, v57
	v_add_u32_e32 v62, v61, v58
	v_add_u32_e32 v63, v61, v59
	;; [unrolled: 1-line block ×4, first 2 shown]
	v_mov_b32_e32 v66, 0x80
	v_lshrrev_b32_e32 v25, 2, v0
	v_mov_b32_e32 v24, 0
	v_lshl_or_b32 v51, v51, 2, v50
	v_mul_u32_u24_e32 v54, 0x104, v0
	s_mov_b32 s10, 0
	v_addc_co_u32_e64 v20, s[2:3], 0, v20, s[2:3]
	s_and_b64 s[4:5], vcc, s[0:1]
	v_ashrrev_i32_e32 v57, 31, v56
	v_add_u32_e32 v58, 0x8e00, v62
	v_add_u32_e32 v59, 0x8a00, v63
	;; [unrolled: 1-line block ×8, first 2 shown]
	v_mad_u32_u24 v66, v0, s18, v66
	v_add_u32_e32 v67, v21, v49
	v_add_u32_e32 v68, v52, v68
	;; [unrolled: 1-line block ×4, first 2 shown]
	v_mov_b32_e32 v52, 0
	v_mov_b32_e32 v49, 0
	;; [unrolled: 1-line block ×3, first 2 shown]
	s_branch .LBB204_5
.LBB204_4:                              ;   in Loop: Header=BB204_5 Depth=1
	s_add_i32 s10, s10, 8
	s_cmp_ge_i32 s10, s20
	s_cbranch_scc1 .LBB204_21
.LBB204_5:                              ; =>This Loop Header: Depth=1
                                        ;     Child Loop BB204_11 Depth 2
                                        ;     Child Loop BB204_19 Depth 2
	s_mul_i32 s3, s10, 24
	s_mul_hi_u32 s2, s10, 24
	s_add_u32 s18, s8, s3
	s_addc_u32 s19, s21, s2
	v_mad_u64_u32 v[21:22], s[2:3], v25, 24, s[18:19]
	v_mad_i64_i32 v[71:72], s[2:3], v27, 24, v[21:22]
	v_add_co_u32_e64 v73, s[2:3], v71, v26
	v_addc_co_u32_e64 v74, s[2:3], 0, v72, s[2:3]
	v_mad_i64_i32 v[77:78], s[2:3], v30, 24, v[21:22]
	v_mad_i64_i32 v[75:76], s[2:3], v29, 24, v[21:22]
	;; [unrolled: 1-line block ×3, first 2 shown]
	global_load_dword v87, v[73:74], off offset:8
	global_load_dword v88, v[77:78], off offset:4
	;; [unrolled: 1-line block ×5, first 2 shown]
	v_add_co_u32_e64 v71, s[2:3], v79, v26
	v_addc_co_u32_e64 v72, s[2:3], 0, v80, s[2:3]
	global_load_dword v92, v[71:72], off offset:8
	v_add_co_u32_e64 v71, s[2:3], v75, v26
	v_addc_co_u32_e64 v72, s[2:3], 0, v76, s[2:3]
	v_add_co_u32_e64 v73, s[2:3], v77, v26
	v_addc_co_u32_e64 v74, s[2:3], 0, v78, s[2:3]
	global_load_dword v93, v[71:72], off offset:8
	global_load_dword v94, v[73:74], off offset:8
	v_mad_i64_i32 v[71:72], s[2:3], v31, 24, v[21:22]
	v_mad_i64_i32 v[73:74], s[2:3], v32, 24, v[21:22]
	v_mad_i64_i32 v[75:76], s[2:3], v33, 24, v[21:22]
	v_mad_i64_i32 v[77:78], s[2:3], v34, 24, v[21:22]
	v_add_co_u32_e64 v79, s[2:3], v71, v26
	v_addc_co_u32_e64 v80, s[2:3], 0, v72, s[2:3]
	v_add_co_u32_e64 v81, s[2:3], v73, v26
	v_addc_co_u32_e64 v82, s[2:3], 0, v74, s[2:3]
	;; [unrolled: 2-line block ×4, first 2 shown]
	global_load_dword v95, v[79:80], off offset:8
	global_load_dword v96, v[81:82], off offset:8
	;; [unrolled: 1-line block ×8, first 2 shown]
	s_waitcnt vmcnt(15)
	v_lshrrev_b32_e32 v73, 4, v87
	v_and_b32_e32 v72, 0xf0f0f0f, v87
	v_and_b32_e32 v73, 0xf0f0f0f, v73
	s_waitcnt vmcnt(12)
	v_ashrrev_i32_e32 v74, v26, v90
	s_waitcnt vmcnt(11)
	v_ashrrev_i32_e32 v71, v26, v91
	v_lshlrev_b32_e32 v76, 4, v71
	v_lshlrev_b32_e32 v77, 11, v71
	v_lshrrev_b32_e32 v80, 12, v71
	v_lshrrev_b32_e32 v81, 5, v71
	v_lshlrev_b32_e32 v78, 18, v71
	v_lshlrev_b32_e32 v79, 25, v71
	;; [unrolled: 1-line block ×4, first 2 shown]
	v_and_b32_e32 v76, 16, v76
	v_and_b32_e32 v77, 0x1000, v77
	;; [unrolled: 1-line block ×8, first 2 shown]
	v_or3_b32 v72, v76, v72, v77
	v_or3_b32 v73, v80, v73, v81
	;; [unrolled: 1-line block ×4, first 2 shown]
	v_lshlrev_b32_e32 v83, 4, v74
	ds_write2_b32 v2, v72, v71 offset1:1
	v_lshlrev_b32_e32 v72, 11, v74
	s_waitcnt vmcnt(10)
	v_and_b32_e32 v75, 0xf0f0f0f, v92
	v_and_b32_e32 v71, 16, v83
	;; [unrolled: 1-line block ×3, first 2 shown]
	v_or3_b32 v71, v71, v75, v72
	v_lshlrev_b32_e32 v72, 18, v74
	v_lshlrev_b32_e32 v73, 25, v74
	v_and_b32_e32 v72, 0x100000, v72
	v_and_b32_e32 v73, 0x10000000, v73
	v_or3_b32 v71, v71, v72, v73
	v_lshrrev_b32_e32 v72, 4, v92
	v_lshrrev_b32_e32 v73, 12, v74
	;; [unrolled: 1-line block ×3, first 2 shown]
	v_and_b32_e32 v72, 0xf0f0f0f, v72
	v_and_b32_e32 v73, 16, v73
	;; [unrolled: 1-line block ×3, first 2 shown]
	v_or3_b32 v72, v73, v72, v75
	v_lshlrev_b32_e32 v73, 2, v74
	v_lshlrev_b32_e32 v74, 9, v74
	v_and_b32_e32 v73, 0x100000, v73
	v_and_b32_e32 v74, 0x10000000, v74
	v_or3_b32 v72, v72, v73, v74
	ds_write2_b32 v3, v71, v72 offset1:1
	v_ashrrev_i32_e32 v71, v26, v89
	v_lshlrev_b32_e32 v73, 4, v71
	v_lshlrev_b32_e32 v74, 11, v71
	s_waitcnt vmcnt(9)
	v_and_b32_e32 v72, 0xf0f0f0f, v93
	v_and_b32_e32 v73, 16, v73
	;; [unrolled: 1-line block ×3, first 2 shown]
	v_or3_b32 v72, v73, v72, v74
	v_lshlrev_b32_e32 v73, 18, v71
	v_lshlrev_b32_e32 v74, 25, v71
	v_and_b32_e32 v73, 0x100000, v73
	v_and_b32_e32 v74, 0x10000000, v74
	v_or3_b32 v72, v72, v73, v74
	v_lshrrev_b32_e32 v73, 4, v93
	v_lshrrev_b32_e32 v74, 12, v71
	;; [unrolled: 1-line block ×3, first 2 shown]
	v_and_b32_e32 v73, 0xf0f0f0f, v73
	v_and_b32_e32 v74, 16, v74
	;; [unrolled: 1-line block ×3, first 2 shown]
	v_or3_b32 v73, v74, v73, v75
	v_lshlrev_b32_e32 v74, 2, v71
	v_lshlrev_b32_e32 v71, 9, v71
	v_and_b32_e32 v74, 0x100000, v74
	v_and_b32_e32 v71, 0x10000000, v71
	v_or3_b32 v71, v73, v74, v71
	ds_write2_b32 v4, v72, v71 offset1:1
	v_ashrrev_i32_e32 v71, v26, v88
	v_lshlrev_b32_e32 v73, 4, v71
	v_lshlrev_b32_e32 v74, 11, v71
	s_waitcnt vmcnt(8)
	v_and_b32_e32 v72, 0xf0f0f0f, v94
	v_and_b32_e32 v73, 16, v73
	;; [unrolled: 1-line block ×3, first 2 shown]
	v_or3_b32 v72, v73, v72, v74
	v_lshlrev_b32_e32 v73, 18, v71
	v_lshlrev_b32_e32 v74, 25, v71
	v_and_b32_e32 v73, 0x100000, v73
	v_and_b32_e32 v74, 0x10000000, v74
	v_or3_b32 v72, v72, v73, v74
	v_lshrrev_b32_e32 v73, 4, v94
	v_lshrrev_b32_e32 v74, 12, v71
	;; [unrolled: 1-line block ×3, first 2 shown]
	v_and_b32_e32 v73, 0xf0f0f0f, v73
	v_and_b32_e32 v74, 16, v74
	;; [unrolled: 1-line block ×3, first 2 shown]
	v_or3_b32 v73, v74, v73, v75
	v_lshlrev_b32_e32 v74, 2, v71
	v_lshlrev_b32_e32 v71, 9, v71
	v_and_b32_e32 v74, 0x100000, v74
	v_and_b32_e32 v71, 0x10000000, v71
	v_or3_b32 v71, v73, v74, v71
	s_waitcnt vmcnt(0)
	v_ashrrev_i32_e32 v87, v26, v102
	ds_write2_b32 v5, v72, v71 offset1:1
	v_lshlrev_b32_e32 v72, 4, v87
	v_lshlrev_b32_e32 v73, 11, v87
	v_and_b32_e32 v71, 0xf0f0f0f, v95
	v_and_b32_e32 v72, 16, v72
	v_and_b32_e32 v73, 0x1000, v73
	v_or3_b32 v71, v72, v71, v73
	v_lshlrev_b32_e32 v72, 18, v87
	v_lshlrev_b32_e32 v73, 25, v87
	v_and_b32_e32 v72, 0x100000, v72
	v_and_b32_e32 v73, 0x10000000, v73
	v_or3_b32 v88, v71, v72, v73
	v_lshrrev_b32_e32 v71, 4, v95
	v_lshrrev_b32_e32 v72, 12, v87
	;; [unrolled: 1-line block ×3, first 2 shown]
	v_and_b32_e32 v71, 0xf0f0f0f, v71
	v_and_b32_e32 v72, 16, v72
	;; [unrolled: 1-line block ×3, first 2 shown]
	v_or3_b32 v89, v72, v71, v73
	v_lshlrev_b32_e32 v71, 2, v87
	v_and_b32_e32 v90, 0x100000, v71
	v_mad_i64_i32 v[71:72], s[2:3], v35, 24, v[21:22]
	v_mad_i64_i32 v[73:74], s[2:3], v36, 24, v[21:22]
	v_add_co_u32_e64 v75, s[2:3], v71, v26
	v_addc_co_u32_e64 v76, s[2:3], 0, v72, s[2:3]
	v_add_co_u32_e64 v77, s[2:3], v73, v26
	v_addc_co_u32_e64 v78, s[2:3], 0, v74, s[2:3]
	v_mad_i64_i32 v[79:80], s[2:3], v37, 24, v[21:22]
	v_mad_i64_i32 v[81:82], s[2:3], v38, 24, v[21:22]
	v_add_co_u32_e64 v83, s[2:3], v79, v26
	v_addc_co_u32_e64 v84, s[2:3], 0, v80, s[2:3]
	v_add_co_u32_e64 v85, s[2:3], v81, v26
	v_addc_co_u32_e64 v86, s[2:3], 0, v82, s[2:3]
	global_load_dword v91, v[75:76], off offset:8
	global_load_dword v92, v[77:78], off offset:8
	;; [unrolled: 1-line block ×8, first 2 shown]
	v_lshlrev_b32_e32 v71, 9, v87
	v_and_b32_e32 v71, 0x10000000, v71
	v_or3_b32 v71, v89, v90, v71
	ds_write2_b32 v6, v88, v71 offset1:1
	v_ashrrev_i32_e32 v71, v26, v101
	v_lshlrev_b32_e32 v73, 4, v71
	v_lshlrev_b32_e32 v74, 11, v71
	v_and_b32_e32 v72, 0xf0f0f0f, v96
	v_and_b32_e32 v73, 16, v73
	v_and_b32_e32 v74, 0x1000, v74
	v_or3_b32 v72, v73, v72, v74
	v_lshlrev_b32_e32 v73, 18, v71
	v_lshlrev_b32_e32 v74, 25, v71
	v_and_b32_e32 v73, 0x100000, v73
	v_and_b32_e32 v74, 0x10000000, v74
	v_or3_b32 v72, v72, v73, v74
	v_lshrrev_b32_e32 v73, 4, v96
	v_lshrrev_b32_e32 v74, 12, v71
	v_lshrrev_b32_e32 v75, 5, v71
	v_and_b32_e32 v73, 0xf0f0f0f, v73
	v_and_b32_e32 v74, 16, v74
	v_and_b32_e32 v75, 0x1000, v75
	v_or3_b32 v73, v74, v73, v75
	v_lshlrev_b32_e32 v74, 2, v71
	v_lshlrev_b32_e32 v71, 9, v71
	v_and_b32_e32 v74, 0x100000, v74
	v_and_b32_e32 v71, 0x10000000, v71
	v_or3_b32 v71, v73, v74, v71
	ds_write2_b32 v7, v72, v71 offset1:1
	v_ashrrev_i32_e32 v71, v26, v100
	v_lshlrev_b32_e32 v73, 4, v71
	v_lshlrev_b32_e32 v74, 11, v71
	v_and_b32_e32 v72, 0xf0f0f0f, v97
	v_and_b32_e32 v73, 16, v73
	v_and_b32_e32 v74, 0x1000, v74
	v_or3_b32 v72, v73, v72, v74
	v_lshlrev_b32_e32 v73, 18, v71
	v_lshlrev_b32_e32 v74, 25, v71
	v_and_b32_e32 v73, 0x100000, v73
	v_and_b32_e32 v74, 0x10000000, v74
	v_or3_b32 v72, v72, v73, v74
	v_lshrrev_b32_e32 v73, 4, v97
	v_lshrrev_b32_e32 v74, 12, v71
	v_lshrrev_b32_e32 v75, 5, v71
	v_and_b32_e32 v73, 0xf0f0f0f, v73
	v_and_b32_e32 v74, 16, v74
	v_and_b32_e32 v75, 0x1000, v75
	v_or3_b32 v73, v74, v73, v75
	v_lshlrev_b32_e32 v74, 2, v71
	v_lshlrev_b32_e32 v71, 9, v71
	v_and_b32_e32 v74, 0x100000, v74
	;; [unrolled: 25-line block ×3, first 2 shown]
	v_and_b32_e32 v71, 0x10000000, v71
	v_or3_b32 v71, v73, v74, v71
	ds_write2_b32 v9, v72, v71 offset1:1
	s_waitcnt vmcnt(0)
	v_ashrrev_i32_e32 v85, v26, v104
	v_lshlrev_b32_e32 v72, 4, v85
	v_lshlrev_b32_e32 v73, 11, v85
	v_and_b32_e32 v71, 0xf0f0f0f, v91
	v_and_b32_e32 v72, 16, v72
	;; [unrolled: 1-line block ×3, first 2 shown]
	v_or3_b32 v71, v72, v71, v73
	v_lshlrev_b32_e32 v72, 18, v85
	v_lshlrev_b32_e32 v73, 25, v85
	v_and_b32_e32 v72, 0x100000, v72
	v_and_b32_e32 v73, 0x10000000, v73
	v_or3_b32 v86, v71, v72, v73
	v_lshrrev_b32_e32 v71, 4, v91
	v_lshrrev_b32_e32 v72, 12, v85
	;; [unrolled: 1-line block ×3, first 2 shown]
	v_and_b32_e32 v71, 0xf0f0f0f, v71
	v_and_b32_e32 v72, 16, v72
	;; [unrolled: 1-line block ×3, first 2 shown]
	v_or3_b32 v87, v72, v71, v73
	v_lshlrev_b32_e32 v71, 2, v85
	v_and_b32_e32 v88, 0x100000, v71
	v_mad_i64_i32 v[71:72], s[2:3], v39, 24, v[21:22]
	v_mad_i64_i32 v[73:74], s[2:3], v40, 24, v[21:22]
	v_add_co_u32_e64 v75, s[2:3], v71, v26
	v_addc_co_u32_e64 v76, s[2:3], 0, v72, s[2:3]
	v_add_co_u32_e64 v77, s[2:3], v73, v26
	v_addc_co_u32_e64 v78, s[2:3], 0, v74, s[2:3]
	v_mad_i64_i32 v[79:80], s[2:3], v41, 24, v[21:22]
	v_mad_i64_i32 v[21:22], s[2:3], v42, 24, v[21:22]
	v_add_co_u32_e64 v81, s[2:3], v79, v26
	v_addc_co_u32_e64 v82, s[2:3], 0, v80, s[2:3]
	v_add_co_u32_e64 v83, s[2:3], v21, v26
	v_addc_co_u32_e64 v84, s[2:3], 0, v22, s[2:3]
	global_load_dword v89, v[75:76], off offset:8
	global_load_dword v90, v[77:78], off offset:8
	global_load_dword v91, v[81:82], off offset:8
	global_load_dword v96, v[83:84], off offset:8
	global_load_dword v97, v[21:22], off offset:4
	global_load_dword v98, v[79:80], off offset:4
	global_load_dword v99, v[73:74], off offset:4
	global_load_dword v100, v[71:72], off offset:4
	v_lshlrev_b32_e32 v21, 9, v85
	v_and_b32_e32 v21, 0x10000000, v21
	v_or3_b32 v21, v87, v88, v21
	ds_write2_b32 v10, v86, v21 offset1:1
	v_ashrrev_i32_e32 v21, v26, v103
	v_lshlrev_b32_e32 v71, 4, v21
	v_lshlrev_b32_e32 v72, 11, v21
	v_and_b32_e32 v22, 0xf0f0f0f, v92
	v_and_b32_e32 v71, 16, v71
	v_and_b32_e32 v72, 0x1000, v72
	v_or3_b32 v22, v71, v22, v72
	v_lshlrev_b32_e32 v71, 18, v21
	v_lshlrev_b32_e32 v72, 25, v21
	v_and_b32_e32 v71, 0x100000, v71
	v_and_b32_e32 v72, 0x10000000, v72
	v_or3_b32 v22, v22, v71, v72
	v_lshrrev_b32_e32 v71, 4, v92
	v_lshrrev_b32_e32 v72, 12, v21
	v_lshrrev_b32_e32 v73, 5, v21
	v_and_b32_e32 v71, 0xf0f0f0f, v71
	v_and_b32_e32 v72, 16, v72
	v_and_b32_e32 v73, 0x1000, v73
	v_or3_b32 v71, v72, v71, v73
	v_lshlrev_b32_e32 v72, 2, v21
	v_lshlrev_b32_e32 v21, 9, v21
	v_and_b32_e32 v72, 0x100000, v72
	v_and_b32_e32 v21, 0x10000000, v21
	v_or3_b32 v21, v71, v72, v21
	ds_write2_b32 v11, v22, v21 offset1:1
	v_ashrrev_i32_e32 v21, v26, v102
	v_lshlrev_b32_e32 v71, 4, v21
	v_lshlrev_b32_e32 v72, 11, v21
	v_and_b32_e32 v22, 0xf0f0f0f, v93
	v_and_b32_e32 v71, 16, v71
	v_and_b32_e32 v72, 0x1000, v72
	v_or3_b32 v22, v71, v22, v72
	v_lshlrev_b32_e32 v71, 18, v21
	v_lshlrev_b32_e32 v72, 25, v21
	v_and_b32_e32 v71, 0x100000, v71
	v_and_b32_e32 v72, 0x10000000, v72
	v_or3_b32 v22, v22, v71, v72
	v_lshrrev_b32_e32 v71, 4, v93
	v_lshrrev_b32_e32 v72, 12, v21
	v_lshrrev_b32_e32 v73, 5, v21
	v_and_b32_e32 v71, 0xf0f0f0f, v71
	v_and_b32_e32 v72, 16, v72
	v_and_b32_e32 v73, 0x1000, v73
	v_or3_b32 v71, v72, v71, v73
	v_lshlrev_b32_e32 v72, 2, v21
	v_lshlrev_b32_e32 v21, 9, v21
	v_and_b32_e32 v72, 0x100000, v72
	;; [unrolled: 25-line block ×3, first 2 shown]
	v_and_b32_e32 v21, 0x10000000, v21
	v_or3_b32 v21, v71, v72, v21
	ds_write2_b32 v13, v22, v21 offset1:1
	s_waitcnt vmcnt(0)
	v_ashrrev_i32_e32 v21, v26, v100
	v_lshlrev_b32_e32 v71, 4, v21
	v_lshlrev_b32_e32 v72, 11, v21
	v_and_b32_e32 v22, 0xf0f0f0f, v89
	v_and_b32_e32 v71, 16, v71
	v_and_b32_e32 v72, 0x1000, v72
	v_or3_b32 v22, v71, v22, v72
	v_lshlrev_b32_e32 v71, 18, v21
	v_lshlrev_b32_e32 v72, 25, v21
	v_and_b32_e32 v71, 0x100000, v71
	v_and_b32_e32 v72, 0x10000000, v72
	v_or3_b32 v77, v22, v71, v72
	v_lshrrev_b32_e32 v22, 4, v89
	v_lshrrev_b32_e32 v71, 12, v21
	;; [unrolled: 1-line block ×3, first 2 shown]
	v_and_b32_e32 v22, 0xf0f0f0f, v22
	v_and_b32_e32 v71, 16, v71
	;; [unrolled: 1-line block ×3, first 2 shown]
	v_or3_b32 v71, v71, v22, v72
	v_lshlrev_b32_e32 v22, 2, v21
	v_and_b32_e32 v72, 0x100000, v22
	v_lshlrev_b32_e32 v73, 9, v21
	v_mad_u64_u32 v[21:22], s[2:3], v43, 24, s[18:19]
	v_and_b32_e32 v73, 0x10000000, v73
	v_or3_b32 v78, v71, v72, v73
	v_mad_i64_i32 v[71:72], s[2:3], v45, 24, v[21:22]
	v_mad_i64_i32 v[73:74], s[2:3], v46, 24, v[21:22]
	;; [unrolled: 1-line block ×4, first 2 shown]
	global_load_dword v79, v[71:72], off
	global_load_dword v80, v[73:74], off
	;; [unrolled: 1-line block ×3, first 2 shown]
	v_ashrrev_i32_e32 v71, v26, v99
	global_load_dword v21, v[21:22], off
	v_lshlrev_b32_e32 v72, 4, v71
	v_lshlrev_b32_e32 v73, 11, v71
	v_and_b32_e32 v22, 0xf0f0f0f, v90
	v_and_b32_e32 v72, 16, v72
	v_and_b32_e32 v73, 0x1000, v73
	v_or3_b32 v22, v72, v22, v73
	v_lshlrev_b32_e32 v72, 18, v71
	v_lshlrev_b32_e32 v73, 25, v71
	v_and_b32_e32 v72, 0x100000, v72
	v_and_b32_e32 v73, 0x10000000, v73
	v_or3_b32 v22, v22, v72, v73
	v_lshrrev_b32_e32 v72, 4, v90
	v_lshrrev_b32_e32 v73, 12, v71
	;; [unrolled: 1-line block ×3, first 2 shown]
	v_and_b32_e32 v72, 0xf0f0f0f, v72
	v_and_b32_e32 v73, 16, v73
	;; [unrolled: 1-line block ×3, first 2 shown]
	v_or3_b32 v72, v73, v72, v74
	v_lshlrev_b32_e32 v73, 2, v71
	v_lshlrev_b32_e32 v71, 9, v71
	v_and_b32_e32 v73, 0x100000, v73
	v_and_b32_e32 v71, 0x10000000, v71
	v_or3_b32 v71, v72, v73, v71
	ds_write2_b32 v14, v77, v78 offset1:1
	ds_write2_b32 v15, v22, v71 offset1:1
	v_ashrrev_i32_e32 v22, v26, v98
	v_lshlrev_b32_e32 v72, 4, v22
	v_lshlrev_b32_e32 v73, 11, v22
	v_and_b32_e32 v71, 0xf0f0f0f, v91
	v_and_b32_e32 v72, 16, v72
	;; [unrolled: 1-line block ×3, first 2 shown]
	v_or3_b32 v71, v72, v71, v73
	v_lshlrev_b32_e32 v72, 18, v22
	v_lshlrev_b32_e32 v73, 25, v22
	v_and_b32_e32 v72, 0x100000, v72
	v_and_b32_e32 v73, 0x10000000, v73
	v_or3_b32 v71, v71, v72, v73
	v_lshrrev_b32_e32 v72, 4, v91
	v_lshrrev_b32_e32 v73, 12, v22
	;; [unrolled: 1-line block ×3, first 2 shown]
	v_and_b32_e32 v72, 0xf0f0f0f, v72
	v_and_b32_e32 v73, 16, v73
	;; [unrolled: 1-line block ×3, first 2 shown]
	v_or3_b32 v72, v73, v72, v74
	v_lshlrev_b32_e32 v73, 2, v22
	v_lshlrev_b32_e32 v22, 9, v22
	v_and_b32_e32 v73, 0x100000, v73
	v_and_b32_e32 v22, 0x10000000, v22
	v_or3_b32 v22, v72, v73, v22
	ds_write2_b32 v16, v71, v22 offset1:1
	v_ashrrev_i32_e32 v22, v26, v97
	v_lshlrev_b32_e32 v72, 4, v22
	v_lshlrev_b32_e32 v73, 11, v22
	v_and_b32_e32 v71, 0xf0f0f0f, v96
	v_and_b32_e32 v72, 16, v72
	;; [unrolled: 1-line block ×3, first 2 shown]
	v_or3_b32 v71, v72, v71, v73
	v_lshlrev_b32_e32 v72, 18, v22
	v_lshlrev_b32_e32 v73, 25, v22
	v_and_b32_e32 v72, 0x100000, v72
	v_and_b32_e32 v73, 0x10000000, v73
	v_or3_b32 v71, v71, v72, v73
	v_lshrrev_b32_e32 v72, 4, v96
	v_lshrrev_b32_e32 v73, 12, v22
	;; [unrolled: 1-line block ×3, first 2 shown]
	v_and_b32_e32 v72, 0xf0f0f0f, v72
	v_and_b32_e32 v73, 16, v73
	;; [unrolled: 1-line block ×3, first 2 shown]
	v_or3_b32 v72, v73, v72, v74
	v_lshlrev_b32_e32 v73, 2, v22
	v_lshlrev_b32_e32 v22, 9, v22
	v_and_b32_e32 v73, 0x100000, v73
	v_and_b32_e32 v22, 0x10000000, v22
	s_lshl_b32 s18, s10, 5
	v_or3_b32 v22, v72, v73, v22
	s_cmp_lt_i32 s18, s9
	ds_write2_b32 v17, v71, v22 offset1:1
	s_waitcnt vmcnt(3)
	ds_write_b32 v67, v79
	s_waitcnt vmcnt(2)
	ds_write_b32 v68, v80
	;; [unrolled: 2-line block ×4, first 2 shown]
	s_cbranch_scc0 .LBB204_4
; %bb.6:                                ;   in Loop: Header=BB204_5 Depth=1
	v_add_u32_e32 v21, s10, v44
	v_cmp_gt_i32_e64 s[2:3], s12, v21
	s_and_b64 s[22:23], s[0:1], s[2:3]
	s_and_saveexec_b64 s[2:3], s[22:23]
	s_cbranch_execz .LBB204_8
; %bb.7:                                ;   in Loop: Header=BB204_5 Depth=1
	v_add_u32_e32 v21, v56, v21
	v_mad_i64_i32 v[21:22], s[22:23], v21, 36, v[19:20]
	global_load_dword v21, v[21:22], off offset:4
	s_waitcnt vmcnt(0)
	ds_write_b32 v51, v21
.LBB204_8:                              ;   in Loop: Header=BB204_5 Depth=1
	s_or_b64 exec, exec, s[2:3]
	v_add_u32_e32 v21, s10, v0
	v_cmp_gt_i32_e64 s[2:3], s12, v21
	s_and_b64 s[22:23], s[4:5], s[2:3]
	s_and_saveexec_b64 s[2:3], s[22:23]
	s_cbranch_execz .LBB204_10
; %bb.9:                                ;   in Loop: Header=BB204_5 Depth=1
	v_add_u32_e32 v22, v56, v21
	v_mad_i64_i32 v[71:72], s[22:23], v22, 36, s[6:7]
	global_load_dword v22, v[71:72], off
	s_waitcnt vmcnt(0)
	ds_write_b32 v53, v22
.LBB204_10:                             ;   in Loop: Header=BB204_5 Depth=1
	s_or_b64 exec, exec, s[2:3]
	s_mov_b32 s2, -4
	v_mov_b32_e32 v22, v50
	v_mov_b32_e32 v71, v54
	v_mov_b32_e32 v72, v1
	v_mov_b32_e32 v73, v61
	v_mov_b32_e32 v74, v60
	v_mov_b32_e32 v75, v59
	v_mov_b32_e32 v76, v58
	s_waitcnt lgkmcnt(0)
	s_barrier
.LBB204_11:                             ;   Parent Loop BB204_5 Depth=1
                                        ; =>  This Inner Loop Header: Depth=2
	ds_read_b128 v[77:80], v22
	ds_read_b128 v[81:84], v22 offset:16
	ds_read2_b32 v[85:86], v71 offset1:1
	ds_read2_b32 v[87:88], v71 offset0:2 offset1:3
	ds_read2_b32 v[89:90], v71 offset0:4 offset1:5
	;; [unrolled: 1-line block ×3, first 2 shown]
	v_add_u32_e32 v93, 0x2080, v71
	v_add_u32_e32 v95, 0x2088, v71
	;; [unrolled: 1-line block ×12, first 2 shown]
	ds_read_b32 v117, v72
	ds_read_b32 v118, v73
	;; [unrolled: 1-line block ×5, first 2 shown]
	ds_read2_b32 v[93:94], v93 offset1:1
	ds_read2_b32 v[95:96], v95 offset1:1
	;; [unrolled: 1-line block ×12, first 2 shown]
	s_waitcnt lgkmcnt(14)
	v_dot4_i32_i8 v85, v85, v77, 0
	v_dot4_i32_i8 v85, v86, v81, v85
	s_waitcnt lgkmcnt(11)
	v_dot4_i32_i8 v86, v93, v77, 0
	s_waitcnt lgkmcnt(7)
	;; [unrolled: 2-line block ×3, first 2 shown]
	v_dot4_i32_i8 v77, v109, v77, 0
	v_dot4_i32_i8 v85, v87, v78, v85
	v_dot4_i32_i8 v86, v94, v81, v86
	v_dot4_i32_i8 v87, v102, v81, v93
	v_dot4_i32_i8 v77, v110, v81, v77
	v_dot4_i32_i8 v81, v88, v82, v85
	v_dot4_i32_i8 v85, v95, v78, v86
	v_dot4_i32_i8 v86, v103, v78, v87
	s_waitcnt lgkmcnt(2)
	v_dot4_i32_i8 v77, v111, v78, v77
	v_dot4_i32_i8 v78, v89, v79, v81
	v_dot4_i32_i8 v81, v96, v82, v85
	v_dot4_i32_i8 v85, v104, v82, v86
	v_dot4_i32_i8 v77, v112, v82, v77
	v_dot4_i32_i8 v78, v90, v83, v78
	v_dot4_i32_i8 v81, v97, v79, v81
	v_dot4_i32_i8 v82, v105, v79, v85
	s_waitcnt lgkmcnt(1)
	;; [unrolled: 9-line block ×3, first 2 shown]
	v_dot4_i32_i8 v77, v115, v80, v77
	v_cvt_f32_i32_e32 v78, v78
	v_dot4_i32_i8 v79, v100, v84, v79
	v_dot4_i32_i8 v80, v108, v84, v81
	;; [unrolled: 1-line block ×3, first 2 shown]
	v_cvt_f32_i32_e32 v79, v79
	v_cvt_f32_i32_e32 v80, v80
	v_cvt_f32_i32_e32 v77, v77
	v_pk_mul_f16 v118, v117, v118
	v_pk_mul_f16 v119, v117, v119
	;; [unrolled: 1-line block ×4, first 2 shown]
	v_fma_mix_f32 v78, v118, v78, v118 op_sel:[0,0,1] op_sel_hi:[1,0,1]
	s_add_i32 s2, s2, 4
	v_add_f32_e32 v24, v24, v78
	v_fma_mix_f32 v78, v119, v79, v119 op_sel:[0,0,1] op_sel_hi:[1,0,1]
	v_fma_mix_f32 v79, v120, v80, v120 op_sel:[0,0,1] op_sel_hi:[1,0,1]
	;; [unrolled: 1-line block ×3, first 2 shown]
	v_add_u32_e32 v76, 4, v76
	v_add_u32_e32 v75, 4, v75
	;; [unrolled: 1-line block ×7, first 2 shown]
	s_cmp_lt_u32 s2, 12
	v_add_f32_e32 v52, v52, v78
	v_add_f32_e32 v49, v49, v79
	;; [unrolled: 1-line block ×3, first 2 shown]
	s_cbranch_scc1 .LBB204_11
; %bb.12:                               ;   in Loop: Header=BB204_5 Depth=1
	s_bitset1_b32 s18, 7
	s_cmp_ge_i32 s18, s9
	s_barrier
	s_cbranch_scc1 .LBB204_4
; %bb.13:                               ;   in Loop: Header=BB204_5 Depth=1
	v_add_u32_e32 v22, s10, v55
	v_cmp_gt_i32_e64 s[2:3], s12, v22
	s_and_b64 s[18:19], s[0:1], s[2:3]
	s_and_saveexec_b64 s[2:3], s[18:19]
	s_cbranch_execz .LBB204_15
; %bb.14:                               ;   in Loop: Header=BB204_5 Depth=1
	v_add_u32_e32 v22, v56, v22
	v_mad_i64_i32 v[71:72], s[18:19], v22, 36, v[19:20]
	global_load_dword v22, v[71:72], off offset:4
	s_waitcnt vmcnt(0)
	ds_write_b32 v51, v22
.LBB204_15:                             ;   in Loop: Header=BB204_5 Depth=1
	s_or_b64 exec, exec, s[2:3]
	s_and_saveexec_b64 s[18:19], vcc
	s_cbranch_execz .LBB204_18
; %bb.16:                               ;   in Loop: Header=BB204_5 Depth=1
	v_or_b32_e32 v22, 4, v21
	v_cmp_gt_i32_e64 s[2:3], s12, v22
	s_and_b64 s[2:3], s[0:1], s[2:3]
	s_and_b64 exec, exec, s[2:3]
	s_cbranch_execz .LBB204_18
; %bb.17:                               ;   in Loop: Header=BB204_5 Depth=1
	v_ashrrev_i32_e32 v22, 31, v21
	v_add_co_u32_e64 v21, s[2:3], v56, v21
	v_addc_co_u32_e64 v71, s[2:3], v57, v22, s[2:3]
	v_mad_u64_u32 v[21:22], s[2:3], v21, 36, s[6:7]
	v_mad_i32_i24 v22, v71, 36, v22
	global_load_dword v21, v[21:22], off offset:144
	s_waitcnt vmcnt(0)
	ds_write_b32 v53, v21
.LBB204_18:                             ;   in Loop: Header=BB204_5 Depth=1
	s_or_b64 exec, exec, s[18:19]
	s_mov_b32 s2, 12
	v_mov_b32_e32 v21, v1
	v_mov_b32_e32 v22, v50
	;; [unrolled: 1-line block ×7, first 2 shown]
	s_waitcnt lgkmcnt(0)
	s_barrier
.LBB204_19:                             ;   Parent Loop BB204_5 Depth=1
                                        ; =>  This Inner Loop Header: Depth=2
	v_add_u32_e32 v92, 0x2080, v71
	v_add_u32_e32 v94, 0x2088, v71
	;; [unrolled: 1-line block ×12, first 2 shown]
	ds_read_b128 v[76:79], v22
	ds_read_b32 v116, v21
	ds_read_b128 v[80:83], v22 offset:16
	ds_read2_b32 v[84:85], v71 offset1:1
	ds_read_b32 v117, v72
	ds_read2_b32 v[86:87], v71 offset0:2 offset1:3
	ds_read2_b32 v[88:89], v71 offset0:4 offset1:5
	;; [unrolled: 1-line block ×3, first 2 shown]
	ds_read_b32 v118, v73
	ds_read_b32 v119, v74
	;; [unrolled: 1-line block ×3, first 2 shown]
	ds_read2_b32 v[92:93], v92 offset1:1
	ds_read2_b32 v[94:95], v94 offset1:1
	;; [unrolled: 1-line block ×12, first 2 shown]
	s_waitcnt lgkmcnt(14)
	v_dot4_i32_i8 v84, v84, v76, 0
	v_dot4_i32_i8 v84, v85, v80, v84
	s_waitcnt lgkmcnt(11)
	v_dot4_i32_i8 v85, v92, v76, 0
	s_waitcnt lgkmcnt(7)
	;; [unrolled: 2-line block ×3, first 2 shown]
	v_dot4_i32_i8 v76, v108, v76, 0
	v_dot4_i32_i8 v84, v86, v77, v84
	v_dot4_i32_i8 v85, v93, v80, v85
	v_dot4_i32_i8 v86, v101, v80, v92
	v_dot4_i32_i8 v76, v109, v80, v76
	v_dot4_i32_i8 v80, v87, v81, v84
	v_dot4_i32_i8 v84, v94, v77, v85
	v_dot4_i32_i8 v85, v102, v77, v86
	s_waitcnt lgkmcnt(2)
	v_dot4_i32_i8 v76, v110, v77, v76
	v_dot4_i32_i8 v77, v88, v78, v80
	v_dot4_i32_i8 v80, v95, v81, v84
	v_dot4_i32_i8 v84, v103, v81, v85
	v_dot4_i32_i8 v76, v111, v81, v76
	v_dot4_i32_i8 v77, v89, v82, v77
	v_dot4_i32_i8 v80, v96, v78, v80
	v_dot4_i32_i8 v81, v104, v78, v84
	s_waitcnt lgkmcnt(1)
	;; [unrolled: 9-line block ×3, first 2 shown]
	v_dot4_i32_i8 v76, v114, v79, v76
	v_cvt_f32_i32_e32 v77, v77
	v_dot4_i32_i8 v78, v99, v83, v78
	v_dot4_i32_i8 v79, v107, v83, v80
	v_dot4_i32_i8 v76, v115, v83, v76
	v_cvt_f32_i32_e32 v78, v78
	v_cvt_f32_i32_e32 v79, v79
	;; [unrolled: 1-line block ×3, first 2 shown]
	v_pk_mul_f16 v117, v116, v117
	v_pk_mul_f16 v118, v116, v118
	;; [unrolled: 1-line block ×4, first 2 shown]
	v_fma_mix_f32 v77, v117, v77, v117 op_sel:[0,0,1] op_sel_hi:[1,0,1]
	s_add_i32 s2, s2, 4
	v_add_f32_e32 v24, v24, v77
	v_fma_mix_f32 v77, v118, v78, v118 op_sel:[0,0,1] op_sel_hi:[1,0,1]
	v_fma_mix_f32 v78, v119, v79, v119 op_sel:[0,0,1] op_sel_hi:[1,0,1]
	;; [unrolled: 1-line block ×3, first 2 shown]
	v_add_u32_e32 v75, 4, v75
	v_add_u32_e32 v74, 4, v74
	;; [unrolled: 1-line block ×7, first 2 shown]
	s_cmp_lt_u32 s2, 28
	v_add_f32_e32 v52, v52, v77
	v_add_f32_e32 v49, v49, v78
	;; [unrolled: 1-line block ×3, first 2 shown]
	s_cbranch_scc1 .LBB204_19
; %bb.20:                               ;   in Loop: Header=BB204_5 Depth=1
	s_barrier
	s_branch .LBB204_4
.LBB204_21:
	s_mul_i32 s0, s14, s11
	s_waitcnt vmcnt(0)
	v_cmp_gt_i32_e32 vcc, s0, v23
	s_and_saveexec_b64 s[0:1], vcc
	s_cbranch_execz .LBB204_30
; %bb.22:
	v_mul_lo_u32 v1, v23, s13
	v_add_u32_e32 v0, s15, v0
	v_cmp_gt_u32_e32 vcc, s13, v0
	s_and_saveexec_b64 s[0:1], vcc
	s_cbranch_execz .LBB204_24
; %bb.23:
	v_add_u32_e32 v2, v1, v0
	v_mov_b32_e32 v3, 0
	v_lshlrev_b64 v[2:3], 1, v[2:3]
	v_cvt_f16_f32_e32 v5, v24
	v_mov_b32_e32 v4, s17
	v_add_co_u32_e32 v2, vcc, s16, v2
	v_addc_co_u32_e32 v3, vcc, v4, v3, vcc
	global_store_short v[2:3], v5, off
.LBB204_24:
	s_or_b64 exec, exec, s[0:1]
	v_add_u32_e32 v2, 32, v0
	v_cmp_gt_u32_e32 vcc, s13, v2
	s_and_saveexec_b64 s[0:1], vcc
	s_cbranch_execz .LBB204_26
; %bb.25:
	v_add_u32_e32 v2, v1, v2
	v_mov_b32_e32 v3, 0
	v_lshlrev_b64 v[2:3], 1, v[2:3]
	v_cvt_f16_f32_e32 v5, v52
	v_mov_b32_e32 v4, s17
	v_add_co_u32_e32 v2, vcc, s16, v2
	v_addc_co_u32_e32 v3, vcc, v4, v3, vcc
	global_store_short v[2:3], v5, off
.LBB204_26:
	s_or_b64 exec, exec, s[0:1]
	;; [unrolled: 15-line block ×3, first 2 shown]
	v_add_u32_e32 v0, 0x60, v0
	v_cmp_gt_u32_e32 vcc, s13, v0
	s_and_b64 exec, exec, vcc
	s_cbranch_execz .LBB204_30
; %bb.29:
	v_add_u32_e32 v0, v1, v0
	v_mov_b32_e32 v1, 0
	v_lshlrev_b64 v[0:1], 1, v[0:1]
	v_cvt_f16_f32_e32 v3, v18
	v_mov_b32_e32 v2, s17
	v_add_co_u32_e32 v0, vcc, s16, v0
	v_addc_co_u32_e32 v1, vcc, v2, v1, vcc
	global_store_short v[0:1], v3, off
.LBB204_30:
	s_endpgm
	.section	.rodata,"a",@progbits
	.p2align	6, 0x0
	.amdhsa_kernel _ZL8moe_q5_1IN3c104HalfELb1EEvPKvS3_PT_PKiS7_S7_iiiiiii
		.amdhsa_group_segment_fixed_size 38656
		.amdhsa_private_segment_fixed_size 0
		.amdhsa_kernarg_size 76
		.amdhsa_user_sgpr_count 6
		.amdhsa_user_sgpr_private_segment_buffer 1
		.amdhsa_user_sgpr_dispatch_ptr 0
		.amdhsa_user_sgpr_queue_ptr 0
		.amdhsa_user_sgpr_kernarg_segment_ptr 1
		.amdhsa_user_sgpr_dispatch_id 0
		.amdhsa_user_sgpr_flat_scratch_init 0
		.amdhsa_user_sgpr_private_segment_size 0
		.amdhsa_uses_dynamic_stack 0
		.amdhsa_system_sgpr_private_segment_wavefront_offset 0
		.amdhsa_system_sgpr_workgroup_id_x 1
		.amdhsa_system_sgpr_workgroup_id_y 1
		.amdhsa_system_sgpr_workgroup_id_z 0
		.amdhsa_system_sgpr_workgroup_info 0
		.amdhsa_system_vgpr_workitem_id 1
		.amdhsa_next_free_vgpr 129
		.amdhsa_next_free_sgpr 98
		.amdhsa_reserve_vcc 1
		.amdhsa_reserve_flat_scratch 0
		.amdhsa_float_round_mode_32 0
		.amdhsa_float_round_mode_16_64 0
		.amdhsa_float_denorm_mode_32 3
		.amdhsa_float_denorm_mode_16_64 3
		.amdhsa_dx10_clamp 1
		.amdhsa_ieee_mode 1
		.amdhsa_fp16_overflow 0
		.amdhsa_exception_fp_ieee_invalid_op 0
		.amdhsa_exception_fp_denorm_src 0
		.amdhsa_exception_fp_ieee_div_zero 0
		.amdhsa_exception_fp_ieee_overflow 0
		.amdhsa_exception_fp_ieee_underflow 0
		.amdhsa_exception_fp_ieee_inexact 0
		.amdhsa_exception_int_div_zero 0
	.end_amdhsa_kernel
	.section	.text._ZL8moe_q5_1IN3c104HalfELb1EEvPKvS3_PT_PKiS7_S7_iiiiiii,"axG",@progbits,_ZL8moe_q5_1IN3c104HalfELb1EEvPKvS3_PT_PKiS7_S7_iiiiiii,comdat
.Lfunc_end204:
	.size	_ZL8moe_q5_1IN3c104HalfELb1EEvPKvS3_PT_PKiS7_S7_iiiiiii, .Lfunc_end204-_ZL8moe_q5_1IN3c104HalfELb1EEvPKvS3_PT_PKiS7_S7_iiiiiii
                                        ; -- End function
	.set _ZL8moe_q5_1IN3c104HalfELb1EEvPKvS3_PT_PKiS7_S7_iiiiiii.num_vgpr, 122
	.set _ZL8moe_q5_1IN3c104HalfELb1EEvPKvS3_PT_PKiS7_S7_iiiiiii.num_agpr, 0
	.set _ZL8moe_q5_1IN3c104HalfELb1EEvPKvS3_PT_PKiS7_S7_iiiiiii.numbered_sgpr, 24
	.set _ZL8moe_q5_1IN3c104HalfELb1EEvPKvS3_PT_PKiS7_S7_iiiiiii.num_named_barrier, 0
	.set _ZL8moe_q5_1IN3c104HalfELb1EEvPKvS3_PT_PKiS7_S7_iiiiiii.private_seg_size, 0
	.set _ZL8moe_q5_1IN3c104HalfELb1EEvPKvS3_PT_PKiS7_S7_iiiiiii.uses_vcc, 1
	.set _ZL8moe_q5_1IN3c104HalfELb1EEvPKvS3_PT_PKiS7_S7_iiiiiii.uses_flat_scratch, 0
	.set _ZL8moe_q5_1IN3c104HalfELb1EEvPKvS3_PT_PKiS7_S7_iiiiiii.has_dyn_sized_stack, 0
	.set _ZL8moe_q5_1IN3c104HalfELb1EEvPKvS3_PT_PKiS7_S7_iiiiiii.has_recursion, 0
	.set _ZL8moe_q5_1IN3c104HalfELb1EEvPKvS3_PT_PKiS7_S7_iiiiiii.has_indirect_call, 0
	.section	.AMDGPU.csdata,"",@progbits
; Kernel info:
; codeLenInByte = 6660
; TotalNumSgprs: 28
; NumVgprs: 122
; ScratchSize: 0
; MemoryBound: 0
; FloatMode: 240
; IeeeMode: 1
; LDSByteSize: 38656 bytes/workgroup (compile time only)
; SGPRBlocks: 12
; VGPRBlocks: 32
; NumSGPRsForWavesPerEU: 102
; NumVGPRsForWavesPerEU: 129
; Occupancy: 1
; WaveLimiterHint : 1
; COMPUTE_PGM_RSRC2:SCRATCH_EN: 0
; COMPUTE_PGM_RSRC2:USER_SGPR: 6
; COMPUTE_PGM_RSRC2:TRAP_HANDLER: 0
; COMPUTE_PGM_RSRC2:TGID_X_EN: 1
; COMPUTE_PGM_RSRC2:TGID_Y_EN: 1
; COMPUTE_PGM_RSRC2:TGID_Z_EN: 0
; COMPUTE_PGM_RSRC2:TIDIG_COMP_CNT: 1
	.section	.text._ZL8moe_q8_0IN3c104HalfELb0EEvPKvS3_PT_PKiS7_S7_iiiiiii,"axG",@progbits,_ZL8moe_q8_0IN3c104HalfELb0EEvPKvS3_PT_PKiS7_S7_iiiiiii,comdat
	.globl	_ZL8moe_q8_0IN3c104HalfELb0EEvPKvS3_PT_PKiS7_S7_iiiiiii ; -- Begin function _ZL8moe_q8_0IN3c104HalfELb0EEvPKvS3_PT_PKiS7_S7_iiiiiii
	.p2align	8
	.type	_ZL8moe_q8_0IN3c104HalfELb0EEvPKvS3_PT_PKiS7_S7_iiiiiii,@function
_ZL8moe_q8_0IN3c104HalfELb0EEvPKvS3_PT_PKiS7_S7_iiiiiii: ; @_ZL8moe_q8_0IN3c104HalfELb0EEvPKvS3_PT_PKiS7_S7_iiiiiii
; %bb.0:
	s_load_dwordx4 s[0:3], s[4:5], 0x18
	s_mov_b32 s8, s7
	s_mov_b32 s9, 0
	s_lshl_b64 s[10:11], s[8:9], 2
	s_waitcnt lgkmcnt(0)
	s_add_u32 s2, s2, s10
	s_addc_u32 s3, s3, s11
	s_load_dword s2, s[2:3], 0x0
	s_waitcnt lgkmcnt(0)
	s_cmpk_gt_u32 s2, 0xff
	s_cbranch_scc1 .LBB205_22
; %bb.1:
	s_load_dwordx2 s[10:11], s[4:5], 0x28
	s_lshl_b32 s3, s8, 3
	s_waitcnt lgkmcnt(0)
	s_load_dword s7, s[10:11], 0x0
	s_waitcnt lgkmcnt(0)
	s_cmp_gt_u32 s3, s7
	s_cbranch_scc1 .LBB205_22
; %bb.2:
	v_add_u32_e32 v2, s3, v1
	v_mov_b32_e32 v3, 0
	v_lshlrev_b64 v[4:5], 2, v[2:3]
	v_mov_b32_e32 v2, s1
	v_add_co_u32_e32 v4, vcc, s0, v4
	v_addc_co_u32_e32 v5, vcc, v2, v5, vcc
	global_load_dword v4, v[4:5], off
	s_load_dwordx2 s[14:15], s[4:5], 0x30
	s_load_dwordx2 s[12:13], s[4:5], 0x10
	s_load_dwordx4 s[8:11], s[4:5], 0x3c
	s_lshl_b32 s16, s6, 7
	v_mov_b32_e32 v43, v3
	s_waitcnt lgkmcnt(0)
	s_cmp_lt_i32 s15, 32
	v_mov_b32_e32 v44, v3
	v_mov_b32_e32 v5, v3
	s_cbranch_scc1 .LBB205_13
; %bb.3:
	s_ashr_i32 s0, s15, 31
	s_lshr_b32 s0, s0, 27
	s_load_dwordx4 s[4:7], s[4:5], 0x0
	s_add_i32 s0, s15, s0
	s_ashr_i32 s17, s0, 5
	s_ashr_i32 s0, s9, 31
	s_lshr_b32 s0, s0, 27
	s_add_i32 s0, s9, s0
	s_mul_i32 s2, s2, s14
	s_ashr_i32 s9, s0, 5
	s_ashr_i32 s0, s2, 31
	s_waitcnt lgkmcnt(0)
	s_add_u32 s1, s4, s2
	s_mul_i32 s2, s17, s16
	s_addc_u32 s0, s5, s0
	s_mul_hi_i32 s3, s2, 34
	s_mul_i32 s2, s2, 34
	v_mul_lo_u32 v8, s17, v1
	s_add_u32 s14, s1, s2
	s_addc_u32 s18, s0, s3
	v_lshlrev_b32_e32 v2, 2, v0
	s_movk_i32 s0, 0x84
	v_mad_u32_u24 v9, v1, s0, v2
	s_lshl_b32 s0, s17, 3
	v_add_u32_e32 v10, s0, v8
	v_add_u32_e32 v12, s0, v10
	s_abs_i32 s2, s11
	v_add_u32_e32 v14, s0, v12
	v_cvt_f32_u32_e32 v45, s2
	v_add_u32_e32 v16, s0, v14
	v_add_u32_e32 v18, s0, v16
	;; [unrolled: 1-line block ×4, first 2 shown]
	v_rcp_iflag_f32_e32 v45, v45
	v_add_u32_e32 v24, s0, v22
	v_add_u32_e32 v26, s0, v24
	;; [unrolled: 1-line block ×4, first 2 shown]
	v_mul_f32_e32 v45, 0x4f7ffffe, v45
	v_add_u32_e32 v32, s0, v30
	v_cvt_u32_f32_e32 v47, v45
	v_add_u32_e32 v34, s0, v32
	v_add_u32_e32 v36, s0, v34
	;; [unrolled: 1-line block ×3, first 2 shown]
	s_sub_i32 s0, 0, s2
	v_mul_lo_u32 v48, s0, v47
	v_lshlrev_b32_e32 v3, 3, v1
	v_lshrrev_b32_e32 v42, 2, v0
	v_add_u32_e32 v43, v42, v3
	v_mov_b32_e32 v45, 0x4a40
	v_mul_lo_u32 v41, s17, v43
	v_add_u16_e32 v3, v42, v3
	v_lshlrev_b32_e32 v54, 4, v43
	v_add_u32_e32 v43, 64, v43
	v_lshl_add_u32 v45, v1, 7, v45
	v_lshlrev_b32_e32 v57, 4, v1
	v_mul_hi_u32 v1, v47, v48
	v_and_b32_e32 v40, 3, v0
	v_lshrrev_b16_e32 v3, 1, v3
	v_lshrrev_b32_e32 v46, 1, v43
	v_and_b32_e32 v7, 28, v2
	v_and_b32_e32 v3, 0x7fc, v3
	v_lshlrev_b32_e32 v44, 2, v40
	s_movk_i32 s4, 0x4200
	v_and_b32_e32 v46, 0xffc, v46
	v_add_u32_e32 v56, 0x4e40, v2
	v_and_b32_e32 v2, 31, v0
	v_add3_u32 v3, v3, v44, s4
	v_add3_u32 v44, v46, v44, s4
	v_lshl_add_u32 v46, v2, 2, v45
	s_waitcnt vmcnt(0)
	v_sub_u32_e32 v2, 0, v4
	v_max_i32_e32 v2, v4, v2
	v_add_u32_e32 v1, v47, v1
	v_mul_hi_u32 v1, v2, v1
	v_xor_b32_e32 v52, s11, v4
	v_ashrrev_i32_e32 v52, 31, v52
	v_add_u32_e32 v49, 0x60, v0
	v_mul_lo_u32 v48, v1, s2
	v_cmp_gt_u32_e64 s[0:1], 4, v0
	v_add_u32_e32 v50, 64, v0
	v_lshrrev_b32_e32 v49, 1, v49
	v_sub_u32_e32 v2, v2, v48
	v_add_u32_e32 v48, 1, v1
	v_cmp_le_u32_e32 vcc, s2, v2
	v_cndmask_b32_e32 v1, v1, v48, vcc
	v_subrev_u32_e32 v48, s2, v2
	v_cndmask_b32_e32 v2, v2, v48, vcc
	v_add_u32_e32 v48, 1, v1
	v_cmp_le_u32_e32 vcc, s2, v2
	v_cndmask_b32_e32 v1, v1, v48, vcc
	v_xor_b32_e32 v1, v1, v52
	v_sub_u32_e32 v1, v1, v52
	v_cmp_gt_i32_e32 vcc, s8, v1
	v_mul_lo_u32 v48, v1, s9
	v_mov_b32_e32 v2, s7
	v_add_co_u32_e64 v1, s[2:3], s6, v7
	v_addc_co_u32_e64 v2, s[2:3], 0, v2, s[2:3]
	v_add_u32_e32 v51, 32, v0
	s_and_b64 s[2:3], s[0:1], vcc
	v_lshlrev_b32_e32 v52, 4, v0
	v_and_b32_e32 v49, 0xfc, v49
	s_movk_i32 s0, 0x4800
	v_lshrrev_b32_e32 v50, 1, v50
	v_lshrrev_b32_e32 v6, 3, v0
	v_add3_u32 v49, v52, v49, s0
	v_and_b32_e32 v50, 0xfc, v50
	s_movk_i32 s0, 0x4600
	v_lshrrev_b32_e32 v51, 1, v51
	v_lshlrev_b32_e32 v43, 4, v43
	v_add3_u32 v50, v52, v50, s0
	v_and_b32_e32 v51, 0xfc, v51
	s_movk_i32 s0, 0x4400
	v_lshlrev_b32_e32 v53, 2, v6
	v_mov_b32_e32 v5, 0
	v_add_u32_e32 v11, 0x420, v9
	v_add_u32_e32 v13, 0x840, v9
	;; [unrolled: 1-line block ×15, first 2 shown]
	v_lshl_add_u32 v42, s17, 6, v41
	v_mul_u32_u24_e32 v47, 0x84, v0
	s_mov_b32 s19, 0
	v_add3_u32 v51, v52, v51, s0
	v_add3_u32 v52, v52, v53, s4
	v_add_u32_e32 v53, 0x4e40, v57
	v_add_u32_e32 v54, v3, v54
	;; [unrolled: 1-line block ×4, first 2 shown]
	v_mov_b32_e32 v44, 0
	v_mov_b32_e32 v43, 0
	;; [unrolled: 1-line block ×3, first 2 shown]
	s_branch .LBB205_5
.LBB205_4:                              ;   in Loop: Header=BB205_5 Depth=1
	s_add_i32 s19, s19, 4
	s_cmp_ge_i32 s19, s17
	s_cbranch_scc1 .LBB205_13
.LBB205_5:                              ; =>This Loop Header: Depth=1
                                        ;     Child Loop BB205_11 Depth 2
	s_mul_i32 s1, s19, 34
	s_mul_hi_u32 s0, s19, 34
	s_add_u32 s4, s14, s1
	s_addc_u32 s5, s18, s0
	v_mad_u64_u32 v[57:58], s[0:1], v6, 34, s[4:5]
	v_mad_u64_u32 v[59:60], s[0:1], v8, 34, v[57:58]
	;; [unrolled: 1-line block ×3, first 2 shown]
	v_add_co_u32_e64 v59, s[0:1], v59, v7
	v_addc_co_u32_e64 v60, s[0:1], 0, v60, s[0:1]
	v_add_co_u32_e64 v61, s[0:1], v61, v7
	v_addc_co_u32_e64 v62, s[0:1], 0, v62, s[0:1]
	v_mad_u64_u32 v[63:64], s[0:1], v12, 34, v[57:58]
	v_mad_u64_u32 v[65:66], s[0:1], v14, 34, v[57:58]
	v_add_co_u32_e64 v63, s[0:1], v63, v7
	v_addc_co_u32_e64 v64, s[0:1], 0, v64, s[0:1]
	v_add_co_u32_e64 v65, s[0:1], v65, v7
	v_addc_co_u32_e64 v66, s[0:1], 0, v66, s[0:1]
	v_mad_u64_u32 v[67:68], s[0:1], v16, 34, v[57:58]
	v_mad_u64_u32 v[69:70], s[0:1], v18, 34, v[57:58]
	;; [unrolled: 6-line block ×3, first 2 shown]
	v_add_co_u32_e64 v71, s[0:1], v71, v7
	v_addc_co_u32_e64 v72, s[0:1], 0, v72, s[0:1]
	v_add_co_u32_e64 v73, s[0:1], v73, v7
	v_addc_co_u32_e64 v74, s[0:1], 0, v74, s[0:1]
	global_load_dword v75, v[59:60], off offset:2
	global_load_dword v76, v[61:62], off offset:2
	global_load_dword v77, v[63:64], off offset:2
	global_load_dword v78, v[65:66], off offset:2
	global_load_dword v79, v[67:68], off offset:2
	global_load_dword v80, v[69:70], off offset:2
	global_load_dword v81, v[71:72], off offset:2
	s_nop 0
	global_load_dword v73, v[73:74], off offset:2
	v_mad_u64_u32 v[59:60], s[0:1], v24, 34, v[57:58]
	v_mad_u64_u32 v[61:62], s[0:1], v26, 34, v[57:58]
	v_add_co_u32_e64 v59, s[0:1], v59, v7
	v_addc_co_u32_e64 v60, s[0:1], 0, v60, s[0:1]
	v_add_co_u32_e64 v61, s[0:1], v61, v7
	v_addc_co_u32_e64 v62, s[0:1], 0, v62, s[0:1]
	v_mad_u64_u32 v[63:64], s[0:1], v28, 34, v[57:58]
	v_mad_u64_u32 v[65:66], s[0:1], v30, 34, v[57:58]
	v_add_co_u32_e64 v63, s[0:1], v63, v7
	v_addc_co_u32_e64 v64, s[0:1], 0, v64, s[0:1]
	v_add_co_u32_e64 v65, s[0:1], v65, v7
	v_addc_co_u32_e64 v66, s[0:1], 0, v66, s[0:1]
	;; [unrolled: 6-line block ×3, first 2 shown]
	v_mad_u64_u32 v[71:72], s[0:1], v36, 34, v[57:58]
	global_load_dword v74, v[59:60], off offset:2
	global_load_dword v82, v[61:62], off offset:2
	;; [unrolled: 1-line block ×3, first 2 shown]
	s_nop 0
	global_load_dword v65, v[65:66], off offset:2
	s_nop 0
	global_load_dword v66, v[67:68], off offset:2
	s_nop 0
	global_load_dword v67, v[69:70], off offset:2
	v_add_co_u32_e64 v59, s[0:1], v71, v7
	v_addc_co_u32_e64 v60, s[0:1], 0, v72, s[0:1]
	v_mad_u64_u32 v[61:62], s[0:1], v40, 34, s[4:5]
	v_mad_u64_u32 v[57:58], s[0:1], v38, 34, v[57:58]
	;; [unrolled: 1-line block ×3, first 2 shown]
	v_add_co_u32_e64 v57, s[0:1], v57, v7
	v_addc_co_u32_e64 v58, s[0:1], 0, v58, s[0:1]
	v_mad_u64_u32 v[61:62], s[0:1], v42, 34, v[61:62]
	global_load_ushort v63, v[63:64], off
	s_nop 0
	global_load_dword v59, v[59:60], off offset:2
	s_nop 0
	global_load_dword v57, v[57:58], off offset:2
	s_nop 0
	global_load_ushort v58, v[61:62], off
	s_lshl_b32 s0, s19, 5
	s_cmp_ge_i32 s0, s15
	s_waitcnt vmcnt(17)
	ds_write_b32 v9, v75
	s_waitcnt vmcnt(16)
	ds_write_b32 v11, v76
	;; [unrolled: 2-line block ×16, first 2 shown]
	v_cvt_f32_f16_e32 v60, v63
	s_waitcnt vmcnt(0)
	v_cvt_f32_f16_e32 v57, v58
	ds_write_b32 v54, v60
	ds_write_b32 v55, v57
	s_cbranch_scc1 .LBB205_4
; %bb.6:                                ;   in Loop: Header=BB205_5 Depth=1
	v_add_u32_e32 v57, s19, v6
	v_cmp_gt_i32_e64 s[0:1], s9, v57
	s_and_b64 s[4:5], vcc, s[0:1]
	s_and_saveexec_b64 s[0:1], s[4:5]
	s_cbranch_execz .LBB205_8
; %bb.7:                                ;   in Loop: Header=BB205_5 Depth=1
	v_add_u32_e32 v57, v48, v57
	v_mad_i64_i32 v[57:58], s[4:5], v57, 36, v[1:2]
	global_load_dword v57, v[57:58], off offset:4
	s_waitcnt vmcnt(0)
	ds_write_b32 v46, v57
.LBB205_8:                              ;   in Loop: Header=BB205_5 Depth=1
	s_or_b64 exec, exec, s[0:1]
	v_or_b32_e32 v57, s19, v0
	v_cmp_gt_i32_e64 s[0:1], s9, v57
	s_and_b64 s[4:5], s[2:3], s[0:1]
	s_and_saveexec_b64 s[0:1], s[4:5]
	s_cbranch_execz .LBB205_10
; %bb.9:                                ;   in Loop: Header=BB205_5 Depth=1
	v_add_u32_e32 v57, v48, v57
	v_mad_i64_i32 v[57:58], s[4:5], v57, 36, s[6:7]
	global_load_dword v57, v[57:58], off
	s_waitcnt vmcnt(0)
	v_cvt_f32_f16_e32 v57, v57
	ds_write_b32 v56, v57
.LBB205_10:                             ;   in Loop: Header=BB205_5 Depth=1
	s_or_b64 exec, exec, s[0:1]
	s_mov_b32 s0, -8
	v_mov_b32_e32 v57, v45
	v_mov_b32_e32 v58, v53
	;; [unrolled: 1-line block ×7, first 2 shown]
	s_waitcnt lgkmcnt(0)
	s_barrier
.LBB205_11:                             ;   Parent Loop BB205_5 Depth=1
                                        ; =>  This Inner Loop Header: Depth=2
	ds_read_b32 v74, v58
	ds_read_b128 v[64:67], v57
	ds_read_b128 v[68:71], v57 offset:16
	ds_read_b32 v75, v59
	ds_read2_b32 v[72:73], v63 offset1:1
	s_add_i32 s0, s0, 8
	v_add_u32_e32 v59, 4, v59
	v_add_u32_e32 v58, 4, v58
	;; [unrolled: 1-line block ×3, first 2 shown]
	s_waitcnt lgkmcnt(0)
	v_dot4_i32_i8 v72, v72, v64, 0
	v_dot4_i32_i8 v76, v73, v65, v72
	ds_read2_b32 v[72:73], v63 offset0:2 offset1:3
	s_cmp_lt_u32 s0, 24
	s_waitcnt lgkmcnt(0)
	v_dot4_i32_i8 v72, v72, v66, v76
	v_dot4_i32_i8 v76, v73, v67, v72
	ds_read2_b32 v[72:73], v63 offset0:4 offset1:5
	s_waitcnt lgkmcnt(0)
	v_dot4_i32_i8 v72, v72, v68, v76
	v_dot4_i32_i8 v76, v73, v69, v72
	ds_read2_b32 v[72:73], v63 offset0:6 offset1:7
	s_waitcnt lgkmcnt(0)
	v_dot4_i32_i8 v72, v72, v70, v76
	v_dot4_i32_i8 v72, v73, v71, v72
	v_cvt_f32_i32_e32 v72, v72
	v_mul_f32_e32 v73, v74, v75
	v_fmac_f32_e32 v5, v73, v72
	v_add_u32_e32 v72, 0x1080, v63
	ds_read_b32 v75, v60
	ds_read2_b32 v[72:73], v72 offset1:1
	v_add_u32_e32 v60, 4, v60
	s_waitcnt lgkmcnt(0)
	v_dot4_i32_i8 v72, v72, v64, 0
	v_dot4_i32_i8 v76, v73, v65, v72
	v_add_u32_e32 v72, 0x1088, v63
	ds_read2_b32 v[72:73], v72 offset1:1
	s_waitcnt lgkmcnt(0)
	v_dot4_i32_i8 v72, v72, v66, v76
	v_dot4_i32_i8 v76, v73, v67, v72
	v_add_u32_e32 v72, 0x1090, v63
	ds_read2_b32 v[72:73], v72 offset1:1
	s_waitcnt lgkmcnt(0)
	v_dot4_i32_i8 v72, v72, v68, v76
	v_dot4_i32_i8 v76, v73, v69, v72
	v_add_u32_e32 v72, 0x1098, v63
	ds_read2_b32 v[72:73], v72 offset1:1
	s_waitcnt lgkmcnt(0)
	v_dot4_i32_i8 v72, v72, v70, v76
	v_dot4_i32_i8 v72, v73, v71, v72
	v_cvt_f32_i32_e32 v72, v72
	v_mul_f32_e32 v73, v74, v75
	v_fmac_f32_e32 v44, v73, v72
	v_add_u32_e32 v72, 0x2100, v63
	ds_read_b32 v75, v61
	ds_read2_b32 v[72:73], v72 offset1:1
	v_add_u32_e32 v61, 4, v61
	s_waitcnt lgkmcnt(0)
	v_dot4_i32_i8 v72, v72, v64, 0
	v_dot4_i32_i8 v76, v73, v65, v72
	v_add_u32_e32 v72, 0x2108, v63
	ds_read2_b32 v[72:73], v72 offset1:1
	s_waitcnt lgkmcnt(0)
	v_dot4_i32_i8 v72, v72, v66, v76
	v_dot4_i32_i8 v76, v73, v67, v72
	v_add_u32_e32 v72, 0x2110, v63
	ds_read2_b32 v[72:73], v72 offset1:1
	s_waitcnt lgkmcnt(0)
	v_dot4_i32_i8 v72, v72, v68, v76
	v_dot4_i32_i8 v76, v73, v69, v72
	v_add_u32_e32 v72, 0x2118, v63
	ds_read2_b32 v[72:73], v72 offset1:1
	;; [unrolled: 25-line block ×3, first 2 shown]
	v_add_u32_e32 v63, 32, v63
	s_waitcnt lgkmcnt(0)
	v_dot4_i32_i8 v64, v64, v70, v66
	v_dot4_i32_i8 v64, v65, v71, v64
	v_cvt_f32_i32_e32 v64, v64
	v_mul_f32_e32 v65, v74, v75
	v_fmac_f32_e32 v3, v65, v64
	s_cbranch_scc1 .LBB205_11
; %bb.12:                               ;   in Loop: Header=BB205_5 Depth=1
	s_barrier
	s_branch .LBB205_4
.LBB205_13:
	s_mul_i32 s0, s11, s8
	s_waitcnt vmcnt(0)
	v_cmp_gt_i32_e32 vcc, s0, v4
	s_and_saveexec_b64 s[0:1], vcc
	s_cbranch_execz .LBB205_22
; %bb.14:
	v_mul_lo_u32 v1, v4, s10
	v_add_u32_e32 v0, s16, v0
	v_cmp_gt_u32_e32 vcc, s10, v0
	s_and_saveexec_b64 s[0:1], vcc
	s_cbranch_execz .LBB205_16
; %bb.15:
	v_add_u32_e32 v6, v1, v0
	v_mov_b32_e32 v7, 0
	v_lshlrev_b64 v[6:7], 1, v[6:7]
	v_cvt_f16_f32_e32 v8, v5
	v_mov_b32_e32 v2, s13
	v_add_co_u32_e32 v4, vcc, s12, v6
	v_addc_co_u32_e32 v5, vcc, v2, v7, vcc
	global_store_short v[4:5], v8, off
.LBB205_16:
	s_or_b64 exec, exec, s[0:1]
	v_add_u32_e32 v2, 32, v0
	v_cmp_gt_u32_e32 vcc, s10, v2
	s_and_saveexec_b64 s[0:1], vcc
	s_cbranch_execz .LBB205_18
; %bb.17:
	v_add_u32_e32 v4, v1, v2
	v_mov_b32_e32 v5, 0
	v_lshlrev_b64 v[4:5], 1, v[4:5]
	v_cvt_f16_f32_e32 v6, v44
	v_mov_b32_e32 v2, s13
	v_add_co_u32_e32 v4, vcc, s12, v4
	v_addc_co_u32_e32 v5, vcc, v2, v5, vcc
	global_store_short v[4:5], v6, off
.LBB205_18:
	s_or_b64 exec, exec, s[0:1]
	;; [unrolled: 15-line block ×3, first 2 shown]
	v_add_u32_e32 v0, 0x60, v0
	v_cmp_gt_u32_e32 vcc, s10, v0
	s_and_b64 exec, exec, vcc
	s_cbranch_execz .LBB205_22
; %bb.21:
	v_add_u32_e32 v0, v1, v0
	v_mov_b32_e32 v1, 0
	v_lshlrev_b64 v[0:1], 1, v[0:1]
	v_cvt_f16_f32_e32 v3, v3
	v_mov_b32_e32 v2, s13
	v_add_co_u32_e32 v0, vcc, s12, v0
	v_addc_co_u32_e32 v1, vcc, v2, v1, vcc
	global_store_short v[0:1], v3, off
.LBB205_22:
	s_endpgm
	.section	.rodata,"a",@progbits
	.p2align	6, 0x0
	.amdhsa_kernel _ZL8moe_q8_0IN3c104HalfELb0EEvPKvS3_PT_PKiS7_S7_iiiiiii
		.amdhsa_group_segment_fixed_size 20160
		.amdhsa_private_segment_fixed_size 0
		.amdhsa_kernarg_size 76
		.amdhsa_user_sgpr_count 6
		.amdhsa_user_sgpr_private_segment_buffer 1
		.amdhsa_user_sgpr_dispatch_ptr 0
		.amdhsa_user_sgpr_queue_ptr 0
		.amdhsa_user_sgpr_kernarg_segment_ptr 1
		.amdhsa_user_sgpr_dispatch_id 0
		.amdhsa_user_sgpr_flat_scratch_init 0
		.amdhsa_user_sgpr_private_segment_size 0
		.amdhsa_uses_dynamic_stack 0
		.amdhsa_system_sgpr_private_segment_wavefront_offset 0
		.amdhsa_system_sgpr_workgroup_id_x 1
		.amdhsa_system_sgpr_workgroup_id_y 1
		.amdhsa_system_sgpr_workgroup_id_z 0
		.amdhsa_system_sgpr_workgroup_info 0
		.amdhsa_system_vgpr_workitem_id 1
		.amdhsa_next_free_vgpr 84
		.amdhsa_next_free_sgpr 98
		.amdhsa_reserve_vcc 1
		.amdhsa_reserve_flat_scratch 0
		.amdhsa_float_round_mode_32 0
		.amdhsa_float_round_mode_16_64 0
		.amdhsa_float_denorm_mode_32 3
		.amdhsa_float_denorm_mode_16_64 3
		.amdhsa_dx10_clamp 1
		.amdhsa_ieee_mode 1
		.amdhsa_fp16_overflow 0
		.amdhsa_exception_fp_ieee_invalid_op 0
		.amdhsa_exception_fp_denorm_src 0
		.amdhsa_exception_fp_ieee_div_zero 0
		.amdhsa_exception_fp_ieee_overflow 0
		.amdhsa_exception_fp_ieee_underflow 0
		.amdhsa_exception_fp_ieee_inexact 0
		.amdhsa_exception_int_div_zero 0
	.end_amdhsa_kernel
	.section	.text._ZL8moe_q8_0IN3c104HalfELb0EEvPKvS3_PT_PKiS7_S7_iiiiiii,"axG",@progbits,_ZL8moe_q8_0IN3c104HalfELb0EEvPKvS3_PT_PKiS7_S7_iiiiiii,comdat
.Lfunc_end205:
	.size	_ZL8moe_q8_0IN3c104HalfELb0EEvPKvS3_PT_PKiS7_S7_iiiiiii, .Lfunc_end205-_ZL8moe_q8_0IN3c104HalfELb0EEvPKvS3_PT_PKiS7_S7_iiiiiii
                                        ; -- End function
	.set _ZL8moe_q8_0IN3c104HalfELb0EEvPKvS3_PT_PKiS7_S7_iiiiiii.num_vgpr, 84
	.set _ZL8moe_q8_0IN3c104HalfELb0EEvPKvS3_PT_PKiS7_S7_iiiiiii.num_agpr, 0
	.set _ZL8moe_q8_0IN3c104HalfELb0EEvPKvS3_PT_PKiS7_S7_iiiiiii.numbered_sgpr, 20
	.set _ZL8moe_q8_0IN3c104HalfELb0EEvPKvS3_PT_PKiS7_S7_iiiiiii.num_named_barrier, 0
	.set _ZL8moe_q8_0IN3c104HalfELb0EEvPKvS3_PT_PKiS7_S7_iiiiiii.private_seg_size, 0
	.set _ZL8moe_q8_0IN3c104HalfELb0EEvPKvS3_PT_PKiS7_S7_iiiiiii.uses_vcc, 1
	.set _ZL8moe_q8_0IN3c104HalfELb0EEvPKvS3_PT_PKiS7_S7_iiiiiii.uses_flat_scratch, 0
	.set _ZL8moe_q8_0IN3c104HalfELb0EEvPKvS3_PT_PKiS7_S7_iiiiiii.has_dyn_sized_stack, 0
	.set _ZL8moe_q8_0IN3c104HalfELb0EEvPKvS3_PT_PKiS7_S7_iiiiiii.has_recursion, 0
	.set _ZL8moe_q8_0IN3c104HalfELb0EEvPKvS3_PT_PKiS7_S7_iiiiiii.has_indirect_call, 0
	.section	.AMDGPU.csdata,"",@progbits
; Kernel info:
; codeLenInByte = 2916
; TotalNumSgprs: 24
; NumVgprs: 84
; ScratchSize: 0
; MemoryBound: 0
; FloatMode: 240
; IeeeMode: 1
; LDSByteSize: 20160 bytes/workgroup (compile time only)
; SGPRBlocks: 12
; VGPRBlocks: 20
; NumSGPRsForWavesPerEU: 102
; NumVGPRsForWavesPerEU: 84
; Occupancy: 3
; WaveLimiterHint : 1
; COMPUTE_PGM_RSRC2:SCRATCH_EN: 0
; COMPUTE_PGM_RSRC2:USER_SGPR: 6
; COMPUTE_PGM_RSRC2:TRAP_HANDLER: 0
; COMPUTE_PGM_RSRC2:TGID_X_EN: 1
; COMPUTE_PGM_RSRC2:TGID_Y_EN: 1
; COMPUTE_PGM_RSRC2:TGID_Z_EN: 0
; COMPUTE_PGM_RSRC2:TIDIG_COMP_CNT: 1
	.section	.text._ZL8moe_q8_0IN3c104HalfELb1EEvPKvS3_PT_PKiS7_S7_iiiiiii,"axG",@progbits,_ZL8moe_q8_0IN3c104HalfELb1EEvPKvS3_PT_PKiS7_S7_iiiiiii,comdat
	.globl	_ZL8moe_q8_0IN3c104HalfELb1EEvPKvS3_PT_PKiS7_S7_iiiiiii ; -- Begin function _ZL8moe_q8_0IN3c104HalfELb1EEvPKvS3_PT_PKiS7_S7_iiiiiii
	.p2align	8
	.type	_ZL8moe_q8_0IN3c104HalfELb1EEvPKvS3_PT_PKiS7_S7_iiiiiii,@function
_ZL8moe_q8_0IN3c104HalfELb1EEvPKvS3_PT_PKiS7_S7_iiiiiii: ; @_ZL8moe_q8_0IN3c104HalfELb1EEvPKvS3_PT_PKiS7_S7_iiiiiii
; %bb.0:
	s_load_dwordx4 s[0:3], s[4:5], 0x18
	s_mov_b32 s8, s7
	s_mov_b32 s9, 0
	s_lshl_b64 s[10:11], s[8:9], 2
	s_waitcnt lgkmcnt(0)
	s_add_u32 s2, s2, s10
	s_addc_u32 s3, s3, s11
	s_load_dword s2, s[2:3], 0x0
	s_waitcnt lgkmcnt(0)
	s_cmpk_gt_u32 s2, 0xff
	s_cbranch_scc1 .LBB206_22
; %bb.1:
	s_load_dwordx2 s[10:11], s[4:5], 0x28
	s_lshl_b32 s3, s8, 3
	s_waitcnt lgkmcnt(0)
	s_load_dword s7, s[10:11], 0x0
	s_waitcnt lgkmcnt(0)
	s_cmp_gt_u32 s3, s7
	s_cbranch_scc1 .LBB206_22
; %bb.2:
	v_add_u32_e32 v13, s3, v1
	v_mov_b32_e32 v14, 0
	v_lshlrev_b64 v[2:3], 2, v[13:14]
	v_mov_b32_e32 v4, s1
	v_add_co_u32_e32 v2, vcc, s0, v2
	v_addc_co_u32_e32 v3, vcc, v4, v3, vcc
	global_load_dword v21, v[2:3], off
	s_load_dwordx8 s[8:15], s[4:5], 0x30
	s_load_dwordx2 s[16:17], s[4:5], 0x10
	s_waitcnt lgkmcnt(0)
	s_lshl_b32 s15, s6, 7
	v_mov_b32_e32 v44, v14
	v_mov_b32_e32 v45, v14
	s_cmp_lt_i32 s9, 32
	v_mov_b32_e32 v22, v14
	s_cbranch_scc1 .LBB206_13
; %bb.3:
	s_ashr_i32 s0, s9, 31
	s_lshr_b32 s0, s0, 27
	s_load_dwordx4 s[4:7], s[4:5], 0x0
	s_add_i32 s0, s9, s0
	s_ashr_i32 s18, s0, 5
	s_ashr_i32 s0, s12, 31
	s_lshr_b32 s0, s0, 27
	s_add_i32 s0, s12, s0
	s_mul_i32 s2, s2, s8
	s_ashr_i32 s12, s0, 5
	s_ashr_i32 s0, s2, 31
	s_waitcnt lgkmcnt(0)
	s_add_u32 s1, s4, s2
	s_mul_i32 s2, s18, s15
	s_addc_u32 s0, s5, s0
	s_mul_hi_i32 s3, s2, 34
	s_mul_i32 s2, s2, 34
	s_add_u32 s8, s1, s2
	s_addc_u32 s19, s0, s3
	s_not_b32 s0, s15
	s_add_i32 s2, s10, s0
	v_lshlrev_b32_e32 v20, 2, v0
	v_min_i32_e32 v2, s2, v1
	s_movk_i32 s3, 0x84
	v_mul_lo_u32 v25, v2, s18
	s_waitcnt vmcnt(0)
	v_mad_u64_u32 v[2:3], s[0:1], v2, s3, v[20:21]
	v_add_u32_e32 v3, 8, v1
	v_min_i32_e32 v3, s2, v3
	v_mul_lo_u32 v26, v3, s18
	v_mad_u64_u32 v[3:4], s[0:1], v3, s3, v[20:21]
	v_add_u32_e32 v4, 16, v1
	v_min_i32_e32 v4, s2, v4
	v_mul_lo_u32 v27, v4, s18
	;; [unrolled: 4-line block ×15, first 2 shown]
	v_mad_u64_u32 v[18:19], s[0:1], v14, s3, v[20:21]
	v_lshrrev_b32_e32 v14, 2, v0
	v_lshl_add_u32 v14, v1, 3, v14
	v_min_i32_e32 v19, s2, v14
	v_ashrrev_i32_e32 v43, 31, v19
	v_add_u32_e32 v14, 64, v14
	v_lshrrev_b32_e32 v43, 29, v43
	v_min_i32_e32 v14, s2, v14
	v_mul_lo_u32 v42, v19, s18
	v_add_u32_e32 v43, v19, v43
	v_lshlrev_b32_e32 v54, 4, v19
	v_ashrrev_i32_e32 v19, 31, v14
	s_abs_i32 s2, s14
	v_lshrrev_b32_e32 v19, 29, v19
	v_cvt_f32_u32_e32 v46, s2
	v_add_u32_e32 v19, v14, v19
	v_and_b32_e32 v41, 3, v0
	v_ashrrev_i32_e32 v43, 3, v43
	v_ashrrev_i32_e32 v19, 3, v19
	v_lshlrev_b32_e32 v43, 2, v43
	v_lshlrev_b32_e32 v44, 2, v41
	s_movk_i32 s4, 0x4200
	v_lshlrev_b32_e32 v19, 2, v19
	v_add3_u32 v45, v43, v44, s4
	v_add3_u32 v44, v19, v44, s4
	v_rcp_iflag_f32_e32 v19, v46
	s_sub_i32 s0, 0, s2
	v_mov_b32_e32 v46, 0x4a40
	v_lshl_add_u32 v46, v1, 7, v46
	v_mul_f32_e32 v19, 0x4f7ffffe, v19
	v_cvt_u32_f32_e32 v19, v19
	v_lshlrev_b32_e32 v57, 4, v1
	v_and_b32_e32 v24, 28, v20
	v_add_u32_e32 v56, 0x4e40, v20
	v_mul_lo_u32 v48, s0, v19
	v_and_b32_e32 v20, 31, v0
	v_lshl_add_u32 v47, v20, 2, v46
	v_sub_u32_e32 v20, 0, v21
	v_mul_hi_u32 v1, v19, v48
	v_max_i32_e32 v20, v21, v20
	v_xor_b32_e32 v52, s14, v21
	v_ashrrev_i32_e32 v52, 31, v52
	v_add_u32_e32 v1, v19, v1
	v_mul_hi_u32 v19, v20, v1
	v_add_u32_e32 v49, 0x60, v0
	v_cmp_gt_u32_e64 s[0:1], 4, v0
	v_add_u32_e32 v50, 64, v0
	v_mul_lo_u32 v48, v19, s2
	v_lshrrev_b32_e32 v49, 1, v49
	v_mul_lo_u32 v43, v14, s18
	v_add_u32_e32 v51, 32, v0
	v_sub_u32_e32 v20, v20, v48
	v_add_u32_e32 v48, 1, v19
	v_cmp_le_u32_e32 vcc, s2, v20
	v_cndmask_b32_e32 v19, v19, v48, vcc
	v_subrev_u32_e32 v48, s2, v20
	v_cndmask_b32_e32 v20, v20, v48, vcc
	v_add_u32_e32 v48, 1, v19
	v_cmp_le_u32_e32 vcc, s2, v20
	v_cndmask_b32_e32 v19, v19, v48, vcc
	v_xor_b32_e32 v19, v19, v52
	v_sub_u32_e32 v19, v19, v52
	v_cmp_gt_i32_e32 vcc, s11, v19
	v_mul_lo_u32 v48, v19, s12
	v_mov_b32_e32 v20, s7
	v_add_co_u32_e64 v19, s[2:3], s6, v24
	v_addc_co_u32_e64 v20, s[2:3], 0, v20, s[2:3]
	s_and_b64 s[2:3], s[0:1], vcc
	v_lshlrev_b32_e32 v52, 4, v0
	v_and_b32_e32 v49, 0xfc, v49
	s_movk_i32 s0, 0x4800
	v_lshrrev_b32_e32 v50, 1, v50
	v_lshrrev_b32_e32 v23, 3, v0
	v_add3_u32 v49, v52, v49, s0
	v_and_b32_e32 v50, 0xfc, v50
	s_movk_i32 s0, 0x4600
	v_lshrrev_b32_e32 v51, 1, v51
	v_lshlrev_b32_e32 v14, 4, v14
	v_add3_u32 v50, v52, v50, s0
	v_and_b32_e32 v51, 0xfc, v51
	s_movk_i32 s0, 0x4400
	v_lshlrev_b32_e32 v53, 2, v23
	v_mov_b32_e32 v22, 0
	v_mul_u32_u24_e32 v1, 0x84, v0
	s_mov_b32 s10, 0
	v_add3_u32 v51, v52, v51, s0
	v_add3_u32 v52, v52, v53, s4
	v_add_u32_e32 v53, 0x4e40, v57
	v_add_u32_e32 v54, v45, v54
	;; [unrolled: 1-line block ×4, first 2 shown]
	v_mov_b32_e32 v45, 0
	v_mov_b32_e32 v44, 0
	;; [unrolled: 1-line block ×3, first 2 shown]
	s_branch .LBB206_5
.LBB206_4:                              ;   in Loop: Header=BB206_5 Depth=1
	s_add_i32 s10, s10, 4
	s_cmp_ge_i32 s10, s18
	s_cbranch_scc1 .LBB206_13
.LBB206_5:                              ; =>This Loop Header: Depth=1
                                        ;     Child Loop BB206_11 Depth 2
	s_mul_i32 s1, s10, 34
	s_mul_hi_u32 s0, s10, 34
	s_add_u32 s4, s8, s1
	s_addc_u32 s5, s19, s0
	v_mad_u64_u32 v[57:58], s[0:1], v23, 34, s[4:5]
	v_mad_i64_i32 v[59:60], s[0:1], v25, 34, v[57:58]
	v_mad_i64_i32 v[61:62], s[0:1], v26, 34, v[57:58]
	v_add_co_u32_e64 v59, s[0:1], v59, v24
	v_addc_co_u32_e64 v60, s[0:1], 0, v60, s[0:1]
	v_add_co_u32_e64 v61, s[0:1], v61, v24
	v_addc_co_u32_e64 v62, s[0:1], 0, v62, s[0:1]
	v_mad_i64_i32 v[63:64], s[0:1], v27, 34, v[57:58]
	v_mad_i64_i32 v[65:66], s[0:1], v28, 34, v[57:58]
	v_add_co_u32_e64 v63, s[0:1], v63, v24
	v_addc_co_u32_e64 v64, s[0:1], 0, v64, s[0:1]
	v_add_co_u32_e64 v65, s[0:1], v65, v24
	v_addc_co_u32_e64 v66, s[0:1], 0, v66, s[0:1]
	v_mad_i64_i32 v[67:68], s[0:1], v29, 34, v[57:58]
	v_mad_i64_i32 v[69:70], s[0:1], v30, 34, v[57:58]
	v_add_co_u32_e64 v67, s[0:1], v67, v24
	v_addc_co_u32_e64 v68, s[0:1], 0, v68, s[0:1]
	v_add_co_u32_e64 v69, s[0:1], v69, v24
	v_addc_co_u32_e64 v70, s[0:1], 0, v70, s[0:1]
	v_mad_i64_i32 v[71:72], s[0:1], v31, 34, v[57:58]
	v_mad_i64_i32 v[73:74], s[0:1], v32, 34, v[57:58]
	v_add_co_u32_e64 v71, s[0:1], v71, v24
	v_addc_co_u32_e64 v72, s[0:1], 0, v72, s[0:1]
	v_add_co_u32_e64 v73, s[0:1], v73, v24
	v_addc_co_u32_e64 v74, s[0:1], 0, v74, s[0:1]
	global_load_dword v75, v[59:60], off offset:2
	global_load_dword v76, v[61:62], off offset:2
	;; [unrolled: 1-line block ×7, first 2 shown]
	s_nop 0
	global_load_dword v73, v[73:74], off offset:2
	v_mad_i64_i32 v[59:60], s[0:1], v33, 34, v[57:58]
	v_mad_i64_i32 v[61:62], s[0:1], v34, 34, v[57:58]
	v_add_co_u32_e64 v59, s[0:1], v59, v24
	v_addc_co_u32_e64 v60, s[0:1], 0, v60, s[0:1]
	v_add_co_u32_e64 v61, s[0:1], v61, v24
	v_addc_co_u32_e64 v62, s[0:1], 0, v62, s[0:1]
	v_mad_i64_i32 v[63:64], s[0:1], v35, 34, v[57:58]
	v_mad_i64_i32 v[65:66], s[0:1], v36, 34, v[57:58]
	v_add_co_u32_e64 v63, s[0:1], v63, v24
	v_addc_co_u32_e64 v64, s[0:1], 0, v64, s[0:1]
	v_add_co_u32_e64 v65, s[0:1], v65, v24
	v_addc_co_u32_e64 v66, s[0:1], 0, v66, s[0:1]
	;; [unrolled: 6-line block ×3, first 2 shown]
	v_mad_i64_i32 v[71:72], s[0:1], v39, 34, v[57:58]
	global_load_dword v74, v[59:60], off offset:2
	global_load_dword v82, v[61:62], off offset:2
	;; [unrolled: 1-line block ×3, first 2 shown]
	s_nop 0
	global_load_dword v65, v[65:66], off offset:2
	s_nop 0
	global_load_dword v66, v[67:68], off offset:2
	;; [unrolled: 2-line block ×3, first 2 shown]
	v_add_co_u32_e64 v59, s[0:1], v71, v24
	v_addc_co_u32_e64 v60, s[0:1], 0, v72, s[0:1]
	v_mad_u64_u32 v[61:62], s[0:1], v41, 34, s[4:5]
	v_mad_i64_i32 v[57:58], s[0:1], v40, 34, v[57:58]
	v_mad_i64_i32 v[63:64], s[0:1], v42, 34, v[61:62]
	v_add_co_u32_e64 v57, s[0:1], v57, v24
	v_addc_co_u32_e64 v58, s[0:1], 0, v58, s[0:1]
	v_mad_i64_i32 v[61:62], s[0:1], v43, 34, v[61:62]
	global_load_ushort v63, v[63:64], off
	s_nop 0
	global_load_dword v59, v[59:60], off offset:2
	s_nop 0
	global_load_dword v57, v[57:58], off offset:2
	s_nop 0
	global_load_ushort v58, v[61:62], off
	s_lshl_b32 s0, s10, 5
	s_cmp_ge_i32 s0, s9
	s_waitcnt vmcnt(17)
	ds_write_b32 v2, v75
	s_waitcnt vmcnt(16)
	ds_write_b32 v3, v76
	s_waitcnt vmcnt(15)
	ds_write_b32 v4, v77
	s_waitcnt vmcnt(14)
	ds_write_b32 v5, v78
	s_waitcnt vmcnt(13)
	ds_write_b32 v6, v79
	s_waitcnt vmcnt(12)
	ds_write_b32 v7, v80
	s_waitcnt vmcnt(11)
	ds_write_b32 v8, v81
	s_waitcnt vmcnt(10)
	ds_write_b32 v9, v73
	s_waitcnt vmcnt(9)
	ds_write_b32 v10, v74
	s_waitcnt vmcnt(8)
	ds_write_b32 v11, v82
	s_waitcnt vmcnt(7)
	ds_write_b32 v12, v83
	s_waitcnt vmcnt(6)
	ds_write_b32 v13, v65
	s_waitcnt vmcnt(5)
	ds_write_b32 v15, v66
	s_waitcnt vmcnt(4)
	ds_write_b32 v16, v67
	s_waitcnt vmcnt(2)
	ds_write_b32 v17, v59
	s_waitcnt vmcnt(1)
	ds_write_b32 v18, v57
	v_cvt_f32_f16_e32 v60, v63
	s_waitcnt vmcnt(0)
	v_cvt_f32_f16_e32 v57, v58
	ds_write_b32 v54, v60
	ds_write_b32 v55, v57
	s_cbranch_scc1 .LBB206_4
; %bb.6:                                ;   in Loop: Header=BB206_5 Depth=1
	v_add_u32_e32 v57, s10, v23
	v_cmp_gt_i32_e64 s[0:1], s12, v57
	s_and_b64 s[4:5], vcc, s[0:1]
	s_and_saveexec_b64 s[0:1], s[4:5]
	s_cbranch_execz .LBB206_8
; %bb.7:                                ;   in Loop: Header=BB206_5 Depth=1
	v_add_u32_e32 v57, v48, v57
	v_mad_i64_i32 v[57:58], s[4:5], v57, 36, v[19:20]
	global_load_dword v57, v[57:58], off offset:4
	s_waitcnt vmcnt(0)
	ds_write_b32 v47, v57
.LBB206_8:                              ;   in Loop: Header=BB206_5 Depth=1
	s_or_b64 exec, exec, s[0:1]
	v_or_b32_e32 v57, s10, v0
	v_cmp_gt_i32_e64 s[0:1], s12, v57
	s_and_b64 s[4:5], s[2:3], s[0:1]
	s_and_saveexec_b64 s[0:1], s[4:5]
	s_cbranch_execz .LBB206_10
; %bb.9:                                ;   in Loop: Header=BB206_5 Depth=1
	v_add_u32_e32 v57, v48, v57
	v_mad_i64_i32 v[57:58], s[4:5], v57, 36, s[6:7]
	global_load_dword v57, v[57:58], off
	s_waitcnt vmcnt(0)
	v_cvt_f32_f16_e32 v57, v57
	ds_write_b32 v56, v57
.LBB206_10:                             ;   in Loop: Header=BB206_5 Depth=1
	s_or_b64 exec, exec, s[0:1]
	s_mov_b32 s0, -8
	v_mov_b32_e32 v57, v46
	v_mov_b32_e32 v58, v53
	;; [unrolled: 1-line block ×7, first 2 shown]
	s_waitcnt lgkmcnt(0)
	s_barrier
.LBB206_11:                             ;   Parent Loop BB206_5 Depth=1
                                        ; =>  This Inner Loop Header: Depth=2
	ds_read_b32 v74, v58
	ds_read_b128 v[64:67], v57
	ds_read_b128 v[68:71], v57 offset:16
	ds_read_b32 v75, v59
	ds_read2_b32 v[72:73], v63 offset1:1
	s_add_i32 s0, s0, 8
	v_add_u32_e32 v59, 4, v59
	v_add_u32_e32 v58, 4, v58
	;; [unrolled: 1-line block ×3, first 2 shown]
	s_waitcnt lgkmcnt(0)
	v_dot4_i32_i8 v72, v72, v64, 0
	v_dot4_i32_i8 v76, v73, v65, v72
	ds_read2_b32 v[72:73], v63 offset0:2 offset1:3
	s_cmp_lt_u32 s0, 24
	s_waitcnt lgkmcnt(0)
	v_dot4_i32_i8 v72, v72, v66, v76
	v_dot4_i32_i8 v76, v73, v67, v72
	ds_read2_b32 v[72:73], v63 offset0:4 offset1:5
	s_waitcnt lgkmcnt(0)
	v_dot4_i32_i8 v72, v72, v68, v76
	v_dot4_i32_i8 v76, v73, v69, v72
	ds_read2_b32 v[72:73], v63 offset0:6 offset1:7
	s_waitcnt lgkmcnt(0)
	v_dot4_i32_i8 v72, v72, v70, v76
	v_dot4_i32_i8 v72, v73, v71, v72
	v_cvt_f32_i32_e32 v72, v72
	v_mul_f32_e32 v73, v74, v75
	v_fmac_f32_e32 v22, v73, v72
	v_add_u32_e32 v72, 0x1080, v63
	ds_read_b32 v75, v60
	ds_read2_b32 v[72:73], v72 offset1:1
	v_add_u32_e32 v60, 4, v60
	s_waitcnt lgkmcnt(0)
	v_dot4_i32_i8 v72, v72, v64, 0
	v_dot4_i32_i8 v76, v73, v65, v72
	v_add_u32_e32 v72, 0x1088, v63
	ds_read2_b32 v[72:73], v72 offset1:1
	s_waitcnt lgkmcnt(0)
	v_dot4_i32_i8 v72, v72, v66, v76
	v_dot4_i32_i8 v76, v73, v67, v72
	v_add_u32_e32 v72, 0x1090, v63
	ds_read2_b32 v[72:73], v72 offset1:1
	s_waitcnt lgkmcnt(0)
	v_dot4_i32_i8 v72, v72, v68, v76
	v_dot4_i32_i8 v76, v73, v69, v72
	v_add_u32_e32 v72, 0x1098, v63
	ds_read2_b32 v[72:73], v72 offset1:1
	s_waitcnt lgkmcnt(0)
	v_dot4_i32_i8 v72, v72, v70, v76
	v_dot4_i32_i8 v72, v73, v71, v72
	v_cvt_f32_i32_e32 v72, v72
	v_mul_f32_e32 v73, v74, v75
	v_fmac_f32_e32 v45, v73, v72
	v_add_u32_e32 v72, 0x2100, v63
	ds_read_b32 v75, v61
	ds_read2_b32 v[72:73], v72 offset1:1
	v_add_u32_e32 v61, 4, v61
	s_waitcnt lgkmcnt(0)
	v_dot4_i32_i8 v72, v72, v64, 0
	v_dot4_i32_i8 v76, v73, v65, v72
	v_add_u32_e32 v72, 0x2108, v63
	ds_read2_b32 v[72:73], v72 offset1:1
	s_waitcnt lgkmcnt(0)
	v_dot4_i32_i8 v72, v72, v66, v76
	v_dot4_i32_i8 v76, v73, v67, v72
	v_add_u32_e32 v72, 0x2110, v63
	ds_read2_b32 v[72:73], v72 offset1:1
	s_waitcnt lgkmcnt(0)
	v_dot4_i32_i8 v72, v72, v68, v76
	v_dot4_i32_i8 v76, v73, v69, v72
	v_add_u32_e32 v72, 0x2118, v63
	ds_read2_b32 v[72:73], v72 offset1:1
	s_waitcnt lgkmcnt(0)
	v_dot4_i32_i8 v72, v72, v70, v76
	v_dot4_i32_i8 v72, v73, v71, v72
	v_cvt_f32_i32_e32 v72, v72
	v_mul_f32_e32 v73, v74, v75
	v_fmac_f32_e32 v44, v73, v72
	v_add_u32_e32 v72, 0x3180, v63
	ds_read_b32 v75, v62
	ds_read2_b32 v[72:73], v72 offset1:1
	v_add_u32_e32 v62, 4, v62
	s_waitcnt lgkmcnt(0)
	v_dot4_i32_i8 v64, v72, v64, 0
	v_dot4_i32_i8 v72, v73, v65, v64
	v_add_u32_e32 v64, 0x3188, v63
	ds_read2_b32 v[64:65], v64 offset1:1
	s_waitcnt lgkmcnt(0)
	v_dot4_i32_i8 v64, v64, v66, v72
	v_dot4_i32_i8 v66, v65, v67, v64
	v_add_u32_e32 v64, 0x3190, v63
	ds_read2_b32 v[64:65], v64 offset1:1
	s_waitcnt lgkmcnt(0)
	v_dot4_i32_i8 v64, v64, v68, v66
	v_dot4_i32_i8 v66, v65, v69, v64
	v_add_u32_e32 v64, 0x3198, v63
	ds_read2_b32 v[64:65], v64 offset1:1
	v_add_u32_e32 v63, 32, v63
	s_waitcnt lgkmcnt(0)
	v_dot4_i32_i8 v64, v64, v70, v66
	v_dot4_i32_i8 v64, v65, v71, v64
	v_cvt_f32_i32_e32 v64, v64
	v_mul_f32_e32 v65, v74, v75
	v_fmac_f32_e32 v14, v65, v64
	s_cbranch_scc1 .LBB206_11
; %bb.12:                               ;   in Loop: Header=BB206_5 Depth=1
	s_barrier
	s_branch .LBB206_4
.LBB206_13:
	s_mul_i32 s0, s14, s11
	s_waitcnt vmcnt(0)
	v_cmp_gt_i32_e32 vcc, s0, v21
	s_and_saveexec_b64 s[0:1], vcc
	s_cbranch_execz .LBB206_22
; %bb.14:
	v_mul_lo_u32 v1, v21, s13
	v_add_u32_e32 v0, s15, v0
	v_cmp_gt_u32_e32 vcc, s13, v0
	s_and_saveexec_b64 s[0:1], vcc
	s_cbranch_execz .LBB206_16
; %bb.15:
	v_add_u32_e32 v2, v1, v0
	v_mov_b32_e32 v3, 0
	v_lshlrev_b64 v[2:3], 1, v[2:3]
	v_cvt_f16_f32_e32 v5, v22
	v_mov_b32_e32 v4, s17
	v_add_co_u32_e32 v2, vcc, s16, v2
	v_addc_co_u32_e32 v3, vcc, v4, v3, vcc
	global_store_short v[2:3], v5, off
.LBB206_16:
	s_or_b64 exec, exec, s[0:1]
	v_add_u32_e32 v2, 32, v0
	v_cmp_gt_u32_e32 vcc, s13, v2
	s_and_saveexec_b64 s[0:1], vcc
	s_cbranch_execz .LBB206_18
; %bb.17:
	v_add_u32_e32 v2, v1, v2
	v_mov_b32_e32 v3, 0
	v_lshlrev_b64 v[2:3], 1, v[2:3]
	v_cvt_f16_f32_e32 v5, v45
	v_mov_b32_e32 v4, s17
	v_add_co_u32_e32 v2, vcc, s16, v2
	v_addc_co_u32_e32 v3, vcc, v4, v3, vcc
	global_store_short v[2:3], v5, off
.LBB206_18:
	s_or_b64 exec, exec, s[0:1]
	;; [unrolled: 15-line block ×3, first 2 shown]
	v_add_u32_e32 v0, 0x60, v0
	v_cmp_gt_u32_e32 vcc, s13, v0
	s_and_b64 exec, exec, vcc
	s_cbranch_execz .LBB206_22
; %bb.21:
	v_add_u32_e32 v0, v1, v0
	v_mov_b32_e32 v1, 0
	v_lshlrev_b64 v[0:1], 1, v[0:1]
	v_cvt_f16_f32_e32 v3, v14
	v_mov_b32_e32 v2, s17
	v_add_co_u32_e32 v0, vcc, s16, v0
	v_addc_co_u32_e32 v1, vcc, v2, v1, vcc
	global_store_short v[0:1], v3, off
.LBB206_22:
	s_endpgm
	.section	.rodata,"a",@progbits
	.p2align	6, 0x0
	.amdhsa_kernel _ZL8moe_q8_0IN3c104HalfELb1EEvPKvS3_PT_PKiS7_S7_iiiiiii
		.amdhsa_group_segment_fixed_size 20160
		.amdhsa_private_segment_fixed_size 0
		.amdhsa_kernarg_size 76
		.amdhsa_user_sgpr_count 6
		.amdhsa_user_sgpr_private_segment_buffer 1
		.amdhsa_user_sgpr_dispatch_ptr 0
		.amdhsa_user_sgpr_queue_ptr 0
		.amdhsa_user_sgpr_kernarg_segment_ptr 1
		.amdhsa_user_sgpr_dispatch_id 0
		.amdhsa_user_sgpr_flat_scratch_init 0
		.amdhsa_user_sgpr_private_segment_size 0
		.amdhsa_uses_dynamic_stack 0
		.amdhsa_system_sgpr_private_segment_wavefront_offset 0
		.amdhsa_system_sgpr_workgroup_id_x 1
		.amdhsa_system_sgpr_workgroup_id_y 1
		.amdhsa_system_sgpr_workgroup_id_z 0
		.amdhsa_system_sgpr_workgroup_info 0
		.amdhsa_system_vgpr_workitem_id 1
		.amdhsa_next_free_vgpr 84
		.amdhsa_next_free_sgpr 98
		.amdhsa_reserve_vcc 1
		.amdhsa_reserve_flat_scratch 0
		.amdhsa_float_round_mode_32 0
		.amdhsa_float_round_mode_16_64 0
		.amdhsa_float_denorm_mode_32 3
		.amdhsa_float_denorm_mode_16_64 3
		.amdhsa_dx10_clamp 1
		.amdhsa_ieee_mode 1
		.amdhsa_fp16_overflow 0
		.amdhsa_exception_fp_ieee_invalid_op 0
		.amdhsa_exception_fp_denorm_src 0
		.amdhsa_exception_fp_ieee_div_zero 0
		.amdhsa_exception_fp_ieee_overflow 0
		.amdhsa_exception_fp_ieee_underflow 0
		.amdhsa_exception_fp_ieee_inexact 0
		.amdhsa_exception_int_div_zero 0
	.end_amdhsa_kernel
	.section	.text._ZL8moe_q8_0IN3c104HalfELb1EEvPKvS3_PT_PKiS7_S7_iiiiiii,"axG",@progbits,_ZL8moe_q8_0IN3c104HalfELb1EEvPKvS3_PT_PKiS7_S7_iiiiiii,comdat
.Lfunc_end206:
	.size	_ZL8moe_q8_0IN3c104HalfELb1EEvPKvS3_PT_PKiS7_S7_iiiiiii, .Lfunc_end206-_ZL8moe_q8_0IN3c104HalfELb1EEvPKvS3_PT_PKiS7_S7_iiiiiii
                                        ; -- End function
	.set _ZL8moe_q8_0IN3c104HalfELb1EEvPKvS3_PT_PKiS7_S7_iiiiiii.num_vgpr, 84
	.set _ZL8moe_q8_0IN3c104HalfELb1EEvPKvS3_PT_PKiS7_S7_iiiiiii.num_agpr, 0
	.set _ZL8moe_q8_0IN3c104HalfELb1EEvPKvS3_PT_PKiS7_S7_iiiiiii.numbered_sgpr, 20
	.set _ZL8moe_q8_0IN3c104HalfELb1EEvPKvS3_PT_PKiS7_S7_iiiiiii.num_named_barrier, 0
	.set _ZL8moe_q8_0IN3c104HalfELb1EEvPKvS3_PT_PKiS7_S7_iiiiiii.private_seg_size, 0
	.set _ZL8moe_q8_0IN3c104HalfELb1EEvPKvS3_PT_PKiS7_S7_iiiiiii.uses_vcc, 1
	.set _ZL8moe_q8_0IN3c104HalfELb1EEvPKvS3_PT_PKiS7_S7_iiiiiii.uses_flat_scratch, 0
	.set _ZL8moe_q8_0IN3c104HalfELb1EEvPKvS3_PT_PKiS7_S7_iiiiiii.has_dyn_sized_stack, 0
	.set _ZL8moe_q8_0IN3c104HalfELb1EEvPKvS3_PT_PKiS7_S7_iiiiiii.has_recursion, 0
	.set _ZL8moe_q8_0IN3c104HalfELb1EEvPKvS3_PT_PKiS7_S7_iiiiiii.has_indirect_call, 0
	.section	.AMDGPU.csdata,"",@progbits
; Kernel info:
; codeLenInByte = 3144
; TotalNumSgprs: 24
; NumVgprs: 84
; ScratchSize: 0
; MemoryBound: 0
; FloatMode: 240
; IeeeMode: 1
; LDSByteSize: 20160 bytes/workgroup (compile time only)
; SGPRBlocks: 12
; VGPRBlocks: 20
; NumSGPRsForWavesPerEU: 102
; NumVGPRsForWavesPerEU: 84
; Occupancy: 3
; WaveLimiterHint : 1
; COMPUTE_PGM_RSRC2:SCRATCH_EN: 0
; COMPUTE_PGM_RSRC2:USER_SGPR: 6
; COMPUTE_PGM_RSRC2:TRAP_HANDLER: 0
; COMPUTE_PGM_RSRC2:TGID_X_EN: 1
; COMPUTE_PGM_RSRC2:TGID_Y_EN: 1
; COMPUTE_PGM_RSRC2:TGID_Z_EN: 0
; COMPUTE_PGM_RSRC2:TIDIG_COMP_CNT: 1
	.section	.text._ZL8moe_q2_KIN3c104HalfELb0EEvPKvS3_PT_PKiS7_S7_iiiiiii,"axG",@progbits,_ZL8moe_q2_KIN3c104HalfELb0EEvPKvS3_PT_PKiS7_S7_iiiiiii,comdat
	.globl	_ZL8moe_q2_KIN3c104HalfELb0EEvPKvS3_PT_PKiS7_S7_iiiiiii ; -- Begin function _ZL8moe_q2_KIN3c104HalfELb0EEvPKvS3_PT_PKiS7_S7_iiiiiii
	.p2align	8
	.type	_ZL8moe_q2_KIN3c104HalfELb0EEvPKvS3_PT_PKiS7_S7_iiiiiii,@function
_ZL8moe_q2_KIN3c104HalfELb0EEvPKvS3_PT_PKiS7_S7_iiiiiii: ; @_ZL8moe_q2_KIN3c104HalfELb0EEvPKvS3_PT_PKiS7_S7_iiiiiii
; %bb.0:
	s_load_dwordx4 s[0:3], s[4:5], 0x18
	s_mov_b32 s8, s7
	s_mov_b32 s9, 0
	s_lshl_b64 s[10:11], s[8:9], 2
	s_waitcnt lgkmcnt(0)
	s_add_u32 s2, s2, s10
	s_addc_u32 s3, s3, s11
	s_load_dword s2, s[2:3], 0x0
	s_waitcnt lgkmcnt(0)
	s_cmpk_gt_u32 s2, 0xff
	s_cbranch_scc1 .LBB207_46
; %bb.1:
	s_load_dwordx2 s[10:11], s[4:5], 0x28
	s_lshl_b32 s3, s8, 3
	s_waitcnt lgkmcnt(0)
	s_load_dword s7, s[10:11], 0x0
	s_waitcnt lgkmcnt(0)
	s_cmp_gt_u32 s3, s7
	s_cbranch_scc1 .LBB207_46
; %bb.2:
	v_add_u32_e32 v8, s3, v1
	v_mov_b32_e32 v9, 0
	v_lshlrev_b64 v[2:3], 2, v[8:9]
	v_mov_b32_e32 v4, s1
	v_add_co_u32_e32 v2, vcc, s0, v2
	v_addc_co_u32_e32 v3, vcc, v4, v3, vcc
	global_load_dword v12, v[2:3], off
	s_load_dwordx2 s[14:15], s[4:5], 0x30
	s_load_dwordx2 s[12:13], s[4:5], 0x10
	s_load_dwordx4 s[8:11], s[4:5], 0x3c
	s_lshl_b32 s18, s6, 7
	v_mov_b32_e32 v60, v9
	s_waitcnt lgkmcnt(0)
	s_cmpk_lt_i32 s15, 0x100
	v_mov_b32_e32 v63, v9
	v_mov_b32_e32 v13, v9
	s_cbranch_scc1 .LBB207_37
; %bb.3:
	s_ashr_i32 s0, s15, 31
	s_lshr_b32 s0, s0, 24
	s_load_dwordx4 s[4:7], s[4:5], 0x0
	s_add_i32 s0, s15, s0
	s_ashr_i32 s19, s0, 8
	s_ashr_i32 s0, s9, 31
	s_lshr_b32 s0, s0, 27
	s_add_i32 s0, s9, s0
	s_mul_i32 s2, s2, s14
	s_ashr_i32 s9, s0, 5
	s_ashr_i32 s0, s2, 31
	s_waitcnt lgkmcnt(0)
	s_add_u32 s1, s4, s2
	s_mul_i32 s2, s19, s18
	s_addc_u32 s0, s5, s0
	s_mul_hi_i32 s3, s2, 0x54
	s_mulk_i32 s2, 0x54
	s_add_u32 s20, s1, s2
	s_addc_u32 s21, s0, s3
	v_lshlrev_b32_e32 v2, 2, v0
	s_movk_i32 s0, 0x84
	v_mad_u32_u24 v17, v1, s0, v2
	s_lshl_b32 s0, s19, 3
	v_mov_b32_e32 v3, s0
	v_mad_i32_i24 v18, s19, v1, v3
	v_add_u32_e32 v20, s0, v18
	v_add_u32_e32 v22, s0, v20
	;; [unrolled: 1-line block ×11, first 2 shown]
	v_lshlrev_b32_e32 v3, 4, v1
	v_lshrrev_b32_e32 v4, 1, v0
	v_add_u32_e32 v42, s0, v40
	v_and_b32_e32 v48, 1, v0
	v_add_u32_e32 v4, v4, v3
	v_add_u32_e32 v44, s0, v42
	v_and_b32_e32 v5, 0x7f, v4
	v_lshlrev_b32_e32 v6, 2, v48
	v_lshrrev_b32_e32 v4, 2, v4
	v_add_u32_e32 v46, s0, v44
	v_mul_i32_i24_e32 v49, s19, v5
	v_lshl_or_b32 v5, v5, 3, v6
	v_and_b32_e32 v4, 28, v4
	s_movk_i32 s0, 0x5280
	v_lshrrev_b32_e32 v51, 3, v0
	v_mov_b32_e32 v58, 0x56a0
	s_abs_i32 s2, s11
	v_mul_i32_i24_e32 v16, s19, v1
	v_add3_u32 v50, v5, v4, s0
	v_lshl_add_u32 v4, v1, 2, v51
	v_lshl_add_u32 v58, v1, 7, v58
	v_cvt_f32_u32_e32 v1, s2
	s_lshl_b32 s1, s19, 5
	v_mov_b32_e32 v9, s1
	v_and_b32_e32 v5, 7, v0
	v_rcp_iflag_f32_e32 v1, v1
	v_mul_i32_i24_e32 v54, s19, v4
	v_and_b32_e32 v6, 0x7fc, v4
	v_lshlrev_b32_e32 v7, 5, v4
	v_mul_f32_e32 v1, 0x4f7ffffe, v1
	v_cvt_u32_f32_e32 v1, v1
	v_add_u32_e32 v8, 32, v4
	v_mad_i32_i24 v55, s19, v4, v9
	v_add_u32_e32 v10, 64, v4
	v_add_u32_e32 v4, 0x60, v4
	v_cmp_lt_u32_e32 vcc, 3, v5
	v_lshlrev_b32_e32 v5, 2, v5
	s_movk_i32 s0, 0x4200
	v_and_b32_e32 v9, 0xffc, v8
	v_and_b32_e32 v11, 0xffc, v10
	v_lshlrev_b32_e32 v63, 5, v10
	v_and_b32_e32 v10, 0xffc, v4
	v_add3_u32 v6, v6, v5, s0
	v_add3_u32 v9, v9, v5, s0
	;; [unrolled: 1-line block ×4, first 2 shown]
	v_and_b32_e32 v10, 31, v0
	s_sub_i32 s0, 0, s2
	v_lshl_add_u32 v59, v10, 2, v58
	v_mul_lo_u32 v10, s0, v1
	s_waitcnt vmcnt(0)
	v_sub_u32_e32 v64, 0, v12
	v_max_i32_e32 v67, v12, v64
	v_add_u32_e32 v56, s1, v55
	v_mul_hi_u32 v10, v1, v10
	v_add_u32_e32 v57, s1, v56
	v_xor_b32_e32 v68, s11, v12
	v_ashrrev_i32_e32 v68, 31, v68
	v_add_u32_e32 v1, v1, v10
	v_mul_hi_u32 v1, v67, v1
	v_and_b32_e32 v11, 28, v2
	v_add_u32_e32 v61, 0x5aa0, v3
	v_and_b32_e32 v15, 60, v2
	v_mul_lo_u32 v10, v1, s2
	v_and_b32_e32 v53, 12, v2
	v_add_u32_e32 v62, v61, v2
	v_mul_u32_u24_e32 v2, 33, v0
	v_sub_u32_e32 v10, v67, v10
	v_add_u32_e32 v67, 1, v1
	v_cmp_le_u32_e64 s[0:1], s2, v10
	v_cndmask_b32_e64 v1, v1, v67, s[0:1]
	v_subrev_u32_e32 v67, s2, v10
	v_cndmask_b32_e64 v10, v10, v67, s[0:1]
	v_add_u32_e32 v67, 1, v1
	v_cmp_le_u32_e64 s[0:1], s2, v10
	v_cndmask_b32_e64 v1, v1, v67, s[0:1]
	v_xor_b32_e32 v1, v1, v68
	v_sub_u32_e32 v1, v1, v68
	v_add_u32_e32 v70, 0x60, v0
	v_cmp_gt_i32_e64 s[0:1], s8, v1
	v_mul_lo_u32 v67, v1, s9
	v_mov_b32_e32 v1, s7
	v_add_co_u32_e64 v10, s[2:3], s6, v11
	v_addc_co_u32_e64 v11, s[2:3], 0, v1, s[2:3]
	v_lshlrev_b32_e32 v68, 2, v2
	v_lshlrev_b32_e32 v1, 5, v0
	v_and_b32_e32 v2, 0x1fc, v70
	v_add_u32_e32 v73, 32, v0
	v_lshlrev_b32_e32 v87, 1, v70
	v_lshrrev_b32_e32 v86, 4, v70
	v_lshrrev_b32_e32 v66, 3, v70
	v_add_u32_e32 v70, v1, v2
	v_and_b32_e32 v2, 0xfc, v0
	v_add_u32_e32 v74, 64, v0
	v_add_u32_e32 v71, v1, v2
	v_and_b32_e32 v2, 0x1fc, v73
	v_cndmask_b32_e64 v52, 0, 1, vcc
	v_lshlrev_b32_e32 v8, 5, v8
	v_lshlrev_b32_e32 v4, 5, v4
	v_cmp_gt_u32_e32 vcc, 4, v0
	v_lshlrev_b32_e32 v3, 1, v0
	v_lshlrev_b32_e32 v83, 1, v73
	v_lshrrev_b32_e32 v82, 4, v73
	v_lshlrev_b32_e32 v85, 1, v74
	v_lshrrev_b32_e32 v84, 4, v74
	v_lshrrev_b32_e32 v64, 3, v73
	v_add_u32_e32 v73, v1, v2
	v_and_b32_e32 v2, 0x1fc, v74
	s_movk_i32 s14, 0x54
	v_lshrrev_b32_e32 v14, 4, v0
	s_mov_b32 s22, 0
	v_mov_b32_e32 v13, 0
	v_add_u32_e32 v19, 0x420, v17
	v_add_u32_e32 v21, 0x840, v17
	;; [unrolled: 1-line block ×15, first 2 shown]
	v_lshrrev_b32_e32 v65, 3, v74
	s_and_b64 s[4:5], vcc, s[0:1]
	v_ashrrev_i32_e32 v69, 31, v67
	v_add_u32_e32 v72, 0x4200, v71
	v_add_u32_e32 v74, v1, v2
	v_add_u32_e32 v75, v6, v7
	v_add_u32_e32 v76, v9, v8
	v_add_u32_e32 v77, v60, v63
	v_add_u32_e32 v78, v5, v4
	s_mov_b32 s23, 0x1010101
	v_lshlrev_b32_e32 v79, 2, v3
	v_mov_b32_e32 v80, 4
	v_mov_b32_e32 v81, 15
	v_lshlrev_b32_e32 v82, 2, v82
	v_lshlrev_b32_e32 v83, 2, v83
	;; [unrolled: 1-line block ×6, first 2 shown]
	v_mov_b32_e32 v63, 0
	v_mov_b32_e32 v60, 0
	;; [unrolled: 1-line block ×3, first 2 shown]
	s_branch .LBB207_5
.LBB207_4:                              ;   in Loop: Header=BB207_5 Depth=1
	s_add_i32 s22, s22, 2
	s_cmp_ge_i32 s22, s19
	s_cbranch_scc1 .LBB207_37
.LBB207_5:                              ; =>This Loop Header: Depth=1
                                        ;     Child Loop BB207_11 Depth 2
                                        ;     Child Loop BB207_19 Depth 2
	;; [unrolled: 1-line block ×4, first 2 shown]
	s_mul_i32 s2, s22, 0x54
	s_mul_hi_u32 s3, s22, 0x54
	s_add_u32 s2, s20, s2
	s_addc_u32 s3, s21, s3
	v_mov_b32_e32 v1, s2
	v_mov_b32_e32 v2, s3
	v_mad_u64_u32 v[3:4], s[2:3], v14, s14, v[1:2]
	s_lshl_b32 s24, s22, 8
	s_cmp_lt_i32 s24, s15
	v_mad_u64_u32 v[5:6], s[2:3], v16, s14, v[3:4]
	v_mad_u64_u32 v[7:8], s[2:3], v18, s14, v[3:4]
	v_add_co_u32_e64 v5, s[2:3], v5, v15
	v_addc_co_u32_e64 v6, s[2:3], 0, v6, s[2:3]
	v_add_co_u32_e64 v7, s[2:3], v7, v15
	v_addc_co_u32_e64 v8, s[2:3], 0, v8, s[2:3]
	v_mad_u64_u32 v[88:89], s[2:3], v20, s14, v[3:4]
	v_mad_u64_u32 v[90:91], s[2:3], v22, s14, v[3:4]
	v_add_co_u32_e64 v88, s[2:3], v88, v15
	v_addc_co_u32_e64 v89, s[2:3], 0, v89, s[2:3]
	v_add_co_u32_e64 v90, s[2:3], v90, v15
	v_addc_co_u32_e64 v91, s[2:3], 0, v91, s[2:3]
	;; [unrolled: 6-line block ×4, first 2 shown]
	global_load_dword v100, v[5:6], off offset:16
	global_load_dword v101, v[7:8], off offset:16
	;; [unrolled: 1-line block ×7, first 2 shown]
	s_nop 0
	global_load_dword v98, v[98:99], off offset:16
	v_mad_u64_u32 v[5:6], s[2:3], v32, s14, v[3:4]
	v_mad_u64_u32 v[7:8], s[2:3], v34, s14, v[3:4]
	v_add_co_u32_e64 v5, s[2:3], v5, v15
	v_addc_co_u32_e64 v6, s[2:3], 0, v6, s[2:3]
	v_add_co_u32_e64 v7, s[2:3], v7, v15
	v_addc_co_u32_e64 v8, s[2:3], 0, v8, s[2:3]
	v_mad_u64_u32 v[88:89], s[2:3], v36, s14, v[3:4]
	v_mad_u64_u32 v[90:91], s[2:3], v38, s14, v[3:4]
	v_add_co_u32_e64 v88, s[2:3], v88, v15
	v_addc_co_u32_e64 v89, s[2:3], 0, v89, s[2:3]
	v_add_co_u32_e64 v90, s[2:3], v90, v15
	v_addc_co_u32_e64 v91, s[2:3], 0, v91, s[2:3]
	;; [unrolled: 6-line block ×4, first 2 shown]
	global_load_dword v99, v[5:6], off offset:16
	global_load_dword v107, v[7:8], off offset:16
	;; [unrolled: 1-line block ×3, first 2 shown]
	s_nop 0
	global_load_dword v90, v[90:91], off offset:16
	s_nop 0
	global_load_dword v91, v[92:93], off offset:16
	;; [unrolled: 2-line block ×3, first 2 shown]
	global_load_dword v93, v[96:97], off offset:16
	s_nop 0
	global_load_dword v94, v[3:4], off offset:16
	v_mad_u64_u32 v[3:4], s[2:3], v49, s14, v[1:2]
	v_mad_u64_u32 v[1:2], s[2:3], v52, s14, v[1:2]
	;; [unrolled: 1-line block ×3, first 2 shown]
	v_add_co_u32_e64 v1, s[2:3], v1, v53
	v_addc_co_u32_e64 v2, s[2:3], 0, v2, s[2:3]
	v_mad_u64_u32 v[5:6], s[2:3], v54, s14, v[1:2]
	v_mad_u64_u32 v[7:8], s[2:3], v55, s14, v[1:2]
	;; [unrolled: 1-line block ×4, first 2 shown]
	global_load_dword v3, v[3:4], off offset:80
	s_nop 0
	global_load_dword v4, v[5:6], off
	s_nop 0
	global_load_dword v5, v[7:8], off
	global_load_dword v6, v[88:89], off
	s_nop 0
	global_load_dword v1, v[1:2], off
	s_waitcnt vmcnt(20)
	ds_write_b32 v17, v100
	s_waitcnt vmcnt(19)
	ds_write_b32 v19, v101
	;; [unrolled: 2-line block ×21, first 2 shown]
	s_cbranch_scc0 .LBB207_4
; %bb.6:                                ;   in Loop: Header=BB207_5 Depth=1
	s_lshl_b32 s25, s22, 3
	v_add_u32_e32 v1, s25, v51
	v_cmp_gt_i32_e64 s[2:3], s9, v1
	s_and_b64 s[16:17], s[0:1], s[2:3]
	s_and_saveexec_b64 s[2:3], s[16:17]
	s_cbranch_execz .LBB207_8
; %bb.7:                                ;   in Loop: Header=BB207_5 Depth=1
	v_add_u32_e32 v1, v67, v1
	v_mad_i64_i32 v[1:2], s[16:17], v1, 36, v[10:11]
	global_load_dword v1, v[1:2], off offset:4
	s_waitcnt vmcnt(0)
	ds_write_b32 v59, v1
.LBB207_8:                              ;   in Loop: Header=BB207_5 Depth=1
	s_or_b64 exec, exec, s[2:3]
	v_add_u32_e32 v89, s25, v0
	v_cmp_gt_i32_e64 s[2:3], s9, v89
	s_and_b64 s[16:17], s[4:5], s[2:3]
	s_and_saveexec_b64 s[2:3], s[16:17]
	s_cbranch_execz .LBB207_10
; %bb.9:                                ;   in Loop: Header=BB207_5 Depth=1
	v_add_u32_e32 v1, v67, v89
	v_mad_i64_i32 v[1:2], s[16:17], v1, 36, s[6:7]
	global_load_dword v1, v[1:2], off
	s_waitcnt vmcnt(0)
	v_cvt_f32_f16_e32 v1, v1
	ds_write_b32 v62, v1
.LBB207_10:                             ;   in Loop: Header=BB207_5 Depth=1
	s_or_b64 exec, exec, s[2:3]
	s_mov_b32 s2, 0
	v_mov_b32_e32 v90, v61
	v_mov_b32_e32 v91, v58
	s_waitcnt lgkmcnt(0)
	s_barrier
.LBB207_11:                             ;   Parent Loop BB207_5 Depth=1
                                        ; =>  This Inner Loop Header: Depth=2
	s_and_b32 s16, s2, 0x3ffffff8
	v_lshl_add_u32 v93, s16, 2, v68
	ds_read_b32 v92, v90
	ds_read_b128 v[5:8], v91
	ds_read_b128 v[1:4], v91 offset:16
	ds_read2_b32 v[94:95], v93 offset1:1
	s_lshr_b32 s16, s2, 2
	s_and_b32 s16, s16, 0x3ffffffc
	s_and_b32 s3, s2, -16
	s_addk_i32 s16, 0x5280
	s_waitcnt lgkmcnt(0)
	v_ashrrev_i32_e32 v88, s2, v94
	v_and_b32_e32 v96, 0x3030303, v88
	v_ashrrev_i32_e32 v88, s2, v95
	ds_read2_b32 v[94:95], v93 offset0:2 offset1:3
	v_and_b32_e32 v97, 0x3030303, v88
	s_add_i32 s3, s2, s3
	v_dot4_i32_i8 v96, v96, v5, 0
	v_dot4_i32_i8 v96, v97, v6, v96
	s_waitcnt lgkmcnt(0)
	v_ashrrev_i32_e32 v88, s2, v94
	v_and_b32_e32 v98, 0x3030303, v88
	v_ashrrev_i32_e32 v88, s2, v95
	ds_read2_b32 v[94:95], v93 offset0:4 offset1:5
	v_and_b32_e32 v99, 0x3030303, v88
	v_dot4_i32_i8 v96, v98, v7, v96
	v_dot4_i32_i8 v96, v99, v8, v96
	v_add_u32_e32 v91, 32, v91
	s_waitcnt lgkmcnt(0)
	v_ashrrev_i32_e32 v88, s2, v94
	v_and_b32_e32 v100, 0x3030303, v88
	v_ashrrev_i32_e32 v88, s2, v95
	ds_read2_b32 v[94:95], v93 offset0:6 offset1:7
	v_and_b32_e32 v101, 0x3030303, v88
	v_dot4_i32_i8 v98, v100, v1, 0
	v_dot4_i32_i8 v98, v101, v2, v98
	v_add_u32_e32 v90, 4, v90
	s_waitcnt lgkmcnt(0)
	v_ashrrev_i32_e32 v88, s2, v94
	v_and_b32_e32 v102, 0x3030303, v88
	v_ashrrev_i32_e32 v88, s2, v95
	v_and_b32_e32 v95, 0x3030303, v88
	v_lshlrev_b32_e32 v88, 2, v14
	v_add3_u32 v103, s16, v88, v79
	v_add_u32_e32 v94, s3, v72
	ds_read_b32 v103, v103
	ds_read_u16 v104, v94
	v_dot4_i32_i8 v98, v102, v3, v98
	v_dot4_i32_i8 v95, v95, v4, v98
	s_waitcnt lgkmcnt(0)
	v_bfe_u32 v94, v104, 4, 4
	v_mul_lo_u32 v94, v94, s23
	v_dot4_i32_i8 v105, v94, v5, 0
	v_dot4_i32_i8 v97, v94, v6, v105
	;; [unrolled: 1-line block ×4, first 2 shown]
	v_and_b32_e32 v94, 15, v104
	v_mul_lo_u32 v94, v94, v96
	v_lshrrev_b32_sdwa v96, v80, v104 dst_sel:DWORD dst_unused:UNUSED_PAD src0_sel:DWORD src1_sel:BYTE_1
	v_mul_lo_u32 v96, v96, s23
	v_dot4_i32_i8 v97, v96, v1, v97
	v_dot4_i32_i8 v97, v96, v2, v97
	;; [unrolled: 1-line block ×4, first 2 shown]
	v_and_b32_sdwa v97, v104, v81 dst_sel:DWORD dst_unused:UNUSED_PAD src0_sel:BYTE_1 src1_sel:DWORD
	v_mad_u64_u32 v[94:95], s[26:27], v97, v95, v[94:95]
	v_cvt_f32_f16_sdwa v95, v103 dst_sel:DWORD dst_unused:UNUSED_PAD src0_sel:WORD_1
	v_cvt_f32_i32_e32 v96, v96
	v_cvt_f32_i32_e32 v94, v94
	v_mul_f32_e32 v95, v95, v96
	v_fma_mix_f32 v94, v103, v94, -v95 op_sel_hi:[1,0,0]
	v_fmac_f32_e32 v13, v92, v94
	v_add_u32_e32 v94, 0x1080, v93
	ds_read2_b32 v[94:95], v94 offset1:1
	v_add3_u32 v103, s16, v82, v83
	s_waitcnt lgkmcnt(0)
	v_ashrrev_i32_e32 v94, s2, v94
	v_and_b32_e32 v96, 0x3030303, v94
	v_ashrrev_i32_e32 v94, s2, v95
	v_and_b32_e32 v97, 0x3030303, v94
	v_add_u32_e32 v94, 0x1088, v93
	ds_read2_b32 v[94:95], v94 offset1:1
	v_dot4_i32_i8 v96, v96, v5, 0
	v_dot4_i32_i8 v96, v97, v6, v96
	s_waitcnt lgkmcnt(0)
	v_ashrrev_i32_e32 v94, s2, v94
	v_and_b32_e32 v98, 0x3030303, v94
	v_ashrrev_i32_e32 v94, s2, v95
	v_and_b32_e32 v99, 0x3030303, v94
	v_add_u32_e32 v94, 0x1090, v93
	ds_read2_b32 v[94:95], v94 offset1:1
	v_dot4_i32_i8 v96, v98, v7, v96
	v_dot4_i32_i8 v96, v99, v8, v96
	;; [unrolled: 9-line block ×3, first 2 shown]
	s_waitcnt lgkmcnt(0)
	v_ashrrev_i32_e32 v94, s2, v94
	v_and_b32_e32 v102, 0x3030303, v94
	v_ashrrev_i32_e32 v94, s2, v95
	v_and_b32_e32 v95, 0x3030303, v94
	v_add_u32_e32 v94, s3, v73
	ds_read_b32 v103, v103
	ds_read_u16 v104, v94 offset:17920
	v_dot4_i32_i8 v98, v102, v3, v98
	v_dot4_i32_i8 v95, v95, v4, v98
	s_waitcnt lgkmcnt(0)
	v_bfe_u32 v94, v104, 4, 4
	v_mul_lo_u32 v94, v94, s23
	v_dot4_i32_i8 v105, v94, v5, 0
	v_dot4_i32_i8 v97, v94, v6, v105
	v_dot4_i32_i8 v97, v94, v7, v97
	v_dot4_i32_i8 v97, v94, v8, v97
	v_and_b32_e32 v94, 15, v104
	v_mul_lo_u32 v94, v94, v96
	v_lshrrev_b32_sdwa v96, v80, v104 dst_sel:DWORD dst_unused:UNUSED_PAD src0_sel:DWORD src1_sel:BYTE_1
	v_mul_lo_u32 v96, v96, s23
	v_dot4_i32_i8 v97, v96, v1, v97
	v_dot4_i32_i8 v97, v96, v2, v97
	;; [unrolled: 1-line block ×4, first 2 shown]
	v_and_b32_sdwa v97, v104, v81 dst_sel:DWORD dst_unused:UNUSED_PAD src0_sel:BYTE_1 src1_sel:DWORD
	v_mad_u64_u32 v[94:95], s[26:27], v97, v95, v[94:95]
	v_cvt_f32_f16_sdwa v95, v103 dst_sel:DWORD dst_unused:UNUSED_PAD src0_sel:WORD_1
	v_cvt_f32_i32_e32 v96, v96
	v_cvt_f32_i32_e32 v94, v94
	v_mul_f32_e32 v95, v95, v96
	v_fma_mix_f32 v94, v103, v94, -v95 op_sel_hi:[1,0,0]
	v_fmac_f32_e32 v63, v92, v94
	v_add_u32_e32 v94, 0x2100, v93
	ds_read2_b32 v[94:95], v94 offset1:1
	v_add3_u32 v103, s16, v84, v85
	s_waitcnt lgkmcnt(0)
	v_ashrrev_i32_e32 v94, s2, v94
	v_and_b32_e32 v96, 0x3030303, v94
	v_ashrrev_i32_e32 v94, s2, v95
	v_and_b32_e32 v97, 0x3030303, v94
	v_add_u32_e32 v94, 0x2108, v93
	ds_read2_b32 v[94:95], v94 offset1:1
	v_dot4_i32_i8 v96, v96, v5, 0
	v_dot4_i32_i8 v96, v97, v6, v96
	s_waitcnt lgkmcnt(0)
	v_ashrrev_i32_e32 v94, s2, v94
	v_and_b32_e32 v98, 0x3030303, v94
	v_ashrrev_i32_e32 v94, s2, v95
	v_and_b32_e32 v99, 0x3030303, v94
	v_add_u32_e32 v94, 0x2110, v93
	ds_read2_b32 v[94:95], v94 offset1:1
	v_dot4_i32_i8 v96, v98, v7, v96
	v_dot4_i32_i8 v96, v99, v8, v96
	;; [unrolled: 9-line block ×3, first 2 shown]
	v_add_u32_e32 v101, s3, v70
	s_waitcnt lgkmcnt(0)
	v_ashrrev_i32_e32 v94, s2, v94
	v_and_b32_e32 v102, 0x3030303, v94
	v_ashrrev_i32_e32 v94, s2, v95
	v_and_b32_e32 v95, 0x3030303, v94
	v_add_u32_e32 v94, s3, v74
	ds_read_b32 v103, v103
	ds_read_u16 v104, v94 offset:18944
	v_dot4_i32_i8 v98, v102, v3, v98
	v_dot4_i32_i8 v95, v95, v4, v98
	v_add3_u32 v102, s16, v86, v87
	s_add_i32 s3, s2, 2
	s_waitcnt lgkmcnt(0)
	v_bfe_u32 v94, v104, 4, 4
	v_mul_lo_u32 v94, v94, s23
	s_cmp_lt_u32 s2, 6
	v_dot4_i32_i8 v105, v94, v5, 0
	v_dot4_i32_i8 v97, v94, v6, v105
	;; [unrolled: 1-line block ×4, first 2 shown]
	v_and_b32_e32 v94, 15, v104
	v_mul_lo_u32 v94, v94, v96
	v_lshrrev_b32_sdwa v96, v80, v104 dst_sel:DWORD dst_unused:UNUSED_PAD src0_sel:DWORD src1_sel:BYTE_1
	v_mul_lo_u32 v96, v96, s23
	v_dot4_i32_i8 v97, v96, v1, v97
	v_dot4_i32_i8 v97, v96, v2, v97
	;; [unrolled: 1-line block ×4, first 2 shown]
	v_and_b32_sdwa v97, v104, v81 dst_sel:DWORD dst_unused:UNUSED_PAD src0_sel:BYTE_1 src1_sel:DWORD
	v_mad_u64_u32 v[94:95], s[26:27], v97, v95, v[94:95]
	v_cvt_f32_f16_sdwa v95, v103 dst_sel:DWORD dst_unused:UNUSED_PAD src0_sel:WORD_1
	v_cvt_f32_i32_e32 v96, v96
	v_cvt_f32_i32_e32 v94, v94
	v_mul_f32_e32 v95, v95, v96
	v_fma_mix_f32 v94, v103, v94, -v95 op_sel_hi:[1,0,0]
	v_fmac_f32_e32 v60, v92, v94
	v_add_u32_e32 v94, 0x3180, v93
	ds_read2_b32 v[94:95], v94 offset1:1
	s_waitcnt lgkmcnt(0)
	v_ashrrev_i32_e32 v94, s2, v94
	v_and_b32_e32 v96, 0x3030303, v94
	v_ashrrev_i32_e32 v94, s2, v95
	v_and_b32_e32 v97, 0x3030303, v94
	v_add_u32_e32 v94, 0x3188, v93
	ds_read2_b32 v[94:95], v94 offset1:1
	v_dot4_i32_i8 v96, v96, v5, 0
	v_dot4_i32_i8 v96, v97, v6, v96
	s_waitcnt lgkmcnt(0)
	v_ashrrev_i32_e32 v94, s2, v94
	v_and_b32_e32 v98, 0x3030303, v94
	v_ashrrev_i32_e32 v94, s2, v95
	v_and_b32_e32 v99, 0x3030303, v94
	v_add_u32_e32 v94, 0x3190, v93
	ds_read2_b32 v[94:95], v94 offset1:1
	v_add_u32_e32 v93, 0x3198, v93
	s_waitcnt lgkmcnt(0)
	v_ashrrev_i32_e32 v94, s2, v94
	v_and_b32_e32 v100, 0x3030303, v94
	v_ashrrev_i32_e32 v94, s2, v95
	v_and_b32_e32 v95, 0x3030303, v94
	ds_read2_b32 v[93:94], v93 offset1:1
	ds_read_b32 v102, v102
	ds_read_u16 v101, v101 offset:19968
	s_waitcnt lgkmcnt(2)
	v_ashrrev_i32_e32 v93, s2, v93
	s_waitcnt lgkmcnt(0)
	v_bfe_u32 v103, v101, 4, 4
	v_mul_lo_u32 v103, v103, s23
	v_and_b32_e32 v93, 0x3030303, v93
	v_ashrrev_i32_e32 v94, s2, v94
	v_and_b32_e32 v94, 0x3030303, v94
	v_dot4_i32_i8 v5, v103, v5, 0
	v_dot4_i32_i8 v5, v103, v6, v5
	;; [unrolled: 1-line block ×6, first 2 shown]
	v_and_b32_e32 v5, 15, v101
	v_mul_lo_u32 v5, v5, v6
	v_lshrrev_b32_sdwa v6, v80, v101 dst_sel:DWORD dst_unused:UNUSED_PAD src0_sel:DWORD src1_sel:BYTE_1
	v_mul_lo_u32 v6, v6, s23
	v_dot4_i32_i8 v8, v100, v1, 0
	s_mov_b32 s2, s3
	v_dot4_i32_i8 v1, v6, v1, v7
	v_dot4_i32_i8 v7, v95, v2, v8
	;; [unrolled: 1-line block ×7, first 2 shown]
	v_and_b32_sdwa v1, v101, v81 dst_sel:DWORD dst_unused:UNUSED_PAD src0_sel:BYTE_1 src1_sel:DWORD
	v_mad_u64_u32 v[1:2], s[16:17], v1, v2, v[5:6]
	v_cvt_f32_f16_sdwa v2, v102 dst_sel:DWORD dst_unused:UNUSED_PAD src0_sel:WORD_1
	v_cvt_f32_i32_e32 v3, v3
	v_cvt_f32_i32_e32 v1, v1
	v_mul_f32_e32 v2, v2, v3
	v_fma_mix_f32 v1, v102, v1, -v2 op_sel_hi:[1,0,0]
	v_fmac_f32_e32 v9, v92, v1
	s_cbranch_scc1 .LBB207_11
; %bb.12:                               ;   in Loop: Header=BB207_5 Depth=1
	s_or_b32 s2, s24, 0x80
	s_cmp_ge_i32 s2, s15
	s_barrier
	s_cbranch_scc1 .LBB207_4
; %bb.13:                               ;   in Loop: Header=BB207_5 Depth=1
	v_add_u32_e32 v1, s25, v64
	v_cmp_gt_i32_e64 s[2:3], s9, v1
	s_and_b64 s[16:17], s[0:1], s[2:3]
	s_and_saveexec_b64 s[2:3], s[16:17]
	s_cbranch_execz .LBB207_15
; %bb.14:                               ;   in Loop: Header=BB207_5 Depth=1
	v_add_u32_e32 v1, v67, v1
	v_mad_i64_i32 v[1:2], s[16:17], v1, 36, v[10:11]
	global_load_dword v1, v[1:2], off offset:4
	s_waitcnt vmcnt(0)
	ds_write_b32 v59, v1
.LBB207_15:                             ;   in Loop: Header=BB207_5 Depth=1
	s_or_b64 exec, exec, s[2:3]
	s_and_saveexec_b64 s[16:17], vcc
	s_cbranch_execz .LBB207_18
; %bb.16:                               ;   in Loop: Header=BB207_5 Depth=1
	v_or_b32_e32 v1, 4, v89
	v_cmp_gt_i32_e64 s[2:3], s9, v1
	s_and_b64 s[2:3], s[0:1], s[2:3]
	s_and_b64 exec, exec, s[2:3]
	s_cbranch_execz .LBB207_18
; %bb.17:                               ;   in Loop: Header=BB207_5 Depth=1
	v_ashrrev_i32_e32 v1, 31, v89
	v_add_co_u32_e64 v2, s[2:3], v67, v89
	v_addc_co_u32_e64 v3, s[2:3], v69, v1, s[2:3]
	v_mad_u64_u32 v[1:2], s[2:3], v2, 36, s[6:7]
	v_mad_i32_i24 v2, v3, 36, v2
	global_load_dword v1, v[1:2], off offset:144
	s_waitcnt vmcnt(0)
	v_cvt_f32_f16_e32 v1, v1
	ds_write_b32 v62, v1
.LBB207_18:                             ;   in Loop: Header=BB207_5 Depth=1
	s_or_b64 exec, exec, s[16:17]
	s_mov_b32 s2, 8
	v_mov_b32_e32 v90, v58
	v_mov_b32_e32 v91, v61
	s_waitcnt lgkmcnt(0)
	s_barrier
.LBB207_19:                             ;   Parent Loop BB207_5 Depth=1
                                        ; =>  This Inner Loop Header: Depth=2
	s_and_b32 s17, s2, 0x3ffffff8
	v_lshl_add_u32 v93, s17, 2, v68
	ds_read_b32 v92, v91
	ds_read_b128 v[5:8], v90
	ds_read_b128 v[1:4], v90 offset:16
	ds_read2_b32 v[94:95], v93 offset1:1
	s_add_i32 s3, s2, -8
	s_lshr_b32 s17, s2, 2
	s_and_b32 s17, s17, 0x3ffffffc
	s_and_b32 s16, s2, -16
	s_waitcnt lgkmcnt(0)
	v_ashrrev_i32_e32 v94, s3, v94
	v_and_b32_e32 v96, 0x3030303, v94
	v_ashrrev_i32_e32 v94, s3, v95
	v_and_b32_e32 v97, 0x3030303, v94
	ds_read2_b32 v[94:95], v93 offset0:2 offset1:3
	s_addk_i32 s17, 0x5280
	s_add_i32 s16, s2, s16
	v_add3_u32 v103, s17, v88, v79
	v_dot4_i32_i8 v96, v96, v5, 0
	s_waitcnt lgkmcnt(0)
	v_ashrrev_i32_e32 v94, s3, v94
	v_and_b32_e32 v98, 0x3030303, v94
	v_ashrrev_i32_e32 v94, s3, v95
	v_and_b32_e32 v99, 0x3030303, v94
	ds_read2_b32 v[94:95], v93 offset0:4 offset1:5
	v_dot4_i32_i8 v96, v97, v6, v96
	v_dot4_i32_i8 v96, v98, v7, v96
	;; [unrolled: 1-line block ×3, first 2 shown]
	v_add_u32_e32 v91, 4, v91
	s_waitcnt lgkmcnt(0)
	v_ashrrev_i32_e32 v94, s3, v94
	v_and_b32_e32 v100, 0x3030303, v94
	v_ashrrev_i32_e32 v94, s3, v95
	v_and_b32_e32 v101, 0x3030303, v94
	ds_read2_b32 v[94:95], v93 offset0:6 offset1:7
	v_dot4_i32_i8 v98, v100, v1, 0
	v_dot4_i32_i8 v98, v101, v2, v98
	v_add_u32_e32 v90, 32, v90
	s_waitcnt lgkmcnt(0)
	v_ashrrev_i32_e32 v94, s3, v94
	v_and_b32_e32 v102, 0x3030303, v94
	v_ashrrev_i32_e32 v94, s3, v95
	v_and_b32_e32 v95, 0x3030303, v94
	v_add_u32_e32 v94, s16, v71
	ds_read_b32 v103, v103
	ds_read_u16 v104, v94 offset:16896
	v_dot4_i32_i8 v98, v102, v3, v98
	v_dot4_i32_i8 v95, v95, v4, v98
	s_waitcnt lgkmcnt(0)
	v_bfe_u32 v94, v104, 4, 4
	v_mul_lo_u32 v94, v94, s23
	v_dot4_i32_i8 v105, v94, v5, 0
	v_dot4_i32_i8 v97, v94, v6, v105
	;; [unrolled: 1-line block ×4, first 2 shown]
	v_and_b32_e32 v94, 15, v104
	v_mul_lo_u32 v94, v94, v96
	v_lshrrev_b32_sdwa v96, v80, v104 dst_sel:DWORD dst_unused:UNUSED_PAD src0_sel:DWORD src1_sel:BYTE_1
	v_mul_lo_u32 v96, v96, s23
	v_dot4_i32_i8 v97, v96, v1, v97
	v_dot4_i32_i8 v97, v96, v2, v97
	;; [unrolled: 1-line block ×4, first 2 shown]
	v_and_b32_sdwa v97, v104, v81 dst_sel:DWORD dst_unused:UNUSED_PAD src0_sel:BYTE_1 src1_sel:DWORD
	v_mad_u64_u32 v[94:95], s[26:27], v97, v95, v[94:95]
	v_cvt_f32_f16_sdwa v95, v103 dst_sel:DWORD dst_unused:UNUSED_PAD src0_sel:WORD_1
	v_cvt_f32_i32_e32 v96, v96
	v_cvt_f32_i32_e32 v94, v94
	v_mul_f32_e32 v95, v95, v96
	v_fma_mix_f32 v94, v103, v94, -v95 op_sel_hi:[1,0,0]
	v_fmac_f32_e32 v13, v92, v94
	v_add_u32_e32 v94, 0x1080, v93
	ds_read2_b32 v[94:95], v94 offset1:1
	v_add3_u32 v103, s17, v82, v83
	s_waitcnt lgkmcnt(0)
	v_ashrrev_i32_e32 v94, s3, v94
	v_and_b32_e32 v96, 0x3030303, v94
	v_ashrrev_i32_e32 v94, s3, v95
	v_and_b32_e32 v97, 0x3030303, v94
	v_add_u32_e32 v94, 0x1088, v93
	ds_read2_b32 v[94:95], v94 offset1:1
	v_dot4_i32_i8 v96, v96, v5, 0
	v_dot4_i32_i8 v96, v97, v6, v96
	s_waitcnt lgkmcnt(0)
	v_ashrrev_i32_e32 v94, s3, v94
	v_and_b32_e32 v98, 0x3030303, v94
	v_ashrrev_i32_e32 v94, s3, v95
	v_and_b32_e32 v99, 0x3030303, v94
	v_add_u32_e32 v94, 0x1090, v93
	ds_read2_b32 v[94:95], v94 offset1:1
	v_dot4_i32_i8 v96, v98, v7, v96
	v_dot4_i32_i8 v96, v99, v8, v96
	;; [unrolled: 9-line block ×3, first 2 shown]
	s_waitcnt lgkmcnt(0)
	v_ashrrev_i32_e32 v94, s3, v94
	v_and_b32_e32 v102, 0x3030303, v94
	v_ashrrev_i32_e32 v94, s3, v95
	v_and_b32_e32 v95, 0x3030303, v94
	v_add_u32_e32 v94, s16, v73
	ds_read_b32 v103, v103
	ds_read_u16 v104, v94 offset:17920
	v_dot4_i32_i8 v98, v102, v3, v98
	v_dot4_i32_i8 v95, v95, v4, v98
	s_waitcnt lgkmcnt(0)
	v_bfe_u32 v94, v104, 4, 4
	v_mul_lo_u32 v94, v94, s23
	v_dot4_i32_i8 v105, v94, v5, 0
	v_dot4_i32_i8 v97, v94, v6, v105
	;; [unrolled: 1-line block ×4, first 2 shown]
	v_and_b32_e32 v94, 15, v104
	v_mul_lo_u32 v94, v94, v96
	v_lshrrev_b32_sdwa v96, v80, v104 dst_sel:DWORD dst_unused:UNUSED_PAD src0_sel:DWORD src1_sel:BYTE_1
	v_mul_lo_u32 v96, v96, s23
	v_dot4_i32_i8 v97, v96, v1, v97
	v_dot4_i32_i8 v97, v96, v2, v97
	;; [unrolled: 1-line block ×4, first 2 shown]
	v_and_b32_sdwa v97, v104, v81 dst_sel:DWORD dst_unused:UNUSED_PAD src0_sel:BYTE_1 src1_sel:DWORD
	v_mad_u64_u32 v[94:95], s[26:27], v97, v95, v[94:95]
	v_cvt_f32_f16_sdwa v95, v103 dst_sel:DWORD dst_unused:UNUSED_PAD src0_sel:WORD_1
	v_cvt_f32_i32_e32 v96, v96
	v_cvt_f32_i32_e32 v94, v94
	v_mul_f32_e32 v95, v95, v96
	v_fma_mix_f32 v94, v103, v94, -v95 op_sel_hi:[1,0,0]
	v_fmac_f32_e32 v63, v92, v94
	v_add_u32_e32 v94, 0x2100, v93
	ds_read2_b32 v[94:95], v94 offset1:1
	v_add3_u32 v103, s17, v84, v85
	s_waitcnt lgkmcnt(0)
	v_ashrrev_i32_e32 v94, s3, v94
	v_and_b32_e32 v96, 0x3030303, v94
	v_ashrrev_i32_e32 v94, s3, v95
	v_and_b32_e32 v97, 0x3030303, v94
	v_add_u32_e32 v94, 0x2108, v93
	ds_read2_b32 v[94:95], v94 offset1:1
	v_dot4_i32_i8 v96, v96, v5, 0
	v_dot4_i32_i8 v96, v97, v6, v96
	s_waitcnt lgkmcnt(0)
	v_ashrrev_i32_e32 v94, s3, v94
	v_and_b32_e32 v98, 0x3030303, v94
	v_ashrrev_i32_e32 v94, s3, v95
	v_and_b32_e32 v99, 0x3030303, v94
	v_add_u32_e32 v94, 0x2110, v93
	ds_read2_b32 v[94:95], v94 offset1:1
	v_dot4_i32_i8 v96, v98, v7, v96
	v_dot4_i32_i8 v96, v99, v8, v96
	;; [unrolled: 9-line block ×3, first 2 shown]
	v_add_u32_e32 v101, s16, v70
	s_waitcnt lgkmcnt(0)
	v_ashrrev_i32_e32 v94, s3, v94
	v_and_b32_e32 v102, 0x3030303, v94
	v_ashrrev_i32_e32 v94, s3, v95
	v_and_b32_e32 v95, 0x3030303, v94
	v_add_u32_e32 v94, s16, v74
	ds_read_b32 v103, v103
	ds_read_u16 v104, v94 offset:18944
	v_dot4_i32_i8 v98, v102, v3, v98
	v_dot4_i32_i8 v95, v95, v4, v98
	v_add3_u32 v102, s17, v86, v87
	s_waitcnt lgkmcnt(0)
	v_bfe_u32 v94, v104, 4, 4
	v_mul_lo_u32 v94, v94, s23
	v_dot4_i32_i8 v105, v94, v5, 0
	v_dot4_i32_i8 v97, v94, v6, v105
	;; [unrolled: 1-line block ×4, first 2 shown]
	v_and_b32_e32 v94, 15, v104
	v_mul_lo_u32 v94, v94, v96
	v_lshrrev_b32_sdwa v96, v80, v104 dst_sel:DWORD dst_unused:UNUSED_PAD src0_sel:DWORD src1_sel:BYTE_1
	v_mul_lo_u32 v96, v96, s23
	v_dot4_i32_i8 v97, v96, v1, v97
	v_dot4_i32_i8 v97, v96, v2, v97
	;; [unrolled: 1-line block ×4, first 2 shown]
	v_and_b32_sdwa v97, v104, v81 dst_sel:DWORD dst_unused:UNUSED_PAD src0_sel:BYTE_1 src1_sel:DWORD
	v_mad_u64_u32 v[94:95], s[26:27], v97, v95, v[94:95]
	v_cvt_f32_f16_sdwa v95, v103 dst_sel:DWORD dst_unused:UNUSED_PAD src0_sel:WORD_1
	v_cvt_f32_i32_e32 v96, v96
	v_cvt_f32_i32_e32 v94, v94
	v_mul_f32_e32 v95, v95, v96
	v_fma_mix_f32 v94, v103, v94, -v95 op_sel_hi:[1,0,0]
	v_fmac_f32_e32 v60, v92, v94
	v_add_u32_e32 v94, 0x3180, v93
	ds_read2_b32 v[94:95], v94 offset1:1
	s_waitcnt lgkmcnt(0)
	v_ashrrev_i32_e32 v94, s3, v94
	v_and_b32_e32 v96, 0x3030303, v94
	v_ashrrev_i32_e32 v94, s3, v95
	v_and_b32_e32 v97, 0x3030303, v94
	v_add_u32_e32 v94, 0x3188, v93
	ds_read2_b32 v[94:95], v94 offset1:1
	v_dot4_i32_i8 v96, v96, v5, 0
	v_dot4_i32_i8 v96, v97, v6, v96
	s_waitcnt lgkmcnt(0)
	v_ashrrev_i32_e32 v94, s3, v94
	v_and_b32_e32 v98, 0x3030303, v94
	v_ashrrev_i32_e32 v94, s3, v95
	v_and_b32_e32 v99, 0x3030303, v94
	v_add_u32_e32 v94, 0x3190, v93
	ds_read2_b32 v[94:95], v94 offset1:1
	v_add_u32_e32 v93, 0x3198, v93
	s_waitcnt lgkmcnt(0)
	v_ashrrev_i32_e32 v94, s3, v94
	v_and_b32_e32 v100, 0x3030303, v94
	v_ashrrev_i32_e32 v94, s3, v95
	v_and_b32_e32 v95, 0x3030303, v94
	ds_read2_b32 v[93:94], v93 offset1:1
	ds_read_b32 v102, v102
	ds_read_u16 v101, v101 offset:19968
	s_waitcnt lgkmcnt(2)
	v_ashrrev_i32_e32 v93, s3, v93
	s_waitcnt lgkmcnt(0)
	v_bfe_u32 v103, v101, 4, 4
	v_mul_lo_u32 v103, v103, s23
	v_and_b32_e32 v93, 0x3030303, v93
	v_ashrrev_i32_e32 v94, s3, v94
	v_and_b32_e32 v94, 0x3030303, v94
	v_dot4_i32_i8 v5, v103, v5, 0
	v_dot4_i32_i8 v5, v103, v6, v5
	;; [unrolled: 1-line block ×6, first 2 shown]
	v_and_b32_e32 v5, 15, v101
	v_mul_lo_u32 v5, v5, v6
	v_lshrrev_b32_sdwa v6, v80, v101 dst_sel:DWORD dst_unused:UNUSED_PAD src0_sel:DWORD src1_sel:BYTE_1
	v_mul_lo_u32 v6, v6, s23
	v_dot4_i32_i8 v8, v100, v1, 0
	s_add_i32 s3, s2, 2
	s_cmp_lt_u32 s2, 14
	v_dot4_i32_i8 v1, v6, v1, v7
	v_dot4_i32_i8 v7, v95, v2, v8
	;; [unrolled: 1-line block ×7, first 2 shown]
	v_and_b32_sdwa v1, v101, v81 dst_sel:DWORD dst_unused:UNUSED_PAD src0_sel:BYTE_1 src1_sel:DWORD
	v_mad_u64_u32 v[1:2], s[16:17], v1, v2, v[5:6]
	v_cvt_f32_f16_sdwa v2, v102 dst_sel:DWORD dst_unused:UNUSED_PAD src0_sel:WORD_1
	v_cvt_f32_i32_e32 v3, v3
	v_cvt_f32_i32_e32 v1, v1
	s_mov_b32 s2, s3
	v_mul_f32_e32 v2, v2, v3
	v_fma_mix_f32 v1, v102, v1, -v2 op_sel_hi:[1,0,0]
	v_fmac_f32_e32 v9, v92, v1
	s_cbranch_scc1 .LBB207_19
; %bb.20:                               ;   in Loop: Header=BB207_5 Depth=1
	s_or_b32 s2, s24, 0x100
	s_cmp_ge_i32 s2, s15
	s_barrier
	s_cbranch_scc1 .LBB207_4
; %bb.21:                               ;   in Loop: Header=BB207_5 Depth=1
	v_add_u32_e32 v1, s25, v65
	v_cmp_gt_i32_e64 s[2:3], s9, v1
	s_and_b64 s[16:17], s[0:1], s[2:3]
	s_and_saveexec_b64 s[2:3], s[16:17]
	s_cbranch_execz .LBB207_23
; %bb.22:                               ;   in Loop: Header=BB207_5 Depth=1
	v_add_u32_e32 v1, v67, v1
	v_mad_i64_i32 v[1:2], s[16:17], v1, 36, v[10:11]
	global_load_dword v1, v[1:2], off offset:4
	s_waitcnt vmcnt(0)
	ds_write_b32 v59, v1
.LBB207_23:                             ;   in Loop: Header=BB207_5 Depth=1
	s_or_b64 exec, exec, s[2:3]
	s_and_saveexec_b64 s[16:17], vcc
	s_cbranch_execz .LBB207_26
; %bb.24:                               ;   in Loop: Header=BB207_5 Depth=1
	v_or_b32_e32 v1, 8, v89
	v_cmp_gt_i32_e64 s[2:3], s9, v1
	s_and_b64 s[2:3], s[0:1], s[2:3]
	s_and_b64 exec, exec, s[2:3]
	s_cbranch_execz .LBB207_26
; %bb.25:                               ;   in Loop: Header=BB207_5 Depth=1
	v_ashrrev_i32_e32 v1, 31, v89
	v_add_co_u32_e64 v2, s[2:3], v67, v89
	v_addc_co_u32_e64 v3, s[2:3], v69, v1, s[2:3]
	v_mad_u64_u32 v[1:2], s[2:3], v2, 36, s[6:7]
	v_mad_i32_i24 v2, v3, 36, v2
	global_load_dword v1, v[1:2], off offset:288
	s_waitcnt vmcnt(0)
	v_cvt_f32_f16_e32 v1, v1
	ds_write_b32 v62, v1
.LBB207_26:                             ;   in Loop: Header=BB207_5 Depth=1
	s_or_b64 exec, exec, s[16:17]
	s_mov_b32 s2, 16
	v_mov_b32_e32 v90, v58
	v_mov_b32_e32 v91, v61
	s_waitcnt lgkmcnt(0)
	s_barrier
.LBB207_27:                             ;   Parent Loop BB207_5 Depth=1
                                        ; =>  This Inner Loop Header: Depth=2
	s_and_b32 s17, s2, 0x3ffffff8
	v_lshl_add_u32 v93, s17, 2, v68
	ds_read_b32 v92, v91
	ds_read_b128 v[5:8], v90
	ds_read_b128 v[1:4], v90 offset:16
	ds_read2_b32 v[94:95], v93 offset1:1
	s_add_i32 s3, s2, -16
	s_lshr_b32 s17, s2, 2
	s_and_b32 s17, s17, 0x3ffffffc
	s_and_b32 s16, s2, -16
	s_waitcnt lgkmcnt(0)
	v_ashrrev_i32_e32 v94, s3, v94
	v_and_b32_e32 v96, 0x3030303, v94
	v_ashrrev_i32_e32 v94, s3, v95
	v_and_b32_e32 v97, 0x3030303, v94
	ds_read2_b32 v[94:95], v93 offset0:2 offset1:3
	s_addk_i32 s17, 0x5280
	s_add_i32 s16, s2, s16
	v_add3_u32 v103, s17, v88, v79
	v_dot4_i32_i8 v96, v96, v5, 0
	s_waitcnt lgkmcnt(0)
	v_ashrrev_i32_e32 v94, s3, v94
	v_and_b32_e32 v98, 0x3030303, v94
	v_ashrrev_i32_e32 v94, s3, v95
	v_and_b32_e32 v99, 0x3030303, v94
	ds_read2_b32 v[94:95], v93 offset0:4 offset1:5
	v_dot4_i32_i8 v96, v97, v6, v96
	v_dot4_i32_i8 v96, v98, v7, v96
	v_dot4_i32_i8 v96, v99, v8, v96
	v_add_u32_e32 v91, 4, v91
	s_waitcnt lgkmcnt(0)
	v_ashrrev_i32_e32 v94, s3, v94
	v_and_b32_e32 v100, 0x3030303, v94
	v_ashrrev_i32_e32 v94, s3, v95
	v_and_b32_e32 v101, 0x3030303, v94
	ds_read2_b32 v[94:95], v93 offset0:6 offset1:7
	v_dot4_i32_i8 v98, v100, v1, 0
	v_dot4_i32_i8 v98, v101, v2, v98
	v_add_u32_e32 v90, 32, v90
	s_waitcnt lgkmcnt(0)
	v_ashrrev_i32_e32 v94, s3, v94
	v_and_b32_e32 v102, 0x3030303, v94
	v_ashrrev_i32_e32 v94, s3, v95
	v_and_b32_e32 v95, 0x3030303, v94
	v_add_u32_e32 v94, s16, v71
	ds_read_b32 v103, v103
	ds_read_u16 v104, v94 offset:16880
	v_dot4_i32_i8 v98, v102, v3, v98
	v_dot4_i32_i8 v95, v95, v4, v98
	s_waitcnt lgkmcnt(0)
	v_bfe_u32 v94, v104, 4, 4
	v_mul_lo_u32 v94, v94, s23
	v_dot4_i32_i8 v105, v94, v5, 0
	v_dot4_i32_i8 v97, v94, v6, v105
	;; [unrolled: 1-line block ×4, first 2 shown]
	v_and_b32_e32 v94, 15, v104
	v_mul_lo_u32 v94, v94, v96
	v_lshrrev_b32_sdwa v96, v80, v104 dst_sel:DWORD dst_unused:UNUSED_PAD src0_sel:DWORD src1_sel:BYTE_1
	v_mul_lo_u32 v96, v96, s23
	v_dot4_i32_i8 v97, v96, v1, v97
	v_dot4_i32_i8 v97, v96, v2, v97
	;; [unrolled: 1-line block ×4, first 2 shown]
	v_and_b32_sdwa v97, v104, v81 dst_sel:DWORD dst_unused:UNUSED_PAD src0_sel:BYTE_1 src1_sel:DWORD
	v_mad_u64_u32 v[94:95], s[26:27], v97, v95, v[94:95]
	v_cvt_f32_f16_sdwa v95, v103 dst_sel:DWORD dst_unused:UNUSED_PAD src0_sel:WORD_1
	v_cvt_f32_i32_e32 v96, v96
	v_cvt_f32_i32_e32 v94, v94
	v_mul_f32_e32 v95, v95, v96
	v_fma_mix_f32 v94, v103, v94, -v95 op_sel_hi:[1,0,0]
	v_fmac_f32_e32 v13, v92, v94
	v_add_u32_e32 v94, 0x1080, v93
	ds_read2_b32 v[94:95], v94 offset1:1
	v_add3_u32 v103, s17, v82, v83
	s_waitcnt lgkmcnt(0)
	v_ashrrev_i32_e32 v94, s3, v94
	v_and_b32_e32 v96, 0x3030303, v94
	v_ashrrev_i32_e32 v94, s3, v95
	v_and_b32_e32 v97, 0x3030303, v94
	v_add_u32_e32 v94, 0x1088, v93
	ds_read2_b32 v[94:95], v94 offset1:1
	v_dot4_i32_i8 v96, v96, v5, 0
	v_dot4_i32_i8 v96, v97, v6, v96
	s_waitcnt lgkmcnt(0)
	v_ashrrev_i32_e32 v94, s3, v94
	v_and_b32_e32 v98, 0x3030303, v94
	v_ashrrev_i32_e32 v94, s3, v95
	v_and_b32_e32 v99, 0x3030303, v94
	v_add_u32_e32 v94, 0x1090, v93
	ds_read2_b32 v[94:95], v94 offset1:1
	v_dot4_i32_i8 v96, v98, v7, v96
	v_dot4_i32_i8 v96, v99, v8, v96
	;; [unrolled: 9-line block ×3, first 2 shown]
	s_waitcnt lgkmcnt(0)
	v_ashrrev_i32_e32 v94, s3, v94
	v_and_b32_e32 v102, 0x3030303, v94
	v_ashrrev_i32_e32 v94, s3, v95
	v_and_b32_e32 v95, 0x3030303, v94
	v_add_u32_e32 v94, s16, v73
	ds_read_b32 v103, v103
	ds_read_u16 v104, v94 offset:17904
	v_dot4_i32_i8 v98, v102, v3, v98
	v_dot4_i32_i8 v95, v95, v4, v98
	s_waitcnt lgkmcnt(0)
	v_bfe_u32 v94, v104, 4, 4
	v_mul_lo_u32 v94, v94, s23
	v_dot4_i32_i8 v105, v94, v5, 0
	v_dot4_i32_i8 v97, v94, v6, v105
	;; [unrolled: 1-line block ×4, first 2 shown]
	v_and_b32_e32 v94, 15, v104
	v_mul_lo_u32 v94, v94, v96
	v_lshrrev_b32_sdwa v96, v80, v104 dst_sel:DWORD dst_unused:UNUSED_PAD src0_sel:DWORD src1_sel:BYTE_1
	v_mul_lo_u32 v96, v96, s23
	v_dot4_i32_i8 v97, v96, v1, v97
	v_dot4_i32_i8 v97, v96, v2, v97
	;; [unrolled: 1-line block ×4, first 2 shown]
	v_and_b32_sdwa v97, v104, v81 dst_sel:DWORD dst_unused:UNUSED_PAD src0_sel:BYTE_1 src1_sel:DWORD
	v_mad_u64_u32 v[94:95], s[26:27], v97, v95, v[94:95]
	v_cvt_f32_f16_sdwa v95, v103 dst_sel:DWORD dst_unused:UNUSED_PAD src0_sel:WORD_1
	v_cvt_f32_i32_e32 v96, v96
	v_cvt_f32_i32_e32 v94, v94
	v_mul_f32_e32 v95, v95, v96
	v_fma_mix_f32 v94, v103, v94, -v95 op_sel_hi:[1,0,0]
	v_fmac_f32_e32 v63, v92, v94
	v_add_u32_e32 v94, 0x2100, v93
	ds_read2_b32 v[94:95], v94 offset1:1
	v_add3_u32 v103, s17, v84, v85
	s_waitcnt lgkmcnt(0)
	v_ashrrev_i32_e32 v94, s3, v94
	v_and_b32_e32 v96, 0x3030303, v94
	v_ashrrev_i32_e32 v94, s3, v95
	v_and_b32_e32 v97, 0x3030303, v94
	v_add_u32_e32 v94, 0x2108, v93
	ds_read2_b32 v[94:95], v94 offset1:1
	v_dot4_i32_i8 v96, v96, v5, 0
	v_dot4_i32_i8 v96, v97, v6, v96
	s_waitcnt lgkmcnt(0)
	v_ashrrev_i32_e32 v94, s3, v94
	v_and_b32_e32 v98, 0x3030303, v94
	v_ashrrev_i32_e32 v94, s3, v95
	v_and_b32_e32 v99, 0x3030303, v94
	v_add_u32_e32 v94, 0x2110, v93
	ds_read2_b32 v[94:95], v94 offset1:1
	v_dot4_i32_i8 v96, v98, v7, v96
	v_dot4_i32_i8 v96, v99, v8, v96
	;; [unrolled: 9-line block ×3, first 2 shown]
	v_add_u32_e32 v101, s16, v70
	s_waitcnt lgkmcnt(0)
	v_ashrrev_i32_e32 v94, s3, v94
	v_and_b32_e32 v102, 0x3030303, v94
	v_ashrrev_i32_e32 v94, s3, v95
	v_and_b32_e32 v95, 0x3030303, v94
	v_add_u32_e32 v94, s16, v74
	ds_read_b32 v103, v103
	ds_read_u16 v104, v94 offset:18928
	v_dot4_i32_i8 v98, v102, v3, v98
	v_dot4_i32_i8 v95, v95, v4, v98
	v_add3_u32 v102, s17, v86, v87
	s_waitcnt lgkmcnt(0)
	v_bfe_u32 v94, v104, 4, 4
	v_mul_lo_u32 v94, v94, s23
	v_dot4_i32_i8 v105, v94, v5, 0
	v_dot4_i32_i8 v97, v94, v6, v105
	;; [unrolled: 1-line block ×4, first 2 shown]
	v_and_b32_e32 v94, 15, v104
	v_mul_lo_u32 v94, v94, v96
	v_lshrrev_b32_sdwa v96, v80, v104 dst_sel:DWORD dst_unused:UNUSED_PAD src0_sel:DWORD src1_sel:BYTE_1
	v_mul_lo_u32 v96, v96, s23
	v_dot4_i32_i8 v97, v96, v1, v97
	v_dot4_i32_i8 v97, v96, v2, v97
	;; [unrolled: 1-line block ×4, first 2 shown]
	v_and_b32_sdwa v97, v104, v81 dst_sel:DWORD dst_unused:UNUSED_PAD src0_sel:BYTE_1 src1_sel:DWORD
	v_mad_u64_u32 v[94:95], s[26:27], v97, v95, v[94:95]
	v_cvt_f32_f16_sdwa v95, v103 dst_sel:DWORD dst_unused:UNUSED_PAD src0_sel:WORD_1
	v_cvt_f32_i32_e32 v96, v96
	v_cvt_f32_i32_e32 v94, v94
	v_mul_f32_e32 v95, v95, v96
	v_fma_mix_f32 v94, v103, v94, -v95 op_sel_hi:[1,0,0]
	v_fmac_f32_e32 v60, v92, v94
	v_add_u32_e32 v94, 0x3180, v93
	ds_read2_b32 v[94:95], v94 offset1:1
	s_waitcnt lgkmcnt(0)
	v_ashrrev_i32_e32 v94, s3, v94
	v_and_b32_e32 v96, 0x3030303, v94
	v_ashrrev_i32_e32 v94, s3, v95
	v_and_b32_e32 v97, 0x3030303, v94
	v_add_u32_e32 v94, 0x3188, v93
	ds_read2_b32 v[94:95], v94 offset1:1
	v_dot4_i32_i8 v96, v96, v5, 0
	v_dot4_i32_i8 v96, v97, v6, v96
	s_waitcnt lgkmcnt(0)
	v_ashrrev_i32_e32 v94, s3, v94
	v_and_b32_e32 v98, 0x3030303, v94
	v_ashrrev_i32_e32 v94, s3, v95
	v_and_b32_e32 v99, 0x3030303, v94
	v_add_u32_e32 v94, 0x3190, v93
	ds_read2_b32 v[94:95], v94 offset1:1
	v_add_u32_e32 v93, 0x3198, v93
	s_waitcnt lgkmcnt(0)
	v_ashrrev_i32_e32 v94, s3, v94
	v_and_b32_e32 v100, 0x3030303, v94
	v_ashrrev_i32_e32 v94, s3, v95
	v_and_b32_e32 v95, 0x3030303, v94
	ds_read2_b32 v[93:94], v93 offset1:1
	ds_read_b32 v102, v102
	ds_read_u16 v101, v101 offset:19952
	s_waitcnt lgkmcnt(2)
	v_ashrrev_i32_e32 v93, s3, v93
	s_waitcnt lgkmcnt(0)
	v_bfe_u32 v103, v101, 4, 4
	v_mul_lo_u32 v103, v103, s23
	v_and_b32_e32 v93, 0x3030303, v93
	v_ashrrev_i32_e32 v94, s3, v94
	v_and_b32_e32 v94, 0x3030303, v94
	v_dot4_i32_i8 v5, v103, v5, 0
	v_dot4_i32_i8 v5, v103, v6, v5
	;; [unrolled: 1-line block ×6, first 2 shown]
	v_and_b32_e32 v5, 15, v101
	v_mul_lo_u32 v5, v5, v6
	v_lshrrev_b32_sdwa v6, v80, v101 dst_sel:DWORD dst_unused:UNUSED_PAD src0_sel:DWORD src1_sel:BYTE_1
	v_mul_lo_u32 v6, v6, s23
	v_dot4_i32_i8 v8, v100, v1, 0
	s_add_i32 s3, s2, 2
	s_cmp_lt_u32 s2, 22
	v_dot4_i32_i8 v1, v6, v1, v7
	v_dot4_i32_i8 v7, v95, v2, v8
	;; [unrolled: 1-line block ×7, first 2 shown]
	v_and_b32_sdwa v1, v101, v81 dst_sel:DWORD dst_unused:UNUSED_PAD src0_sel:BYTE_1 src1_sel:DWORD
	v_mad_u64_u32 v[1:2], s[16:17], v1, v2, v[5:6]
	v_cvt_f32_f16_sdwa v2, v102 dst_sel:DWORD dst_unused:UNUSED_PAD src0_sel:WORD_1
	v_cvt_f32_i32_e32 v3, v3
	v_cvt_f32_i32_e32 v1, v1
	s_mov_b32 s2, s3
	v_mul_f32_e32 v2, v2, v3
	v_fma_mix_f32 v1, v102, v1, -v2 op_sel_hi:[1,0,0]
	v_fmac_f32_e32 v9, v92, v1
	s_cbranch_scc1 .LBB207_27
; %bb.28:                               ;   in Loop: Header=BB207_5 Depth=1
	s_or_b32 s2, s24, 0x180
	s_cmp_ge_i32 s2, s15
	s_barrier
	s_cbranch_scc1 .LBB207_4
; %bb.29:                               ;   in Loop: Header=BB207_5 Depth=1
	v_add_u32_e32 v1, s25, v66
	v_cmp_gt_i32_e64 s[2:3], s9, v1
	s_and_b64 s[16:17], s[0:1], s[2:3]
	s_and_saveexec_b64 s[2:3], s[16:17]
	s_cbranch_execz .LBB207_31
; %bb.30:                               ;   in Loop: Header=BB207_5 Depth=1
	v_add_u32_e32 v1, v67, v1
	v_mad_i64_i32 v[1:2], s[16:17], v1, 36, v[10:11]
	global_load_dword v1, v[1:2], off offset:4
	s_waitcnt vmcnt(0)
	ds_write_b32 v59, v1
.LBB207_31:                             ;   in Loop: Header=BB207_5 Depth=1
	s_or_b64 exec, exec, s[2:3]
	s_and_saveexec_b64 s[16:17], vcc
	s_cbranch_execz .LBB207_34
; %bb.32:                               ;   in Loop: Header=BB207_5 Depth=1
	v_or_b32_e32 v1, 12, v89
	v_cmp_gt_i32_e64 s[2:3], s9, v1
	s_and_b64 s[2:3], s[0:1], s[2:3]
	s_and_b64 exec, exec, s[2:3]
	s_cbranch_execz .LBB207_34
; %bb.33:                               ;   in Loop: Header=BB207_5 Depth=1
	v_ashrrev_i32_e32 v1, 31, v89
	v_add_co_u32_e64 v2, s[2:3], v67, v89
	v_addc_co_u32_e64 v3, s[2:3], v69, v1, s[2:3]
	v_mad_u64_u32 v[1:2], s[2:3], v2, 36, s[6:7]
	v_mad_i32_i24 v2, v3, 36, v2
	global_load_dword v1, v[1:2], off offset:432
	s_waitcnt vmcnt(0)
	v_cvt_f32_f16_e32 v1, v1
	ds_write_b32 v62, v1
.LBB207_34:                             ;   in Loop: Header=BB207_5 Depth=1
	s_or_b64 exec, exec, s[16:17]
	s_mov_b32 s2, 24
	v_mov_b32_e32 v89, v58
	v_mov_b32_e32 v90, v61
	s_waitcnt lgkmcnt(0)
	s_barrier
.LBB207_35:                             ;   Parent Loop BB207_5 Depth=1
                                        ; =>  This Inner Loop Header: Depth=2
	s_and_b32 s17, s2, 0x3ffffff8
	v_lshl_add_u32 v92, s17, 2, v68
	ds_read_b32 v91, v90
	ds_read_b128 v[5:8], v89
	ds_read_b128 v[1:4], v89 offset:16
	ds_read2_b32 v[93:94], v92 offset1:1
	s_sub_i32 s3, s2, 24
	s_lshr_b32 s17, s2, 2
	s_and_b32 s17, s17, 0x3ffffffc
	s_and_b32 s16, s2, -16
	s_waitcnt lgkmcnt(0)
	v_ashrrev_i32_e32 v93, s3, v93
	v_and_b32_e32 v95, 0x3030303, v93
	v_ashrrev_i32_e32 v93, s3, v94
	v_and_b32_e32 v96, 0x3030303, v93
	ds_read2_b32 v[93:94], v92 offset0:2 offset1:3
	s_addk_i32 s17, 0x5280
	s_add_i32 s16, s2, s16
	v_add3_u32 v102, s17, v88, v79
	v_dot4_i32_i8 v95, v95, v5, 0
	s_waitcnt lgkmcnt(0)
	v_ashrrev_i32_e32 v93, s3, v93
	v_and_b32_e32 v97, 0x3030303, v93
	v_ashrrev_i32_e32 v93, s3, v94
	v_and_b32_e32 v98, 0x3030303, v93
	ds_read2_b32 v[93:94], v92 offset0:4 offset1:5
	v_dot4_i32_i8 v95, v96, v6, v95
	v_dot4_i32_i8 v95, v97, v7, v95
	;; [unrolled: 1-line block ×3, first 2 shown]
	v_add_u32_e32 v90, 4, v90
	s_waitcnt lgkmcnt(0)
	v_ashrrev_i32_e32 v93, s3, v93
	v_and_b32_e32 v99, 0x3030303, v93
	v_ashrrev_i32_e32 v93, s3, v94
	v_and_b32_e32 v100, 0x3030303, v93
	ds_read2_b32 v[93:94], v92 offset0:6 offset1:7
	v_dot4_i32_i8 v97, v99, v1, 0
	v_dot4_i32_i8 v97, v100, v2, v97
	v_add_u32_e32 v89, 32, v89
	s_waitcnt lgkmcnt(0)
	v_ashrrev_i32_e32 v93, s3, v93
	v_and_b32_e32 v101, 0x3030303, v93
	v_ashrrev_i32_e32 v93, s3, v94
	v_and_b32_e32 v94, 0x3030303, v93
	v_add_u32_e32 v93, s16, v71
	ds_read_b32 v102, v102
	ds_read_u16 v103, v93 offset:16880
	v_dot4_i32_i8 v97, v101, v3, v97
	v_dot4_i32_i8 v94, v94, v4, v97
	s_waitcnt lgkmcnt(0)
	v_bfe_u32 v93, v103, 4, 4
	v_mul_lo_u32 v93, v93, s23
	v_dot4_i32_i8 v104, v93, v5, 0
	v_dot4_i32_i8 v96, v93, v6, v104
	;; [unrolled: 1-line block ×4, first 2 shown]
	v_and_b32_e32 v93, 15, v103
	v_mul_lo_u32 v93, v93, v95
	v_lshrrev_b32_sdwa v95, v80, v103 dst_sel:DWORD dst_unused:UNUSED_PAD src0_sel:DWORD src1_sel:BYTE_1
	v_mul_lo_u32 v95, v95, s23
	v_dot4_i32_i8 v96, v95, v1, v96
	v_dot4_i32_i8 v96, v95, v2, v96
	;; [unrolled: 1-line block ×4, first 2 shown]
	v_and_b32_sdwa v96, v103, v81 dst_sel:DWORD dst_unused:UNUSED_PAD src0_sel:BYTE_1 src1_sel:DWORD
	v_mad_u64_u32 v[93:94], s[24:25], v96, v94, v[93:94]
	v_cvt_f32_f16_sdwa v94, v102 dst_sel:DWORD dst_unused:UNUSED_PAD src0_sel:WORD_1
	v_cvt_f32_i32_e32 v95, v95
	v_cvt_f32_i32_e32 v93, v93
	v_mul_f32_e32 v94, v94, v95
	v_fma_mix_f32 v93, v102, v93, -v94 op_sel_hi:[1,0,0]
	v_fmac_f32_e32 v13, v91, v93
	v_add_u32_e32 v93, 0x1080, v92
	ds_read2_b32 v[93:94], v93 offset1:1
	v_add3_u32 v102, s17, v82, v83
	s_waitcnt lgkmcnt(0)
	v_ashrrev_i32_e32 v93, s3, v93
	v_and_b32_e32 v95, 0x3030303, v93
	v_ashrrev_i32_e32 v93, s3, v94
	v_and_b32_e32 v96, 0x3030303, v93
	v_add_u32_e32 v93, 0x1088, v92
	ds_read2_b32 v[93:94], v93 offset1:1
	v_dot4_i32_i8 v95, v95, v5, 0
	v_dot4_i32_i8 v95, v96, v6, v95
	s_waitcnt lgkmcnt(0)
	v_ashrrev_i32_e32 v93, s3, v93
	v_and_b32_e32 v97, 0x3030303, v93
	v_ashrrev_i32_e32 v93, s3, v94
	v_and_b32_e32 v98, 0x3030303, v93
	v_add_u32_e32 v93, 0x1090, v92
	ds_read2_b32 v[93:94], v93 offset1:1
	v_dot4_i32_i8 v95, v97, v7, v95
	v_dot4_i32_i8 v95, v98, v8, v95
	;; [unrolled: 9-line block ×3, first 2 shown]
	s_waitcnt lgkmcnt(0)
	v_ashrrev_i32_e32 v93, s3, v93
	v_and_b32_e32 v101, 0x3030303, v93
	v_ashrrev_i32_e32 v93, s3, v94
	v_and_b32_e32 v94, 0x3030303, v93
	v_add_u32_e32 v93, s16, v73
	ds_read_b32 v102, v102
	ds_read_u16 v103, v93 offset:17904
	v_dot4_i32_i8 v97, v101, v3, v97
	v_dot4_i32_i8 v94, v94, v4, v97
	s_waitcnt lgkmcnt(0)
	v_bfe_u32 v93, v103, 4, 4
	v_mul_lo_u32 v93, v93, s23
	v_dot4_i32_i8 v104, v93, v5, 0
	v_dot4_i32_i8 v96, v93, v6, v104
	;; [unrolled: 1-line block ×4, first 2 shown]
	v_and_b32_e32 v93, 15, v103
	v_mul_lo_u32 v93, v93, v95
	v_lshrrev_b32_sdwa v95, v80, v103 dst_sel:DWORD dst_unused:UNUSED_PAD src0_sel:DWORD src1_sel:BYTE_1
	v_mul_lo_u32 v95, v95, s23
	v_dot4_i32_i8 v96, v95, v1, v96
	v_dot4_i32_i8 v96, v95, v2, v96
	;; [unrolled: 1-line block ×4, first 2 shown]
	v_and_b32_sdwa v96, v103, v81 dst_sel:DWORD dst_unused:UNUSED_PAD src0_sel:BYTE_1 src1_sel:DWORD
	v_mad_u64_u32 v[93:94], s[24:25], v96, v94, v[93:94]
	v_cvt_f32_f16_sdwa v94, v102 dst_sel:DWORD dst_unused:UNUSED_PAD src0_sel:WORD_1
	v_cvt_f32_i32_e32 v95, v95
	v_cvt_f32_i32_e32 v93, v93
	v_mul_f32_e32 v94, v94, v95
	v_fma_mix_f32 v93, v102, v93, -v94 op_sel_hi:[1,0,0]
	v_fmac_f32_e32 v63, v91, v93
	v_add_u32_e32 v93, 0x2100, v92
	ds_read2_b32 v[93:94], v93 offset1:1
	v_add3_u32 v102, s17, v84, v85
	s_waitcnt lgkmcnt(0)
	v_ashrrev_i32_e32 v93, s3, v93
	v_and_b32_e32 v95, 0x3030303, v93
	v_ashrrev_i32_e32 v93, s3, v94
	v_and_b32_e32 v96, 0x3030303, v93
	v_add_u32_e32 v93, 0x2108, v92
	ds_read2_b32 v[93:94], v93 offset1:1
	v_dot4_i32_i8 v95, v95, v5, 0
	v_dot4_i32_i8 v95, v96, v6, v95
	s_waitcnt lgkmcnt(0)
	v_ashrrev_i32_e32 v93, s3, v93
	v_and_b32_e32 v97, 0x3030303, v93
	v_ashrrev_i32_e32 v93, s3, v94
	v_and_b32_e32 v98, 0x3030303, v93
	v_add_u32_e32 v93, 0x2110, v92
	ds_read2_b32 v[93:94], v93 offset1:1
	v_dot4_i32_i8 v95, v97, v7, v95
	v_dot4_i32_i8 v95, v98, v8, v95
	;; [unrolled: 9-line block ×3, first 2 shown]
	v_add_u32_e32 v100, s16, v70
	s_waitcnt lgkmcnt(0)
	v_ashrrev_i32_e32 v93, s3, v93
	v_and_b32_e32 v101, 0x3030303, v93
	v_ashrrev_i32_e32 v93, s3, v94
	v_and_b32_e32 v94, 0x3030303, v93
	v_add_u32_e32 v93, s16, v74
	ds_read_b32 v102, v102
	ds_read_u16 v103, v93 offset:18928
	v_dot4_i32_i8 v97, v101, v3, v97
	v_dot4_i32_i8 v94, v94, v4, v97
	v_add3_u32 v101, s17, v86, v87
	s_waitcnt lgkmcnt(0)
	v_bfe_u32 v93, v103, 4, 4
	v_mul_lo_u32 v93, v93, s23
	v_dot4_i32_i8 v104, v93, v5, 0
	v_dot4_i32_i8 v96, v93, v6, v104
	;; [unrolled: 1-line block ×4, first 2 shown]
	v_and_b32_e32 v93, 15, v103
	v_mul_lo_u32 v93, v93, v95
	v_lshrrev_b32_sdwa v95, v80, v103 dst_sel:DWORD dst_unused:UNUSED_PAD src0_sel:DWORD src1_sel:BYTE_1
	v_mul_lo_u32 v95, v95, s23
	v_dot4_i32_i8 v96, v95, v1, v96
	v_dot4_i32_i8 v96, v95, v2, v96
	;; [unrolled: 1-line block ×4, first 2 shown]
	v_and_b32_sdwa v96, v103, v81 dst_sel:DWORD dst_unused:UNUSED_PAD src0_sel:BYTE_1 src1_sel:DWORD
	v_mad_u64_u32 v[93:94], s[24:25], v96, v94, v[93:94]
	v_cvt_f32_f16_sdwa v94, v102 dst_sel:DWORD dst_unused:UNUSED_PAD src0_sel:WORD_1
	v_cvt_f32_i32_e32 v95, v95
	v_cvt_f32_i32_e32 v93, v93
	v_mul_f32_e32 v94, v94, v95
	v_fma_mix_f32 v93, v102, v93, -v94 op_sel_hi:[1,0,0]
	v_fmac_f32_e32 v60, v91, v93
	v_add_u32_e32 v93, 0x3180, v92
	ds_read2_b32 v[93:94], v93 offset1:1
	s_waitcnt lgkmcnt(0)
	v_ashrrev_i32_e32 v93, s3, v93
	v_and_b32_e32 v95, 0x3030303, v93
	v_ashrrev_i32_e32 v93, s3, v94
	v_and_b32_e32 v96, 0x3030303, v93
	v_add_u32_e32 v93, 0x3188, v92
	ds_read2_b32 v[93:94], v93 offset1:1
	v_dot4_i32_i8 v95, v95, v5, 0
	v_dot4_i32_i8 v95, v96, v6, v95
	s_waitcnt lgkmcnt(0)
	v_ashrrev_i32_e32 v93, s3, v93
	v_and_b32_e32 v97, 0x3030303, v93
	v_ashrrev_i32_e32 v93, s3, v94
	v_and_b32_e32 v98, 0x3030303, v93
	v_add_u32_e32 v93, 0x3190, v92
	ds_read2_b32 v[93:94], v93 offset1:1
	v_add_u32_e32 v92, 0x3198, v92
	s_waitcnt lgkmcnt(0)
	v_ashrrev_i32_e32 v93, s3, v93
	v_and_b32_e32 v99, 0x3030303, v93
	v_ashrrev_i32_e32 v93, s3, v94
	v_and_b32_e32 v94, 0x3030303, v93
	ds_read2_b32 v[92:93], v92 offset1:1
	ds_read_b32 v101, v101
	ds_read_u16 v100, v100 offset:19952
	s_waitcnt lgkmcnt(2)
	v_ashrrev_i32_e32 v92, s3, v92
	s_waitcnt lgkmcnt(0)
	v_bfe_u32 v102, v100, 4, 4
	v_mul_lo_u32 v102, v102, s23
	v_and_b32_e32 v92, 0x3030303, v92
	v_ashrrev_i32_e32 v93, s3, v93
	v_and_b32_e32 v93, 0x3030303, v93
	v_dot4_i32_i8 v5, v102, v5, 0
	v_dot4_i32_i8 v5, v102, v6, v5
	;; [unrolled: 1-line block ×6, first 2 shown]
	v_and_b32_e32 v5, 15, v100
	v_mul_lo_u32 v5, v5, v6
	v_lshrrev_b32_sdwa v6, v80, v100 dst_sel:DWORD dst_unused:UNUSED_PAD src0_sel:DWORD src1_sel:BYTE_1
	v_mul_lo_u32 v6, v6, s23
	v_dot4_i32_i8 v8, v99, v1, 0
	s_add_i32 s3, s2, 2
	s_cmp_lt_u32 s2, 30
	v_dot4_i32_i8 v1, v6, v1, v7
	v_dot4_i32_i8 v7, v94, v2, v8
	;; [unrolled: 1-line block ×7, first 2 shown]
	v_and_b32_sdwa v1, v100, v81 dst_sel:DWORD dst_unused:UNUSED_PAD src0_sel:BYTE_1 src1_sel:DWORD
	v_mad_u64_u32 v[1:2], s[16:17], v1, v2, v[5:6]
	v_cvt_f32_f16_sdwa v2, v101 dst_sel:DWORD dst_unused:UNUSED_PAD src0_sel:WORD_1
	v_cvt_f32_i32_e32 v3, v3
	v_cvt_f32_i32_e32 v1, v1
	s_mov_b32 s2, s3
	v_mul_f32_e32 v2, v2, v3
	v_fma_mix_f32 v1, v101, v1, -v2 op_sel_hi:[1,0,0]
	v_fmac_f32_e32 v9, v91, v1
	s_cbranch_scc1 .LBB207_35
; %bb.36:                               ;   in Loop: Header=BB207_5 Depth=1
	s_barrier
	s_branch .LBB207_4
.LBB207_37:
	s_mul_i32 s0, s11, s8
	s_waitcnt vmcnt(0)
	v_cmp_gt_i32_e32 vcc, s0, v12
	s_and_saveexec_b64 s[0:1], vcc
	s_cbranch_execz .LBB207_46
; %bb.38:
	v_mul_lo_u32 v1, v12, s10
	v_add_u32_e32 v0, s18, v0
	v_cmp_gt_u32_e32 vcc, s10, v0
	s_and_saveexec_b64 s[0:1], vcc
	s_cbranch_execz .LBB207_40
; %bb.39:
	v_add_u32_e32 v2, v1, v0
	v_mov_b32_e32 v3, 0
	v_lshlrev_b64 v[2:3], 1, v[2:3]
	v_cvt_f16_f32_e32 v5, v13
	v_mov_b32_e32 v4, s13
	v_add_co_u32_e32 v2, vcc, s12, v2
	v_addc_co_u32_e32 v3, vcc, v4, v3, vcc
	global_store_short v[2:3], v5, off
.LBB207_40:
	s_or_b64 exec, exec, s[0:1]
	v_add_u32_e32 v2, 32, v0
	v_cmp_gt_u32_e32 vcc, s10, v2
	s_and_saveexec_b64 s[0:1], vcc
	s_cbranch_execz .LBB207_42
; %bb.41:
	v_add_u32_e32 v2, v1, v2
	v_mov_b32_e32 v3, 0
	v_lshlrev_b64 v[2:3], 1, v[2:3]
	v_cvt_f16_f32_e32 v5, v63
	v_mov_b32_e32 v4, s13
	v_add_co_u32_e32 v2, vcc, s12, v2
	v_addc_co_u32_e32 v3, vcc, v4, v3, vcc
	global_store_short v[2:3], v5, off
.LBB207_42:
	s_or_b64 exec, exec, s[0:1]
	;; [unrolled: 15-line block ×3, first 2 shown]
	v_add_u32_e32 v0, 0x60, v0
	v_cmp_gt_u32_e32 vcc, s10, v0
	s_and_b64 exec, exec, vcc
	s_cbranch_execz .LBB207_46
; %bb.45:
	v_add_u32_e32 v0, v1, v0
	v_mov_b32_e32 v1, 0
	v_lshlrev_b64 v[0:1], 1, v[0:1]
	v_cvt_f16_f32_e32 v3, v9
	v_mov_b32_e32 v2, s13
	v_add_co_u32_e32 v0, vcc, s12, v0
	v_addc_co_u32_e32 v1, vcc, v2, v1, vcc
	global_store_short v[0:1], v3, off
.LBB207_46:
	s_endpgm
	.section	.rodata,"a",@progbits
	.p2align	6, 0x0
	.amdhsa_kernel _ZL8moe_q2_KIN3c104HalfELb0EEvPKvS3_PT_PKiS7_S7_iiiiiii
		.amdhsa_group_segment_fixed_size 23328
		.amdhsa_private_segment_fixed_size 0
		.amdhsa_kernarg_size 76
		.amdhsa_user_sgpr_count 6
		.amdhsa_user_sgpr_private_segment_buffer 1
		.amdhsa_user_sgpr_dispatch_ptr 0
		.amdhsa_user_sgpr_queue_ptr 0
		.amdhsa_user_sgpr_kernarg_segment_ptr 1
		.amdhsa_user_sgpr_dispatch_id 0
		.amdhsa_user_sgpr_flat_scratch_init 0
		.amdhsa_user_sgpr_private_segment_size 0
		.amdhsa_uses_dynamic_stack 0
		.amdhsa_system_sgpr_private_segment_wavefront_offset 0
		.amdhsa_system_sgpr_workgroup_id_x 1
		.amdhsa_system_sgpr_workgroup_id_y 1
		.amdhsa_system_sgpr_workgroup_id_z 0
		.amdhsa_system_sgpr_workgroup_info 0
		.amdhsa_system_vgpr_workitem_id 1
		.amdhsa_next_free_vgpr 109
		.amdhsa_next_free_sgpr 98
		.amdhsa_reserve_vcc 1
		.amdhsa_reserve_flat_scratch 0
		.amdhsa_float_round_mode_32 0
		.amdhsa_float_round_mode_16_64 0
		.amdhsa_float_denorm_mode_32 3
		.amdhsa_float_denorm_mode_16_64 3
		.amdhsa_dx10_clamp 1
		.amdhsa_ieee_mode 1
		.amdhsa_fp16_overflow 0
		.amdhsa_exception_fp_ieee_invalid_op 0
		.amdhsa_exception_fp_denorm_src 0
		.amdhsa_exception_fp_ieee_div_zero 0
		.amdhsa_exception_fp_ieee_overflow 0
		.amdhsa_exception_fp_ieee_underflow 0
		.amdhsa_exception_fp_ieee_inexact 0
		.amdhsa_exception_int_div_zero 0
	.end_amdhsa_kernel
	.section	.text._ZL8moe_q2_KIN3c104HalfELb0EEvPKvS3_PT_PKiS7_S7_iiiiiii,"axG",@progbits,_ZL8moe_q2_KIN3c104HalfELb0EEvPKvS3_PT_PKiS7_S7_iiiiiii,comdat
.Lfunc_end207:
	.size	_ZL8moe_q2_KIN3c104HalfELb0EEvPKvS3_PT_PKiS7_S7_iiiiiii, .Lfunc_end207-_ZL8moe_q2_KIN3c104HalfELb0EEvPKvS3_PT_PKiS7_S7_iiiiiii
                                        ; -- End function
	.set _ZL8moe_q2_KIN3c104HalfELb0EEvPKvS3_PT_PKiS7_S7_iiiiiii.num_vgpr, 109
	.set _ZL8moe_q2_KIN3c104HalfELb0EEvPKvS3_PT_PKiS7_S7_iiiiiii.num_agpr, 0
	.set _ZL8moe_q2_KIN3c104HalfELb0EEvPKvS3_PT_PKiS7_S7_iiiiiii.numbered_sgpr, 28
	.set _ZL8moe_q2_KIN3c104HalfELb0EEvPKvS3_PT_PKiS7_S7_iiiiiii.num_named_barrier, 0
	.set _ZL8moe_q2_KIN3c104HalfELb0EEvPKvS3_PT_PKiS7_S7_iiiiiii.private_seg_size, 0
	.set _ZL8moe_q2_KIN3c104HalfELb0EEvPKvS3_PT_PKiS7_S7_iiiiiii.uses_vcc, 1
	.set _ZL8moe_q2_KIN3c104HalfELb0EEvPKvS3_PT_PKiS7_S7_iiiiiii.uses_flat_scratch, 0
	.set _ZL8moe_q2_KIN3c104HalfELb0EEvPKvS3_PT_PKiS7_S7_iiiiiii.has_dyn_sized_stack, 0
	.set _ZL8moe_q2_KIN3c104HalfELb0EEvPKvS3_PT_PKiS7_S7_iiiiiii.has_recursion, 0
	.set _ZL8moe_q2_KIN3c104HalfELb0EEvPKvS3_PT_PKiS7_S7_iiiiiii.has_indirect_call, 0
	.section	.AMDGPU.csdata,"",@progbits
; Kernel info:
; codeLenInByte = 10232
; TotalNumSgprs: 32
; NumVgprs: 109
; ScratchSize: 0
; MemoryBound: 0
; FloatMode: 240
; IeeeMode: 1
; LDSByteSize: 23328 bytes/workgroup (compile time only)
; SGPRBlocks: 12
; VGPRBlocks: 27
; NumSGPRsForWavesPerEU: 102
; NumVGPRsForWavesPerEU: 109
; Occupancy: 2
; WaveLimiterHint : 1
; COMPUTE_PGM_RSRC2:SCRATCH_EN: 0
; COMPUTE_PGM_RSRC2:USER_SGPR: 6
; COMPUTE_PGM_RSRC2:TRAP_HANDLER: 0
; COMPUTE_PGM_RSRC2:TGID_X_EN: 1
; COMPUTE_PGM_RSRC2:TGID_Y_EN: 1
; COMPUTE_PGM_RSRC2:TGID_Z_EN: 0
; COMPUTE_PGM_RSRC2:TIDIG_COMP_CNT: 1
	.section	.text._ZL8moe_q2_KIN3c104HalfELb1EEvPKvS3_PT_PKiS7_S7_iiiiiii,"axG",@progbits,_ZL8moe_q2_KIN3c104HalfELb1EEvPKvS3_PT_PKiS7_S7_iiiiiii,comdat
	.globl	_ZL8moe_q2_KIN3c104HalfELb1EEvPKvS3_PT_PKiS7_S7_iiiiiii ; -- Begin function _ZL8moe_q2_KIN3c104HalfELb1EEvPKvS3_PT_PKiS7_S7_iiiiiii
	.p2align	8
	.type	_ZL8moe_q2_KIN3c104HalfELb1EEvPKvS3_PT_PKiS7_S7_iiiiiii,@function
_ZL8moe_q2_KIN3c104HalfELb1EEvPKvS3_PT_PKiS7_S7_iiiiiii: ; @_ZL8moe_q2_KIN3c104HalfELb1EEvPKvS3_PT_PKiS7_S7_iiiiiii
; %bb.0:
	s_load_dwordx4 s[0:3], s[4:5], 0x18
	s_mov_b32 s8, s7
	s_mov_b32 s9, 0
	s_lshl_b64 s[10:11], s[8:9], 2
	s_waitcnt lgkmcnt(0)
	s_add_u32 s2, s2, s10
	s_addc_u32 s3, s3, s11
	s_load_dword s2, s[2:3], 0x0
	s_waitcnt lgkmcnt(0)
	s_cmpk_gt_u32 s2, 0xff
	s_cbranch_scc1 .LBB208_46
; %bb.1:
	s_load_dwordx2 s[10:11], s[4:5], 0x28
	s_lshl_b32 s3, s8, 3
	s_waitcnt lgkmcnt(0)
	s_load_dword s7, s[10:11], 0x0
	s_waitcnt lgkmcnt(0)
	s_cmp_gt_u32 s3, s7
	s_cbranch_scc1 .LBB208_46
; %bb.2:
	v_add_u32_e32 v24, s3, v1
	v_mov_b32_e32 v25, 0
	v_lshlrev_b64 v[2:3], 2, v[24:25]
	v_mov_b32_e32 v4, s1
	v_add_co_u32_e32 v2, vcc, s0, v2
	v_addc_co_u32_e32 v3, vcc, v4, v3, vcc
	global_load_dword v28, v[2:3], off
	s_load_dwordx8 s[8:15], s[4:5], 0x30
	s_load_dwordx2 s[16:17], s[4:5], 0x10
	s_waitcnt lgkmcnt(0)
	s_lshl_b32 s15, s6, 7
	v_mov_b32_e32 v59, v25
	v_mov_b32_e32 v62, v25
	s_cmpk_lt_i32 s9, 0x100
	v_mov_b32_e32 v29, v25
	s_cbranch_scc1 .LBB208_37
; %bb.3:
	s_ashr_i32 s0, s9, 31
	s_lshr_b32 s0, s0, 24
	s_load_dwordx4 s[4:7], s[4:5], 0x0
	s_add_i32 s0, s9, s0
	s_ashr_i32 s20, s0, 8
	s_ashr_i32 s0, s12, 31
	s_lshr_b32 s0, s0, 27
	s_add_i32 s0, s12, s0
	s_mul_i32 s2, s2, s8
	s_ashr_i32 s12, s0, 5
	s_ashr_i32 s0, s2, 31
	s_waitcnt lgkmcnt(0)
	s_add_u32 s1, s4, s2
	s_mul_i32 s2, s20, s15
	s_addc_u32 s0, s5, s0
	s_mul_hi_i32 s3, s2, 0x54
	s_mulk_i32 s2, 0x54
	s_add_u32 s21, s1, s2
	s_addc_u32 s22, s0, s3
	s_not_b32 s0, s15
	s_add_i32 s2, s10, s0
	v_lshlrev_b32_e32 v2, 2, v0
	v_min_i32_e32 v3, s2, v1
	s_movk_i32 s3, 0x84
	v_mul_lo_u32 v32, v3, s20
	v_mad_u64_u32 v[9:10], s[0:1], v3, s3, v[2:3]
	v_add_u32_e32 v3, 8, v1
	v_min_i32_e32 v3, s2, v3
	v_mul_lo_u32 v33, v3, s20
	v_mad_u64_u32 v[10:11], s[0:1], v3, s3, v[2:3]
	v_add_u32_e32 v3, 16, v1
	v_min_i32_e32 v3, s2, v3
	;; [unrolled: 4-line block ×15, first 2 shown]
	v_mul_lo_u32 v47, v3, s20
	v_mad_u64_u32 v[24:25], s[0:1], v3, s3, v[2:3]
	v_lshlrev_b32_e32 v3, 4, v1
	v_lshrrev_b32_e32 v4, 1, v0
	v_add_u32_e32 v4, v4, v3
	v_and_b32_e32 v4, 0x7f, v4
	v_min_i32_e32 v4, s2, v4
	v_ashrrev_i32_e32 v5, 31, v4
	v_lshrrev_b32_e32 v5, 28, v5
	v_add_u32_e32 v5, v4, v5
	v_and_b32_e32 v48, 1, v0
	v_ashrrev_i32_e32 v5, 4, v5
	v_lshlrev_b32_e32 v5, 2, v5
	v_lshlrev_b32_e32 v6, 2, v48
	s_movk_i32 s0, 0x5280
	v_lshrrev_b32_e32 v50, 3, v0
	v_add3_u32 v5, v5, v6, s0
	v_lshl_add_u32 v6, v1, 2, v50
	v_add_u32_e32 v26, 32, v6
	v_min_i32_e32 v26, s2, v26
	v_ashrrev_i32_e32 v27, 31, v26
	v_lshrrev_b32_e32 v27, 30, v27
	v_min_i32_e32 v8, s2, v6
	v_mul_lo_u32 v54, v26, s20
	v_add_u32_e32 v27, v26, v27
	v_lshlrev_b32_e32 v62, 5, v26
	v_add_u32_e32 v26, 64, v6
	v_add_u32_e32 v6, 0x60, v6
	v_min_i32_e32 v26, s2, v26
	v_min_i32_e32 v6, s2, v6
	v_mov_b32_e32 v57, 0x56a0
	s_abs_i32 s2, s14
	v_lshl_add_u32 v57, v1, 7, v57
	v_cvt_f32_u32_e32 v1, s2
	v_and_b32_e32 v7, 7, v0
	v_cmp_lt_u32_e32 vcc, 3, v7
	v_lshlrev_b32_e32 v7, 2, v7
	v_rcp_iflag_f32_e32 v1, v1
	s_movk_i32 s0, 0x4200
	v_and_b32_e32 v27, -4, v27
	v_add3_u32 v59, v27, v7, s0
	v_ashrrev_i32_e32 v27, 31, v26
	v_lshrrev_b32_e32 v27, 30, v27
	v_ashrrev_i32_e32 v25, 31, v8
	v_mul_lo_u32 v55, v26, s20
	v_add_u32_e32 v27, v26, v27
	v_lshlrev_b32_e32 v78, 5, v26
	v_ashrrev_i32_e32 v26, 31, v6
	v_mul_f32_e32 v1, 0x4f7ffffe, v1
	v_lshrrev_b32_e32 v25, 30, v25
	v_lshrrev_b32_e32 v26, 30, v26
	v_cvt_u32_f32_e32 v1, v1
	v_add_u32_e32 v25, v8, v25
	v_add_u32_e32 v26, v6, v26
	v_and_b32_e32 v25, -4, v25
	v_and_b32_e32 v27, -4, v27
	;; [unrolled: 1-line block ×3, first 2 shown]
	v_add3_u32 v25, v25, v7, s0
	v_add3_u32 v77, v27, v7, s0
	;; [unrolled: 1-line block ×3, first 2 shown]
	v_and_b32_e32 v26, 31, v0
	s_sub_i32 s0, 0, s2
	v_lshl_add_u32 v58, v26, 2, v57
	v_mul_lo_u32 v26, s0, v1
	s_waitcnt vmcnt(0)
	v_sub_u32_e32 v63, 0, v28
	v_max_i32_e32 v66, v28, v63
	v_xor_b32_e32 v67, s14, v28
	v_mul_hi_u32 v26, v1, v26
	v_ashrrev_i32_e32 v67, 31, v67
	v_and_b32_e32 v27, 28, v2
	v_add_u32_e32 v60, 0x5aa0, v3
	v_add_u32_e32 v1, v1, v26
	v_mul_hi_u32 v1, v66, v1
	v_and_b32_e32 v31, 60, v2
	v_and_b32_e32 v52, 12, v2
	v_add_u32_e32 v61, v60, v2
	v_mul_lo_u32 v26, v1, s2
	v_mul_u32_u24_e32 v2, 33, v0
	v_add_u32_e32 v69, 0x60, v0
	v_mul_lo_u32 v49, v4, s20
	v_sub_u32_e32 v26, v66, v26
	v_add_u32_e32 v66, 1, v1
	v_cmp_le_u32_e64 s[0:1], s2, v26
	v_cndmask_b32_e64 v1, v1, v66, s[0:1]
	v_subrev_u32_e32 v66, s2, v26
	v_cndmask_b32_e64 v26, v26, v66, s[0:1]
	v_add_u32_e32 v66, 1, v1
	v_cmp_le_u32_e64 s[0:1], s2, v26
	v_cndmask_b32_e64 v1, v1, v66, s[0:1]
	v_xor_b32_e32 v1, v1, v67
	v_sub_u32_e32 v1, v1, v67
	v_cmp_gt_i32_e64 s[0:1], s11, v1
	v_mul_lo_u32 v66, v1, s12
	v_mov_b32_e32 v1, s7
	v_add_co_u32_e64 v26, s[2:3], s6, v27
	v_addc_co_u32_e64 v27, s[2:3], 0, v1, s[2:3]
	v_lshlrev_b32_e32 v67, 2, v2
	v_lshlrev_b32_e32 v1, 5, v0
	v_and_b32_e32 v2, 0x1fc, v69
	v_mul_lo_u32 v53, v8, s20
	v_mul_lo_u32 v56, v6, s20
	v_add_u32_e32 v72, 32, v0
	v_lshlrev_b32_e32 v87, 1, v69
	v_lshrrev_b32_e32 v86, 4, v69
	v_lshrrev_b32_e32 v65, 3, v69
	v_add_u32_e32 v69, v1, v2
	v_and_b32_e32 v2, 0xfc, v0
	v_add_u32_e32 v73, 64, v0
	v_add_u32_e32 v70, v1, v2
	v_and_b32_e32 v2, 0x1fc, v72
	v_lshlrev_b32_e32 v4, 3, v4
	v_cndmask_b32_e64 v51, 0, 1, vcc
	v_lshlrev_b32_e32 v8, 5, v8
	v_lshlrev_b32_e32 v6, 5, v6
	v_cmp_gt_u32_e32 vcc, 4, v0
	v_lshlrev_b32_e32 v3, 1, v0
	v_lshlrev_b32_e32 v83, 1, v72
	v_lshrrev_b32_e32 v82, 4, v72
	v_lshlrev_b32_e32 v85, 1, v73
	v_lshrrev_b32_e32 v84, 4, v73
	v_lshrrev_b32_e32 v63, 3, v72
	v_add_u32_e32 v72, v1, v2
	v_and_b32_e32 v2, 0x1fc, v73
	s_movk_i32 s8, 0x54
	v_lshrrev_b32_e32 v30, 4, v0
	s_mov_b32 s10, 0
	v_mov_b32_e32 v29, 0
	v_lshrrev_b32_e32 v64, 3, v73
	s_and_b64 s[4:5], vcc, s[0:1]
	v_ashrrev_i32_e32 v68, 31, v66
	v_add_u32_e32 v71, 0x4200, v70
	v_add_u32_e32 v73, v1, v2
	;; [unrolled: 1-line block ×7, first 2 shown]
	s_mov_b32 s23, 0x1010101
	v_lshlrev_b32_e32 v79, 2, v3
	v_mov_b32_e32 v80, 4
	v_mov_b32_e32 v81, 15
	v_lshlrev_b32_e32 v82, 2, v82
	v_lshlrev_b32_e32 v83, 2, v83
	;; [unrolled: 1-line block ×6, first 2 shown]
	v_mov_b32_e32 v62, 0
	v_mov_b32_e32 v59, 0
	;; [unrolled: 1-line block ×3, first 2 shown]
	s_branch .LBB208_5
.LBB208_4:                              ;   in Loop: Header=BB208_5 Depth=1
	s_add_i32 s10, s10, 2
	s_cmp_ge_i32 s10, s20
	s_cbranch_scc1 .LBB208_37
.LBB208_5:                              ; =>This Loop Header: Depth=1
                                        ;     Child Loop BB208_11 Depth 2
                                        ;     Child Loop BB208_19 Depth 2
	;; [unrolled: 1-line block ×4, first 2 shown]
	s_mul_i32 s2, s10, 0x54
	s_mul_hi_u32 s3, s10, 0x54
	s_add_u32 s2, s21, s2
	s_addc_u32 s3, s22, s3
	v_mov_b32_e32 v1, s2
	v_mov_b32_e32 v2, s3
	v_mad_u64_u32 v[3:4], s[2:3], v30, s8, v[1:2]
	s_lshl_b32 s24, s10, 8
	s_cmp_lt_i32 s24, s9
	v_mad_i64_i32 v[5:6], s[2:3], v32, s8, v[3:4]
	v_mad_i64_i32 v[7:8], s[2:3], v33, s8, v[3:4]
	v_add_co_u32_e64 v5, s[2:3], v5, v31
	v_addc_co_u32_e64 v6, s[2:3], 0, v6, s[2:3]
	v_add_co_u32_e64 v7, s[2:3], v7, v31
	v_addc_co_u32_e64 v8, s[2:3], 0, v8, s[2:3]
	v_mad_i64_i32 v[88:89], s[2:3], v34, s8, v[3:4]
	v_mad_i64_i32 v[90:91], s[2:3], v35, s8, v[3:4]
	v_add_co_u32_e64 v88, s[2:3], v88, v31
	v_addc_co_u32_e64 v89, s[2:3], 0, v89, s[2:3]
	v_add_co_u32_e64 v90, s[2:3], v90, v31
	v_addc_co_u32_e64 v91, s[2:3], 0, v91, s[2:3]
	;; [unrolled: 6-line block ×4, first 2 shown]
	global_load_dword v100, v[5:6], off offset:16
	global_load_dword v101, v[7:8], off offset:16
	;; [unrolled: 1-line block ×7, first 2 shown]
	s_nop 0
	global_load_dword v98, v[98:99], off offset:16
	v_mad_i64_i32 v[5:6], s[2:3], v40, s8, v[3:4]
	v_mad_i64_i32 v[7:8], s[2:3], v41, s8, v[3:4]
	v_add_co_u32_e64 v5, s[2:3], v5, v31
	v_addc_co_u32_e64 v6, s[2:3], 0, v6, s[2:3]
	v_add_co_u32_e64 v7, s[2:3], v7, v31
	v_addc_co_u32_e64 v8, s[2:3], 0, v8, s[2:3]
	v_mad_i64_i32 v[88:89], s[2:3], v42, s8, v[3:4]
	v_mad_i64_i32 v[90:91], s[2:3], v43, s8, v[3:4]
	v_add_co_u32_e64 v88, s[2:3], v88, v31
	v_addc_co_u32_e64 v89, s[2:3], 0, v89, s[2:3]
	v_add_co_u32_e64 v90, s[2:3], v90, v31
	v_addc_co_u32_e64 v91, s[2:3], 0, v91, s[2:3]
	;; [unrolled: 6-line block ×4, first 2 shown]
	global_load_dword v99, v[5:6], off offset:16
	global_load_dword v107, v[7:8], off offset:16
	;; [unrolled: 1-line block ×3, first 2 shown]
	s_nop 0
	global_load_dword v90, v[90:91], off offset:16
	s_nop 0
	global_load_dword v91, v[92:93], off offset:16
	;; [unrolled: 2-line block ×3, first 2 shown]
	global_load_dword v93, v[96:97], off offset:16
	s_nop 0
	global_load_dword v94, v[3:4], off offset:16
	v_mad_i64_i32 v[3:4], s[2:3], v49, s8, v[1:2]
	v_mad_u64_u32 v[1:2], s[2:3], v51, s8, v[1:2]
	v_mad_u64_u32 v[3:4], s[2:3], v48, s8, v[3:4]
	v_add_co_u32_e64 v1, s[2:3], v1, v52
	v_addc_co_u32_e64 v2, s[2:3], 0, v2, s[2:3]
	v_mad_i64_i32 v[5:6], s[2:3], v53, s8, v[1:2]
	v_mad_i64_i32 v[7:8], s[2:3], v54, s8, v[1:2]
	;; [unrolled: 1-line block ×4, first 2 shown]
	global_load_dword v3, v[3:4], off offset:80
	s_nop 0
	global_load_dword v4, v[5:6], off
	s_nop 0
	global_load_dword v5, v[7:8], off
	global_load_dword v6, v[88:89], off
	s_nop 0
	global_load_dword v1, v[1:2], off
	s_waitcnt vmcnt(20)
	ds_write_b32 v9, v100
	s_waitcnt vmcnt(19)
	ds_write_b32 v10, v101
	;; [unrolled: 2-line block ×21, first 2 shown]
	s_cbranch_scc0 .LBB208_4
; %bb.6:                                ;   in Loop: Header=BB208_5 Depth=1
	s_lshl_b32 s25, s10, 3
	v_add_u32_e32 v1, s25, v50
	v_cmp_gt_i32_e64 s[2:3], s12, v1
	s_and_b64 s[18:19], s[0:1], s[2:3]
	s_and_saveexec_b64 s[2:3], s[18:19]
	s_cbranch_execz .LBB208_8
; %bb.7:                                ;   in Loop: Header=BB208_5 Depth=1
	v_add_u32_e32 v1, v66, v1
	v_mad_i64_i32 v[1:2], s[18:19], v1, 36, v[26:27]
	global_load_dword v1, v[1:2], off offset:4
	s_waitcnt vmcnt(0)
	ds_write_b32 v58, v1
.LBB208_8:                              ;   in Loop: Header=BB208_5 Depth=1
	s_or_b64 exec, exec, s[2:3]
	v_add_u32_e32 v89, s25, v0
	v_cmp_gt_i32_e64 s[2:3], s12, v89
	s_and_b64 s[18:19], s[4:5], s[2:3]
	s_and_saveexec_b64 s[2:3], s[18:19]
	s_cbranch_execz .LBB208_10
; %bb.9:                                ;   in Loop: Header=BB208_5 Depth=1
	v_add_u32_e32 v1, v66, v89
	v_mad_i64_i32 v[1:2], s[18:19], v1, 36, s[6:7]
	global_load_dword v1, v[1:2], off
	s_waitcnt vmcnt(0)
	v_cvt_f32_f16_e32 v1, v1
	ds_write_b32 v61, v1
.LBB208_10:                             ;   in Loop: Header=BB208_5 Depth=1
	s_or_b64 exec, exec, s[2:3]
	s_mov_b32 s2, 0
	v_mov_b32_e32 v90, v60
	v_mov_b32_e32 v91, v57
	s_waitcnt lgkmcnt(0)
	s_barrier
.LBB208_11:                             ;   Parent Loop BB208_5 Depth=1
                                        ; =>  This Inner Loop Header: Depth=2
	s_and_b32 s18, s2, 0x3ffffff8
	v_lshl_add_u32 v93, s18, 2, v67
	ds_read_b32 v92, v90
	ds_read_b128 v[5:8], v91
	ds_read_b128 v[1:4], v91 offset:16
	ds_read2_b32 v[94:95], v93 offset1:1
	s_lshr_b32 s18, s2, 2
	s_and_b32 s18, s18, 0x3ffffffc
	s_and_b32 s3, s2, -16
	s_addk_i32 s18, 0x5280
	s_waitcnt lgkmcnt(0)
	v_ashrrev_i32_e32 v88, s2, v94
	v_and_b32_e32 v96, 0x3030303, v88
	v_ashrrev_i32_e32 v88, s2, v95
	ds_read2_b32 v[94:95], v93 offset0:2 offset1:3
	v_and_b32_e32 v97, 0x3030303, v88
	s_add_i32 s3, s2, s3
	v_dot4_i32_i8 v96, v96, v5, 0
	v_dot4_i32_i8 v96, v97, v6, v96
	s_waitcnt lgkmcnt(0)
	v_ashrrev_i32_e32 v88, s2, v94
	v_and_b32_e32 v98, 0x3030303, v88
	v_ashrrev_i32_e32 v88, s2, v95
	ds_read2_b32 v[94:95], v93 offset0:4 offset1:5
	v_and_b32_e32 v99, 0x3030303, v88
	v_dot4_i32_i8 v96, v98, v7, v96
	v_dot4_i32_i8 v96, v99, v8, v96
	v_add_u32_e32 v91, 32, v91
	s_waitcnt lgkmcnt(0)
	v_ashrrev_i32_e32 v88, s2, v94
	v_and_b32_e32 v100, 0x3030303, v88
	v_ashrrev_i32_e32 v88, s2, v95
	ds_read2_b32 v[94:95], v93 offset0:6 offset1:7
	v_and_b32_e32 v101, 0x3030303, v88
	v_dot4_i32_i8 v98, v100, v1, 0
	v_dot4_i32_i8 v98, v101, v2, v98
	v_add_u32_e32 v90, 4, v90
	s_waitcnt lgkmcnt(0)
	v_ashrrev_i32_e32 v88, s2, v94
	v_and_b32_e32 v102, 0x3030303, v88
	v_ashrrev_i32_e32 v88, s2, v95
	v_and_b32_e32 v95, 0x3030303, v88
	v_lshlrev_b32_e32 v88, 2, v30
	v_add3_u32 v103, s18, v88, v79
	v_add_u32_e32 v94, s3, v71
	ds_read_b32 v103, v103
	ds_read_u16 v104, v94
	v_dot4_i32_i8 v98, v102, v3, v98
	v_dot4_i32_i8 v95, v95, v4, v98
	s_waitcnt lgkmcnt(0)
	v_bfe_u32 v94, v104, 4, 4
	v_mul_lo_u32 v94, v94, s23
	v_dot4_i32_i8 v105, v94, v5, 0
	v_dot4_i32_i8 v97, v94, v6, v105
	;; [unrolled: 1-line block ×4, first 2 shown]
	v_and_b32_e32 v94, 15, v104
	v_mul_lo_u32 v94, v94, v96
	v_lshrrev_b32_sdwa v96, v80, v104 dst_sel:DWORD dst_unused:UNUSED_PAD src0_sel:DWORD src1_sel:BYTE_1
	v_mul_lo_u32 v96, v96, s23
	v_dot4_i32_i8 v97, v96, v1, v97
	v_dot4_i32_i8 v97, v96, v2, v97
	v_dot4_i32_i8 v97, v96, v3, v97
	v_dot4_i32_i8 v96, v96, v4, v97
	v_and_b32_sdwa v97, v104, v81 dst_sel:DWORD dst_unused:UNUSED_PAD src0_sel:BYTE_1 src1_sel:DWORD
	v_mad_u64_u32 v[94:95], s[26:27], v97, v95, v[94:95]
	v_cvt_f32_f16_sdwa v95, v103 dst_sel:DWORD dst_unused:UNUSED_PAD src0_sel:WORD_1
	v_cvt_f32_i32_e32 v96, v96
	v_cvt_f32_i32_e32 v94, v94
	v_mul_f32_e32 v95, v95, v96
	v_fma_mix_f32 v94, v103, v94, -v95 op_sel_hi:[1,0,0]
	v_fmac_f32_e32 v29, v92, v94
	v_add_u32_e32 v94, 0x1080, v93
	ds_read2_b32 v[94:95], v94 offset1:1
	v_add3_u32 v103, s18, v82, v83
	s_waitcnt lgkmcnt(0)
	v_ashrrev_i32_e32 v94, s2, v94
	v_and_b32_e32 v96, 0x3030303, v94
	v_ashrrev_i32_e32 v94, s2, v95
	v_and_b32_e32 v97, 0x3030303, v94
	v_add_u32_e32 v94, 0x1088, v93
	ds_read2_b32 v[94:95], v94 offset1:1
	v_dot4_i32_i8 v96, v96, v5, 0
	v_dot4_i32_i8 v96, v97, v6, v96
	s_waitcnt lgkmcnt(0)
	v_ashrrev_i32_e32 v94, s2, v94
	v_and_b32_e32 v98, 0x3030303, v94
	v_ashrrev_i32_e32 v94, s2, v95
	v_and_b32_e32 v99, 0x3030303, v94
	v_add_u32_e32 v94, 0x1090, v93
	ds_read2_b32 v[94:95], v94 offset1:1
	v_dot4_i32_i8 v96, v98, v7, v96
	v_dot4_i32_i8 v96, v99, v8, v96
	;; [unrolled: 9-line block ×3, first 2 shown]
	s_waitcnt lgkmcnt(0)
	v_ashrrev_i32_e32 v94, s2, v94
	v_and_b32_e32 v102, 0x3030303, v94
	v_ashrrev_i32_e32 v94, s2, v95
	v_and_b32_e32 v95, 0x3030303, v94
	v_add_u32_e32 v94, s3, v72
	ds_read_b32 v103, v103
	ds_read_u16 v104, v94 offset:17920
	v_dot4_i32_i8 v98, v102, v3, v98
	v_dot4_i32_i8 v95, v95, v4, v98
	s_waitcnt lgkmcnt(0)
	v_bfe_u32 v94, v104, 4, 4
	v_mul_lo_u32 v94, v94, s23
	v_dot4_i32_i8 v105, v94, v5, 0
	v_dot4_i32_i8 v97, v94, v6, v105
	;; [unrolled: 1-line block ×4, first 2 shown]
	v_and_b32_e32 v94, 15, v104
	v_mul_lo_u32 v94, v94, v96
	v_lshrrev_b32_sdwa v96, v80, v104 dst_sel:DWORD dst_unused:UNUSED_PAD src0_sel:DWORD src1_sel:BYTE_1
	v_mul_lo_u32 v96, v96, s23
	v_dot4_i32_i8 v97, v96, v1, v97
	v_dot4_i32_i8 v97, v96, v2, v97
	;; [unrolled: 1-line block ×4, first 2 shown]
	v_and_b32_sdwa v97, v104, v81 dst_sel:DWORD dst_unused:UNUSED_PAD src0_sel:BYTE_1 src1_sel:DWORD
	v_mad_u64_u32 v[94:95], s[26:27], v97, v95, v[94:95]
	v_cvt_f32_f16_sdwa v95, v103 dst_sel:DWORD dst_unused:UNUSED_PAD src0_sel:WORD_1
	v_cvt_f32_i32_e32 v96, v96
	v_cvt_f32_i32_e32 v94, v94
	v_mul_f32_e32 v95, v95, v96
	v_fma_mix_f32 v94, v103, v94, -v95 op_sel_hi:[1,0,0]
	v_fmac_f32_e32 v62, v92, v94
	v_add_u32_e32 v94, 0x2100, v93
	ds_read2_b32 v[94:95], v94 offset1:1
	v_add3_u32 v103, s18, v84, v85
	s_waitcnt lgkmcnt(0)
	v_ashrrev_i32_e32 v94, s2, v94
	v_and_b32_e32 v96, 0x3030303, v94
	v_ashrrev_i32_e32 v94, s2, v95
	v_and_b32_e32 v97, 0x3030303, v94
	v_add_u32_e32 v94, 0x2108, v93
	ds_read2_b32 v[94:95], v94 offset1:1
	v_dot4_i32_i8 v96, v96, v5, 0
	v_dot4_i32_i8 v96, v97, v6, v96
	s_waitcnt lgkmcnt(0)
	v_ashrrev_i32_e32 v94, s2, v94
	v_and_b32_e32 v98, 0x3030303, v94
	v_ashrrev_i32_e32 v94, s2, v95
	v_and_b32_e32 v99, 0x3030303, v94
	v_add_u32_e32 v94, 0x2110, v93
	ds_read2_b32 v[94:95], v94 offset1:1
	v_dot4_i32_i8 v96, v98, v7, v96
	v_dot4_i32_i8 v96, v99, v8, v96
	;; [unrolled: 9-line block ×3, first 2 shown]
	v_add_u32_e32 v101, s3, v69
	s_waitcnt lgkmcnt(0)
	v_ashrrev_i32_e32 v94, s2, v94
	v_and_b32_e32 v102, 0x3030303, v94
	v_ashrrev_i32_e32 v94, s2, v95
	v_and_b32_e32 v95, 0x3030303, v94
	v_add_u32_e32 v94, s3, v73
	ds_read_b32 v103, v103
	ds_read_u16 v104, v94 offset:18944
	v_dot4_i32_i8 v98, v102, v3, v98
	v_dot4_i32_i8 v95, v95, v4, v98
	v_add3_u32 v102, s18, v86, v87
	s_add_i32 s3, s2, 2
	s_waitcnt lgkmcnt(0)
	v_bfe_u32 v94, v104, 4, 4
	v_mul_lo_u32 v94, v94, s23
	s_cmp_lt_u32 s2, 6
	v_dot4_i32_i8 v105, v94, v5, 0
	v_dot4_i32_i8 v97, v94, v6, v105
	;; [unrolled: 1-line block ×4, first 2 shown]
	v_and_b32_e32 v94, 15, v104
	v_mul_lo_u32 v94, v94, v96
	v_lshrrev_b32_sdwa v96, v80, v104 dst_sel:DWORD dst_unused:UNUSED_PAD src0_sel:DWORD src1_sel:BYTE_1
	v_mul_lo_u32 v96, v96, s23
	v_dot4_i32_i8 v97, v96, v1, v97
	v_dot4_i32_i8 v97, v96, v2, v97
	;; [unrolled: 1-line block ×4, first 2 shown]
	v_and_b32_sdwa v97, v104, v81 dst_sel:DWORD dst_unused:UNUSED_PAD src0_sel:BYTE_1 src1_sel:DWORD
	v_mad_u64_u32 v[94:95], s[26:27], v97, v95, v[94:95]
	v_cvt_f32_f16_sdwa v95, v103 dst_sel:DWORD dst_unused:UNUSED_PAD src0_sel:WORD_1
	v_cvt_f32_i32_e32 v96, v96
	v_cvt_f32_i32_e32 v94, v94
	v_mul_f32_e32 v95, v95, v96
	v_fma_mix_f32 v94, v103, v94, -v95 op_sel_hi:[1,0,0]
	v_fmac_f32_e32 v59, v92, v94
	v_add_u32_e32 v94, 0x3180, v93
	ds_read2_b32 v[94:95], v94 offset1:1
	s_waitcnt lgkmcnt(0)
	v_ashrrev_i32_e32 v94, s2, v94
	v_and_b32_e32 v96, 0x3030303, v94
	v_ashrrev_i32_e32 v94, s2, v95
	v_and_b32_e32 v97, 0x3030303, v94
	v_add_u32_e32 v94, 0x3188, v93
	ds_read2_b32 v[94:95], v94 offset1:1
	v_dot4_i32_i8 v96, v96, v5, 0
	v_dot4_i32_i8 v96, v97, v6, v96
	s_waitcnt lgkmcnt(0)
	v_ashrrev_i32_e32 v94, s2, v94
	v_and_b32_e32 v98, 0x3030303, v94
	v_ashrrev_i32_e32 v94, s2, v95
	v_and_b32_e32 v99, 0x3030303, v94
	v_add_u32_e32 v94, 0x3190, v93
	ds_read2_b32 v[94:95], v94 offset1:1
	v_add_u32_e32 v93, 0x3198, v93
	s_waitcnt lgkmcnt(0)
	v_ashrrev_i32_e32 v94, s2, v94
	v_and_b32_e32 v100, 0x3030303, v94
	v_ashrrev_i32_e32 v94, s2, v95
	v_and_b32_e32 v95, 0x3030303, v94
	ds_read2_b32 v[93:94], v93 offset1:1
	ds_read_b32 v102, v102
	ds_read_u16 v101, v101 offset:19968
	s_waitcnt lgkmcnt(2)
	v_ashrrev_i32_e32 v93, s2, v93
	s_waitcnt lgkmcnt(0)
	v_bfe_u32 v103, v101, 4, 4
	v_mul_lo_u32 v103, v103, s23
	v_and_b32_e32 v93, 0x3030303, v93
	v_ashrrev_i32_e32 v94, s2, v94
	v_and_b32_e32 v94, 0x3030303, v94
	v_dot4_i32_i8 v5, v103, v5, 0
	v_dot4_i32_i8 v5, v103, v6, v5
	;; [unrolled: 1-line block ×6, first 2 shown]
	v_and_b32_e32 v5, 15, v101
	v_mul_lo_u32 v5, v5, v6
	v_lshrrev_b32_sdwa v6, v80, v101 dst_sel:DWORD dst_unused:UNUSED_PAD src0_sel:DWORD src1_sel:BYTE_1
	v_mul_lo_u32 v6, v6, s23
	v_dot4_i32_i8 v8, v100, v1, 0
	s_mov_b32 s2, s3
	v_dot4_i32_i8 v1, v6, v1, v7
	v_dot4_i32_i8 v7, v95, v2, v8
	;; [unrolled: 1-line block ×7, first 2 shown]
	v_and_b32_sdwa v1, v101, v81 dst_sel:DWORD dst_unused:UNUSED_PAD src0_sel:BYTE_1 src1_sel:DWORD
	v_mad_u64_u32 v[1:2], s[18:19], v1, v2, v[5:6]
	v_cvt_f32_f16_sdwa v2, v102 dst_sel:DWORD dst_unused:UNUSED_PAD src0_sel:WORD_1
	v_cvt_f32_i32_e32 v3, v3
	v_cvt_f32_i32_e32 v1, v1
	v_mul_f32_e32 v2, v2, v3
	v_fma_mix_f32 v1, v102, v1, -v2 op_sel_hi:[1,0,0]
	v_fmac_f32_e32 v25, v92, v1
	s_cbranch_scc1 .LBB208_11
; %bb.12:                               ;   in Loop: Header=BB208_5 Depth=1
	s_or_b32 s2, s24, 0x80
	s_cmp_ge_i32 s2, s9
	s_barrier
	s_cbranch_scc1 .LBB208_4
; %bb.13:                               ;   in Loop: Header=BB208_5 Depth=1
	v_add_u32_e32 v1, s25, v63
	v_cmp_gt_i32_e64 s[2:3], s12, v1
	s_and_b64 s[18:19], s[0:1], s[2:3]
	s_and_saveexec_b64 s[2:3], s[18:19]
	s_cbranch_execz .LBB208_15
; %bb.14:                               ;   in Loop: Header=BB208_5 Depth=1
	v_add_u32_e32 v1, v66, v1
	v_mad_i64_i32 v[1:2], s[18:19], v1, 36, v[26:27]
	global_load_dword v1, v[1:2], off offset:4
	s_waitcnt vmcnt(0)
	ds_write_b32 v58, v1
.LBB208_15:                             ;   in Loop: Header=BB208_5 Depth=1
	s_or_b64 exec, exec, s[2:3]
	s_and_saveexec_b64 s[18:19], vcc
	s_cbranch_execz .LBB208_18
; %bb.16:                               ;   in Loop: Header=BB208_5 Depth=1
	v_or_b32_e32 v1, 4, v89
	v_cmp_gt_i32_e64 s[2:3], s12, v1
	s_and_b64 s[2:3], s[0:1], s[2:3]
	s_and_b64 exec, exec, s[2:3]
	s_cbranch_execz .LBB208_18
; %bb.17:                               ;   in Loop: Header=BB208_5 Depth=1
	v_ashrrev_i32_e32 v1, 31, v89
	v_add_co_u32_e64 v2, s[2:3], v66, v89
	v_addc_co_u32_e64 v3, s[2:3], v68, v1, s[2:3]
	v_mad_u64_u32 v[1:2], s[2:3], v2, 36, s[6:7]
	v_mad_i32_i24 v2, v3, 36, v2
	global_load_dword v1, v[1:2], off offset:144
	s_waitcnt vmcnt(0)
	v_cvt_f32_f16_e32 v1, v1
	ds_write_b32 v61, v1
.LBB208_18:                             ;   in Loop: Header=BB208_5 Depth=1
	s_or_b64 exec, exec, s[18:19]
	s_mov_b32 s2, 8
	v_mov_b32_e32 v90, v57
	v_mov_b32_e32 v91, v60
	s_waitcnt lgkmcnt(0)
	s_barrier
.LBB208_19:                             ;   Parent Loop BB208_5 Depth=1
                                        ; =>  This Inner Loop Header: Depth=2
	s_and_b32 s19, s2, 0x3ffffff8
	v_lshl_add_u32 v93, s19, 2, v67
	ds_read_b32 v92, v91
	ds_read_b128 v[5:8], v90
	ds_read_b128 v[1:4], v90 offset:16
	ds_read2_b32 v[94:95], v93 offset1:1
	s_add_i32 s3, s2, -8
	s_lshr_b32 s19, s2, 2
	s_and_b32 s19, s19, 0x3ffffffc
	s_and_b32 s18, s2, -16
	s_waitcnt lgkmcnt(0)
	v_ashrrev_i32_e32 v94, s3, v94
	v_and_b32_e32 v96, 0x3030303, v94
	v_ashrrev_i32_e32 v94, s3, v95
	v_and_b32_e32 v97, 0x3030303, v94
	ds_read2_b32 v[94:95], v93 offset0:2 offset1:3
	s_addk_i32 s19, 0x5280
	s_add_i32 s18, s2, s18
	v_add3_u32 v103, s19, v88, v79
	v_dot4_i32_i8 v96, v96, v5, 0
	s_waitcnt lgkmcnt(0)
	v_ashrrev_i32_e32 v94, s3, v94
	v_and_b32_e32 v98, 0x3030303, v94
	v_ashrrev_i32_e32 v94, s3, v95
	v_and_b32_e32 v99, 0x3030303, v94
	ds_read2_b32 v[94:95], v93 offset0:4 offset1:5
	v_dot4_i32_i8 v96, v97, v6, v96
	v_dot4_i32_i8 v96, v98, v7, v96
	;; [unrolled: 1-line block ×3, first 2 shown]
	v_add_u32_e32 v91, 4, v91
	s_waitcnt lgkmcnt(0)
	v_ashrrev_i32_e32 v94, s3, v94
	v_and_b32_e32 v100, 0x3030303, v94
	v_ashrrev_i32_e32 v94, s3, v95
	v_and_b32_e32 v101, 0x3030303, v94
	ds_read2_b32 v[94:95], v93 offset0:6 offset1:7
	v_dot4_i32_i8 v98, v100, v1, 0
	v_dot4_i32_i8 v98, v101, v2, v98
	v_add_u32_e32 v90, 32, v90
	s_waitcnt lgkmcnt(0)
	v_ashrrev_i32_e32 v94, s3, v94
	v_and_b32_e32 v102, 0x3030303, v94
	v_ashrrev_i32_e32 v94, s3, v95
	v_and_b32_e32 v95, 0x3030303, v94
	v_add_u32_e32 v94, s18, v70
	ds_read_b32 v103, v103
	ds_read_u16 v104, v94 offset:16896
	v_dot4_i32_i8 v98, v102, v3, v98
	v_dot4_i32_i8 v95, v95, v4, v98
	s_waitcnt lgkmcnt(0)
	v_bfe_u32 v94, v104, 4, 4
	v_mul_lo_u32 v94, v94, s23
	v_dot4_i32_i8 v105, v94, v5, 0
	v_dot4_i32_i8 v97, v94, v6, v105
	;; [unrolled: 1-line block ×4, first 2 shown]
	v_and_b32_e32 v94, 15, v104
	v_mul_lo_u32 v94, v94, v96
	v_lshrrev_b32_sdwa v96, v80, v104 dst_sel:DWORD dst_unused:UNUSED_PAD src0_sel:DWORD src1_sel:BYTE_1
	v_mul_lo_u32 v96, v96, s23
	v_dot4_i32_i8 v97, v96, v1, v97
	v_dot4_i32_i8 v97, v96, v2, v97
	;; [unrolled: 1-line block ×4, first 2 shown]
	v_and_b32_sdwa v97, v104, v81 dst_sel:DWORD dst_unused:UNUSED_PAD src0_sel:BYTE_1 src1_sel:DWORD
	v_mad_u64_u32 v[94:95], s[26:27], v97, v95, v[94:95]
	v_cvt_f32_f16_sdwa v95, v103 dst_sel:DWORD dst_unused:UNUSED_PAD src0_sel:WORD_1
	v_cvt_f32_i32_e32 v96, v96
	v_cvt_f32_i32_e32 v94, v94
	v_mul_f32_e32 v95, v95, v96
	v_fma_mix_f32 v94, v103, v94, -v95 op_sel_hi:[1,0,0]
	v_fmac_f32_e32 v29, v92, v94
	v_add_u32_e32 v94, 0x1080, v93
	ds_read2_b32 v[94:95], v94 offset1:1
	v_add3_u32 v103, s19, v82, v83
	s_waitcnt lgkmcnt(0)
	v_ashrrev_i32_e32 v94, s3, v94
	v_and_b32_e32 v96, 0x3030303, v94
	v_ashrrev_i32_e32 v94, s3, v95
	v_and_b32_e32 v97, 0x3030303, v94
	v_add_u32_e32 v94, 0x1088, v93
	ds_read2_b32 v[94:95], v94 offset1:1
	v_dot4_i32_i8 v96, v96, v5, 0
	v_dot4_i32_i8 v96, v97, v6, v96
	s_waitcnt lgkmcnt(0)
	v_ashrrev_i32_e32 v94, s3, v94
	v_and_b32_e32 v98, 0x3030303, v94
	v_ashrrev_i32_e32 v94, s3, v95
	v_and_b32_e32 v99, 0x3030303, v94
	v_add_u32_e32 v94, 0x1090, v93
	ds_read2_b32 v[94:95], v94 offset1:1
	v_dot4_i32_i8 v96, v98, v7, v96
	v_dot4_i32_i8 v96, v99, v8, v96
	;; [unrolled: 9-line block ×3, first 2 shown]
	s_waitcnt lgkmcnt(0)
	v_ashrrev_i32_e32 v94, s3, v94
	v_and_b32_e32 v102, 0x3030303, v94
	v_ashrrev_i32_e32 v94, s3, v95
	v_and_b32_e32 v95, 0x3030303, v94
	v_add_u32_e32 v94, s18, v72
	ds_read_b32 v103, v103
	ds_read_u16 v104, v94 offset:17920
	v_dot4_i32_i8 v98, v102, v3, v98
	v_dot4_i32_i8 v95, v95, v4, v98
	s_waitcnt lgkmcnt(0)
	v_bfe_u32 v94, v104, 4, 4
	v_mul_lo_u32 v94, v94, s23
	v_dot4_i32_i8 v105, v94, v5, 0
	v_dot4_i32_i8 v97, v94, v6, v105
	;; [unrolled: 1-line block ×4, first 2 shown]
	v_and_b32_e32 v94, 15, v104
	v_mul_lo_u32 v94, v94, v96
	v_lshrrev_b32_sdwa v96, v80, v104 dst_sel:DWORD dst_unused:UNUSED_PAD src0_sel:DWORD src1_sel:BYTE_1
	v_mul_lo_u32 v96, v96, s23
	v_dot4_i32_i8 v97, v96, v1, v97
	v_dot4_i32_i8 v97, v96, v2, v97
	;; [unrolled: 1-line block ×4, first 2 shown]
	v_and_b32_sdwa v97, v104, v81 dst_sel:DWORD dst_unused:UNUSED_PAD src0_sel:BYTE_1 src1_sel:DWORD
	v_mad_u64_u32 v[94:95], s[26:27], v97, v95, v[94:95]
	v_cvt_f32_f16_sdwa v95, v103 dst_sel:DWORD dst_unused:UNUSED_PAD src0_sel:WORD_1
	v_cvt_f32_i32_e32 v96, v96
	v_cvt_f32_i32_e32 v94, v94
	v_mul_f32_e32 v95, v95, v96
	v_fma_mix_f32 v94, v103, v94, -v95 op_sel_hi:[1,0,0]
	v_fmac_f32_e32 v62, v92, v94
	v_add_u32_e32 v94, 0x2100, v93
	ds_read2_b32 v[94:95], v94 offset1:1
	v_add3_u32 v103, s19, v84, v85
	s_waitcnt lgkmcnt(0)
	v_ashrrev_i32_e32 v94, s3, v94
	v_and_b32_e32 v96, 0x3030303, v94
	v_ashrrev_i32_e32 v94, s3, v95
	v_and_b32_e32 v97, 0x3030303, v94
	v_add_u32_e32 v94, 0x2108, v93
	ds_read2_b32 v[94:95], v94 offset1:1
	v_dot4_i32_i8 v96, v96, v5, 0
	v_dot4_i32_i8 v96, v97, v6, v96
	s_waitcnt lgkmcnt(0)
	v_ashrrev_i32_e32 v94, s3, v94
	v_and_b32_e32 v98, 0x3030303, v94
	v_ashrrev_i32_e32 v94, s3, v95
	v_and_b32_e32 v99, 0x3030303, v94
	v_add_u32_e32 v94, 0x2110, v93
	ds_read2_b32 v[94:95], v94 offset1:1
	v_dot4_i32_i8 v96, v98, v7, v96
	v_dot4_i32_i8 v96, v99, v8, v96
	;; [unrolled: 9-line block ×3, first 2 shown]
	v_add_u32_e32 v101, s18, v69
	s_waitcnt lgkmcnt(0)
	v_ashrrev_i32_e32 v94, s3, v94
	v_and_b32_e32 v102, 0x3030303, v94
	v_ashrrev_i32_e32 v94, s3, v95
	v_and_b32_e32 v95, 0x3030303, v94
	v_add_u32_e32 v94, s18, v73
	ds_read_b32 v103, v103
	ds_read_u16 v104, v94 offset:18944
	v_dot4_i32_i8 v98, v102, v3, v98
	v_dot4_i32_i8 v95, v95, v4, v98
	v_add3_u32 v102, s19, v86, v87
	s_waitcnt lgkmcnt(0)
	v_bfe_u32 v94, v104, 4, 4
	v_mul_lo_u32 v94, v94, s23
	v_dot4_i32_i8 v105, v94, v5, 0
	v_dot4_i32_i8 v97, v94, v6, v105
	;; [unrolled: 1-line block ×4, first 2 shown]
	v_and_b32_e32 v94, 15, v104
	v_mul_lo_u32 v94, v94, v96
	v_lshrrev_b32_sdwa v96, v80, v104 dst_sel:DWORD dst_unused:UNUSED_PAD src0_sel:DWORD src1_sel:BYTE_1
	v_mul_lo_u32 v96, v96, s23
	v_dot4_i32_i8 v97, v96, v1, v97
	v_dot4_i32_i8 v97, v96, v2, v97
	;; [unrolled: 1-line block ×4, first 2 shown]
	v_and_b32_sdwa v97, v104, v81 dst_sel:DWORD dst_unused:UNUSED_PAD src0_sel:BYTE_1 src1_sel:DWORD
	v_mad_u64_u32 v[94:95], s[26:27], v97, v95, v[94:95]
	v_cvt_f32_f16_sdwa v95, v103 dst_sel:DWORD dst_unused:UNUSED_PAD src0_sel:WORD_1
	v_cvt_f32_i32_e32 v96, v96
	v_cvt_f32_i32_e32 v94, v94
	v_mul_f32_e32 v95, v95, v96
	v_fma_mix_f32 v94, v103, v94, -v95 op_sel_hi:[1,0,0]
	v_fmac_f32_e32 v59, v92, v94
	v_add_u32_e32 v94, 0x3180, v93
	ds_read2_b32 v[94:95], v94 offset1:1
	s_waitcnt lgkmcnt(0)
	v_ashrrev_i32_e32 v94, s3, v94
	v_and_b32_e32 v96, 0x3030303, v94
	v_ashrrev_i32_e32 v94, s3, v95
	v_and_b32_e32 v97, 0x3030303, v94
	v_add_u32_e32 v94, 0x3188, v93
	ds_read2_b32 v[94:95], v94 offset1:1
	v_dot4_i32_i8 v96, v96, v5, 0
	v_dot4_i32_i8 v96, v97, v6, v96
	s_waitcnt lgkmcnt(0)
	v_ashrrev_i32_e32 v94, s3, v94
	v_and_b32_e32 v98, 0x3030303, v94
	v_ashrrev_i32_e32 v94, s3, v95
	v_and_b32_e32 v99, 0x3030303, v94
	v_add_u32_e32 v94, 0x3190, v93
	ds_read2_b32 v[94:95], v94 offset1:1
	v_add_u32_e32 v93, 0x3198, v93
	s_waitcnt lgkmcnt(0)
	v_ashrrev_i32_e32 v94, s3, v94
	v_and_b32_e32 v100, 0x3030303, v94
	v_ashrrev_i32_e32 v94, s3, v95
	v_and_b32_e32 v95, 0x3030303, v94
	ds_read2_b32 v[93:94], v93 offset1:1
	ds_read_b32 v102, v102
	ds_read_u16 v101, v101 offset:19968
	s_waitcnt lgkmcnt(2)
	v_ashrrev_i32_e32 v93, s3, v93
	s_waitcnt lgkmcnt(0)
	v_bfe_u32 v103, v101, 4, 4
	v_mul_lo_u32 v103, v103, s23
	v_and_b32_e32 v93, 0x3030303, v93
	v_ashrrev_i32_e32 v94, s3, v94
	v_and_b32_e32 v94, 0x3030303, v94
	v_dot4_i32_i8 v5, v103, v5, 0
	v_dot4_i32_i8 v5, v103, v6, v5
	;; [unrolled: 1-line block ×6, first 2 shown]
	v_and_b32_e32 v5, 15, v101
	v_mul_lo_u32 v5, v5, v6
	v_lshrrev_b32_sdwa v6, v80, v101 dst_sel:DWORD dst_unused:UNUSED_PAD src0_sel:DWORD src1_sel:BYTE_1
	v_mul_lo_u32 v6, v6, s23
	v_dot4_i32_i8 v8, v100, v1, 0
	s_add_i32 s3, s2, 2
	s_cmp_lt_u32 s2, 14
	v_dot4_i32_i8 v1, v6, v1, v7
	v_dot4_i32_i8 v7, v95, v2, v8
	;; [unrolled: 1-line block ×7, first 2 shown]
	v_and_b32_sdwa v1, v101, v81 dst_sel:DWORD dst_unused:UNUSED_PAD src0_sel:BYTE_1 src1_sel:DWORD
	v_mad_u64_u32 v[1:2], s[18:19], v1, v2, v[5:6]
	v_cvt_f32_f16_sdwa v2, v102 dst_sel:DWORD dst_unused:UNUSED_PAD src0_sel:WORD_1
	v_cvt_f32_i32_e32 v3, v3
	v_cvt_f32_i32_e32 v1, v1
	s_mov_b32 s2, s3
	v_mul_f32_e32 v2, v2, v3
	v_fma_mix_f32 v1, v102, v1, -v2 op_sel_hi:[1,0,0]
	v_fmac_f32_e32 v25, v92, v1
	s_cbranch_scc1 .LBB208_19
; %bb.20:                               ;   in Loop: Header=BB208_5 Depth=1
	s_or_b32 s2, s24, 0x100
	s_cmp_ge_i32 s2, s9
	s_barrier
	s_cbranch_scc1 .LBB208_4
; %bb.21:                               ;   in Loop: Header=BB208_5 Depth=1
	v_add_u32_e32 v1, s25, v64
	v_cmp_gt_i32_e64 s[2:3], s12, v1
	s_and_b64 s[18:19], s[0:1], s[2:3]
	s_and_saveexec_b64 s[2:3], s[18:19]
	s_cbranch_execz .LBB208_23
; %bb.22:                               ;   in Loop: Header=BB208_5 Depth=1
	v_add_u32_e32 v1, v66, v1
	v_mad_i64_i32 v[1:2], s[18:19], v1, 36, v[26:27]
	global_load_dword v1, v[1:2], off offset:4
	s_waitcnt vmcnt(0)
	ds_write_b32 v58, v1
.LBB208_23:                             ;   in Loop: Header=BB208_5 Depth=1
	s_or_b64 exec, exec, s[2:3]
	s_and_saveexec_b64 s[18:19], vcc
	s_cbranch_execz .LBB208_26
; %bb.24:                               ;   in Loop: Header=BB208_5 Depth=1
	v_or_b32_e32 v1, 8, v89
	v_cmp_gt_i32_e64 s[2:3], s12, v1
	s_and_b64 s[2:3], s[0:1], s[2:3]
	s_and_b64 exec, exec, s[2:3]
	s_cbranch_execz .LBB208_26
; %bb.25:                               ;   in Loop: Header=BB208_5 Depth=1
	v_ashrrev_i32_e32 v1, 31, v89
	v_add_co_u32_e64 v2, s[2:3], v66, v89
	v_addc_co_u32_e64 v3, s[2:3], v68, v1, s[2:3]
	v_mad_u64_u32 v[1:2], s[2:3], v2, 36, s[6:7]
	v_mad_i32_i24 v2, v3, 36, v2
	global_load_dword v1, v[1:2], off offset:288
	s_waitcnt vmcnt(0)
	v_cvt_f32_f16_e32 v1, v1
	ds_write_b32 v61, v1
.LBB208_26:                             ;   in Loop: Header=BB208_5 Depth=1
	s_or_b64 exec, exec, s[18:19]
	s_mov_b32 s2, 16
	v_mov_b32_e32 v90, v57
	v_mov_b32_e32 v91, v60
	s_waitcnt lgkmcnt(0)
	s_barrier
.LBB208_27:                             ;   Parent Loop BB208_5 Depth=1
                                        ; =>  This Inner Loop Header: Depth=2
	s_and_b32 s19, s2, 0x3ffffff8
	v_lshl_add_u32 v93, s19, 2, v67
	ds_read_b32 v92, v91
	ds_read_b128 v[5:8], v90
	ds_read_b128 v[1:4], v90 offset:16
	ds_read2_b32 v[94:95], v93 offset1:1
	s_add_i32 s3, s2, -16
	s_lshr_b32 s19, s2, 2
	s_and_b32 s19, s19, 0x3ffffffc
	s_and_b32 s18, s2, -16
	s_waitcnt lgkmcnt(0)
	v_ashrrev_i32_e32 v94, s3, v94
	v_and_b32_e32 v96, 0x3030303, v94
	v_ashrrev_i32_e32 v94, s3, v95
	v_and_b32_e32 v97, 0x3030303, v94
	ds_read2_b32 v[94:95], v93 offset0:2 offset1:3
	s_addk_i32 s19, 0x5280
	s_add_i32 s18, s2, s18
	v_add3_u32 v103, s19, v88, v79
	v_dot4_i32_i8 v96, v96, v5, 0
	s_waitcnt lgkmcnt(0)
	v_ashrrev_i32_e32 v94, s3, v94
	v_and_b32_e32 v98, 0x3030303, v94
	v_ashrrev_i32_e32 v94, s3, v95
	v_and_b32_e32 v99, 0x3030303, v94
	ds_read2_b32 v[94:95], v93 offset0:4 offset1:5
	v_dot4_i32_i8 v96, v97, v6, v96
	v_dot4_i32_i8 v96, v98, v7, v96
	;; [unrolled: 1-line block ×3, first 2 shown]
	v_add_u32_e32 v91, 4, v91
	s_waitcnt lgkmcnt(0)
	v_ashrrev_i32_e32 v94, s3, v94
	v_and_b32_e32 v100, 0x3030303, v94
	v_ashrrev_i32_e32 v94, s3, v95
	v_and_b32_e32 v101, 0x3030303, v94
	ds_read2_b32 v[94:95], v93 offset0:6 offset1:7
	v_dot4_i32_i8 v98, v100, v1, 0
	v_dot4_i32_i8 v98, v101, v2, v98
	v_add_u32_e32 v90, 32, v90
	s_waitcnt lgkmcnt(0)
	v_ashrrev_i32_e32 v94, s3, v94
	v_and_b32_e32 v102, 0x3030303, v94
	v_ashrrev_i32_e32 v94, s3, v95
	v_and_b32_e32 v95, 0x3030303, v94
	v_add_u32_e32 v94, s18, v70
	ds_read_b32 v103, v103
	ds_read_u16 v104, v94 offset:16880
	v_dot4_i32_i8 v98, v102, v3, v98
	v_dot4_i32_i8 v95, v95, v4, v98
	s_waitcnt lgkmcnt(0)
	v_bfe_u32 v94, v104, 4, 4
	v_mul_lo_u32 v94, v94, s23
	v_dot4_i32_i8 v105, v94, v5, 0
	v_dot4_i32_i8 v97, v94, v6, v105
	;; [unrolled: 1-line block ×4, first 2 shown]
	v_and_b32_e32 v94, 15, v104
	v_mul_lo_u32 v94, v94, v96
	v_lshrrev_b32_sdwa v96, v80, v104 dst_sel:DWORD dst_unused:UNUSED_PAD src0_sel:DWORD src1_sel:BYTE_1
	v_mul_lo_u32 v96, v96, s23
	v_dot4_i32_i8 v97, v96, v1, v97
	v_dot4_i32_i8 v97, v96, v2, v97
	;; [unrolled: 1-line block ×4, first 2 shown]
	v_and_b32_sdwa v97, v104, v81 dst_sel:DWORD dst_unused:UNUSED_PAD src0_sel:BYTE_1 src1_sel:DWORD
	v_mad_u64_u32 v[94:95], s[26:27], v97, v95, v[94:95]
	v_cvt_f32_f16_sdwa v95, v103 dst_sel:DWORD dst_unused:UNUSED_PAD src0_sel:WORD_1
	v_cvt_f32_i32_e32 v96, v96
	v_cvt_f32_i32_e32 v94, v94
	v_mul_f32_e32 v95, v95, v96
	v_fma_mix_f32 v94, v103, v94, -v95 op_sel_hi:[1,0,0]
	v_fmac_f32_e32 v29, v92, v94
	v_add_u32_e32 v94, 0x1080, v93
	ds_read2_b32 v[94:95], v94 offset1:1
	v_add3_u32 v103, s19, v82, v83
	s_waitcnt lgkmcnt(0)
	v_ashrrev_i32_e32 v94, s3, v94
	v_and_b32_e32 v96, 0x3030303, v94
	v_ashrrev_i32_e32 v94, s3, v95
	v_and_b32_e32 v97, 0x3030303, v94
	v_add_u32_e32 v94, 0x1088, v93
	ds_read2_b32 v[94:95], v94 offset1:1
	v_dot4_i32_i8 v96, v96, v5, 0
	v_dot4_i32_i8 v96, v97, v6, v96
	s_waitcnt lgkmcnt(0)
	v_ashrrev_i32_e32 v94, s3, v94
	v_and_b32_e32 v98, 0x3030303, v94
	v_ashrrev_i32_e32 v94, s3, v95
	v_and_b32_e32 v99, 0x3030303, v94
	v_add_u32_e32 v94, 0x1090, v93
	ds_read2_b32 v[94:95], v94 offset1:1
	v_dot4_i32_i8 v96, v98, v7, v96
	v_dot4_i32_i8 v96, v99, v8, v96
	;; [unrolled: 9-line block ×3, first 2 shown]
	s_waitcnt lgkmcnt(0)
	v_ashrrev_i32_e32 v94, s3, v94
	v_and_b32_e32 v102, 0x3030303, v94
	v_ashrrev_i32_e32 v94, s3, v95
	v_and_b32_e32 v95, 0x3030303, v94
	v_add_u32_e32 v94, s18, v72
	ds_read_b32 v103, v103
	ds_read_u16 v104, v94 offset:17904
	v_dot4_i32_i8 v98, v102, v3, v98
	v_dot4_i32_i8 v95, v95, v4, v98
	s_waitcnt lgkmcnt(0)
	v_bfe_u32 v94, v104, 4, 4
	v_mul_lo_u32 v94, v94, s23
	v_dot4_i32_i8 v105, v94, v5, 0
	v_dot4_i32_i8 v97, v94, v6, v105
	;; [unrolled: 1-line block ×4, first 2 shown]
	v_and_b32_e32 v94, 15, v104
	v_mul_lo_u32 v94, v94, v96
	v_lshrrev_b32_sdwa v96, v80, v104 dst_sel:DWORD dst_unused:UNUSED_PAD src0_sel:DWORD src1_sel:BYTE_1
	v_mul_lo_u32 v96, v96, s23
	v_dot4_i32_i8 v97, v96, v1, v97
	v_dot4_i32_i8 v97, v96, v2, v97
	;; [unrolled: 1-line block ×4, first 2 shown]
	v_and_b32_sdwa v97, v104, v81 dst_sel:DWORD dst_unused:UNUSED_PAD src0_sel:BYTE_1 src1_sel:DWORD
	v_mad_u64_u32 v[94:95], s[26:27], v97, v95, v[94:95]
	v_cvt_f32_f16_sdwa v95, v103 dst_sel:DWORD dst_unused:UNUSED_PAD src0_sel:WORD_1
	v_cvt_f32_i32_e32 v96, v96
	v_cvt_f32_i32_e32 v94, v94
	v_mul_f32_e32 v95, v95, v96
	v_fma_mix_f32 v94, v103, v94, -v95 op_sel_hi:[1,0,0]
	v_fmac_f32_e32 v62, v92, v94
	v_add_u32_e32 v94, 0x2100, v93
	ds_read2_b32 v[94:95], v94 offset1:1
	v_add3_u32 v103, s19, v84, v85
	s_waitcnt lgkmcnt(0)
	v_ashrrev_i32_e32 v94, s3, v94
	v_and_b32_e32 v96, 0x3030303, v94
	v_ashrrev_i32_e32 v94, s3, v95
	v_and_b32_e32 v97, 0x3030303, v94
	v_add_u32_e32 v94, 0x2108, v93
	ds_read2_b32 v[94:95], v94 offset1:1
	v_dot4_i32_i8 v96, v96, v5, 0
	v_dot4_i32_i8 v96, v97, v6, v96
	s_waitcnt lgkmcnt(0)
	v_ashrrev_i32_e32 v94, s3, v94
	v_and_b32_e32 v98, 0x3030303, v94
	v_ashrrev_i32_e32 v94, s3, v95
	v_and_b32_e32 v99, 0x3030303, v94
	v_add_u32_e32 v94, 0x2110, v93
	ds_read2_b32 v[94:95], v94 offset1:1
	v_dot4_i32_i8 v96, v98, v7, v96
	v_dot4_i32_i8 v96, v99, v8, v96
	;; [unrolled: 9-line block ×3, first 2 shown]
	v_add_u32_e32 v101, s18, v69
	s_waitcnt lgkmcnt(0)
	v_ashrrev_i32_e32 v94, s3, v94
	v_and_b32_e32 v102, 0x3030303, v94
	v_ashrrev_i32_e32 v94, s3, v95
	v_and_b32_e32 v95, 0x3030303, v94
	v_add_u32_e32 v94, s18, v73
	ds_read_b32 v103, v103
	ds_read_u16 v104, v94 offset:18928
	v_dot4_i32_i8 v98, v102, v3, v98
	v_dot4_i32_i8 v95, v95, v4, v98
	v_add3_u32 v102, s19, v86, v87
	s_waitcnt lgkmcnt(0)
	v_bfe_u32 v94, v104, 4, 4
	v_mul_lo_u32 v94, v94, s23
	v_dot4_i32_i8 v105, v94, v5, 0
	v_dot4_i32_i8 v97, v94, v6, v105
	;; [unrolled: 1-line block ×4, first 2 shown]
	v_and_b32_e32 v94, 15, v104
	v_mul_lo_u32 v94, v94, v96
	v_lshrrev_b32_sdwa v96, v80, v104 dst_sel:DWORD dst_unused:UNUSED_PAD src0_sel:DWORD src1_sel:BYTE_1
	v_mul_lo_u32 v96, v96, s23
	v_dot4_i32_i8 v97, v96, v1, v97
	v_dot4_i32_i8 v97, v96, v2, v97
	;; [unrolled: 1-line block ×4, first 2 shown]
	v_and_b32_sdwa v97, v104, v81 dst_sel:DWORD dst_unused:UNUSED_PAD src0_sel:BYTE_1 src1_sel:DWORD
	v_mad_u64_u32 v[94:95], s[26:27], v97, v95, v[94:95]
	v_cvt_f32_f16_sdwa v95, v103 dst_sel:DWORD dst_unused:UNUSED_PAD src0_sel:WORD_1
	v_cvt_f32_i32_e32 v96, v96
	v_cvt_f32_i32_e32 v94, v94
	v_mul_f32_e32 v95, v95, v96
	v_fma_mix_f32 v94, v103, v94, -v95 op_sel_hi:[1,0,0]
	v_fmac_f32_e32 v59, v92, v94
	v_add_u32_e32 v94, 0x3180, v93
	ds_read2_b32 v[94:95], v94 offset1:1
	s_waitcnt lgkmcnt(0)
	v_ashrrev_i32_e32 v94, s3, v94
	v_and_b32_e32 v96, 0x3030303, v94
	v_ashrrev_i32_e32 v94, s3, v95
	v_and_b32_e32 v97, 0x3030303, v94
	v_add_u32_e32 v94, 0x3188, v93
	ds_read2_b32 v[94:95], v94 offset1:1
	v_dot4_i32_i8 v96, v96, v5, 0
	v_dot4_i32_i8 v96, v97, v6, v96
	s_waitcnt lgkmcnt(0)
	v_ashrrev_i32_e32 v94, s3, v94
	v_and_b32_e32 v98, 0x3030303, v94
	v_ashrrev_i32_e32 v94, s3, v95
	v_and_b32_e32 v99, 0x3030303, v94
	v_add_u32_e32 v94, 0x3190, v93
	ds_read2_b32 v[94:95], v94 offset1:1
	v_add_u32_e32 v93, 0x3198, v93
	s_waitcnt lgkmcnt(0)
	v_ashrrev_i32_e32 v94, s3, v94
	v_and_b32_e32 v100, 0x3030303, v94
	v_ashrrev_i32_e32 v94, s3, v95
	v_and_b32_e32 v95, 0x3030303, v94
	ds_read2_b32 v[93:94], v93 offset1:1
	ds_read_b32 v102, v102
	ds_read_u16 v101, v101 offset:19952
	s_waitcnt lgkmcnt(2)
	v_ashrrev_i32_e32 v93, s3, v93
	s_waitcnt lgkmcnt(0)
	v_bfe_u32 v103, v101, 4, 4
	v_mul_lo_u32 v103, v103, s23
	v_and_b32_e32 v93, 0x3030303, v93
	v_ashrrev_i32_e32 v94, s3, v94
	v_and_b32_e32 v94, 0x3030303, v94
	v_dot4_i32_i8 v5, v103, v5, 0
	v_dot4_i32_i8 v5, v103, v6, v5
	;; [unrolled: 1-line block ×6, first 2 shown]
	v_and_b32_e32 v5, 15, v101
	v_mul_lo_u32 v5, v5, v6
	v_lshrrev_b32_sdwa v6, v80, v101 dst_sel:DWORD dst_unused:UNUSED_PAD src0_sel:DWORD src1_sel:BYTE_1
	v_mul_lo_u32 v6, v6, s23
	v_dot4_i32_i8 v8, v100, v1, 0
	s_add_i32 s3, s2, 2
	s_cmp_lt_u32 s2, 22
	v_dot4_i32_i8 v1, v6, v1, v7
	v_dot4_i32_i8 v7, v95, v2, v8
	;; [unrolled: 1-line block ×7, first 2 shown]
	v_and_b32_sdwa v1, v101, v81 dst_sel:DWORD dst_unused:UNUSED_PAD src0_sel:BYTE_1 src1_sel:DWORD
	v_mad_u64_u32 v[1:2], s[18:19], v1, v2, v[5:6]
	v_cvt_f32_f16_sdwa v2, v102 dst_sel:DWORD dst_unused:UNUSED_PAD src0_sel:WORD_1
	v_cvt_f32_i32_e32 v3, v3
	v_cvt_f32_i32_e32 v1, v1
	s_mov_b32 s2, s3
	v_mul_f32_e32 v2, v2, v3
	v_fma_mix_f32 v1, v102, v1, -v2 op_sel_hi:[1,0,0]
	v_fmac_f32_e32 v25, v92, v1
	s_cbranch_scc1 .LBB208_27
; %bb.28:                               ;   in Loop: Header=BB208_5 Depth=1
	s_or_b32 s2, s24, 0x180
	s_cmp_ge_i32 s2, s9
	s_barrier
	s_cbranch_scc1 .LBB208_4
; %bb.29:                               ;   in Loop: Header=BB208_5 Depth=1
	v_add_u32_e32 v1, s25, v65
	v_cmp_gt_i32_e64 s[2:3], s12, v1
	s_and_b64 s[18:19], s[0:1], s[2:3]
	s_and_saveexec_b64 s[2:3], s[18:19]
	s_cbranch_execz .LBB208_31
; %bb.30:                               ;   in Loop: Header=BB208_5 Depth=1
	v_add_u32_e32 v1, v66, v1
	v_mad_i64_i32 v[1:2], s[18:19], v1, 36, v[26:27]
	global_load_dword v1, v[1:2], off offset:4
	s_waitcnt vmcnt(0)
	ds_write_b32 v58, v1
.LBB208_31:                             ;   in Loop: Header=BB208_5 Depth=1
	s_or_b64 exec, exec, s[2:3]
	s_and_saveexec_b64 s[18:19], vcc
	s_cbranch_execz .LBB208_34
; %bb.32:                               ;   in Loop: Header=BB208_5 Depth=1
	v_or_b32_e32 v1, 12, v89
	v_cmp_gt_i32_e64 s[2:3], s12, v1
	s_and_b64 s[2:3], s[0:1], s[2:3]
	s_and_b64 exec, exec, s[2:3]
	s_cbranch_execz .LBB208_34
; %bb.33:                               ;   in Loop: Header=BB208_5 Depth=1
	v_ashrrev_i32_e32 v1, 31, v89
	v_add_co_u32_e64 v2, s[2:3], v66, v89
	v_addc_co_u32_e64 v3, s[2:3], v68, v1, s[2:3]
	v_mad_u64_u32 v[1:2], s[2:3], v2, 36, s[6:7]
	v_mad_i32_i24 v2, v3, 36, v2
	global_load_dword v1, v[1:2], off offset:432
	s_waitcnt vmcnt(0)
	v_cvt_f32_f16_e32 v1, v1
	ds_write_b32 v61, v1
.LBB208_34:                             ;   in Loop: Header=BB208_5 Depth=1
	s_or_b64 exec, exec, s[18:19]
	s_mov_b32 s2, 24
	v_mov_b32_e32 v89, v57
	v_mov_b32_e32 v90, v60
	s_waitcnt lgkmcnt(0)
	s_barrier
.LBB208_35:                             ;   Parent Loop BB208_5 Depth=1
                                        ; =>  This Inner Loop Header: Depth=2
	s_and_b32 s19, s2, 0x3ffffff8
	v_lshl_add_u32 v92, s19, 2, v67
	ds_read_b32 v91, v90
	ds_read_b128 v[5:8], v89
	ds_read_b128 v[1:4], v89 offset:16
	ds_read2_b32 v[93:94], v92 offset1:1
	s_sub_i32 s3, s2, 24
	s_lshr_b32 s19, s2, 2
	s_and_b32 s19, s19, 0x3ffffffc
	s_and_b32 s18, s2, -16
	s_waitcnt lgkmcnt(0)
	v_ashrrev_i32_e32 v93, s3, v93
	v_and_b32_e32 v95, 0x3030303, v93
	v_ashrrev_i32_e32 v93, s3, v94
	v_and_b32_e32 v96, 0x3030303, v93
	ds_read2_b32 v[93:94], v92 offset0:2 offset1:3
	s_addk_i32 s19, 0x5280
	s_add_i32 s18, s2, s18
	v_add3_u32 v102, s19, v88, v79
	v_dot4_i32_i8 v95, v95, v5, 0
	s_waitcnt lgkmcnt(0)
	v_ashrrev_i32_e32 v93, s3, v93
	v_and_b32_e32 v97, 0x3030303, v93
	v_ashrrev_i32_e32 v93, s3, v94
	v_and_b32_e32 v98, 0x3030303, v93
	ds_read2_b32 v[93:94], v92 offset0:4 offset1:5
	v_dot4_i32_i8 v95, v96, v6, v95
	v_dot4_i32_i8 v95, v97, v7, v95
	;; [unrolled: 1-line block ×3, first 2 shown]
	v_add_u32_e32 v90, 4, v90
	s_waitcnt lgkmcnt(0)
	v_ashrrev_i32_e32 v93, s3, v93
	v_and_b32_e32 v99, 0x3030303, v93
	v_ashrrev_i32_e32 v93, s3, v94
	v_and_b32_e32 v100, 0x3030303, v93
	ds_read2_b32 v[93:94], v92 offset0:6 offset1:7
	v_dot4_i32_i8 v97, v99, v1, 0
	v_dot4_i32_i8 v97, v100, v2, v97
	v_add_u32_e32 v89, 32, v89
	s_waitcnt lgkmcnt(0)
	v_ashrrev_i32_e32 v93, s3, v93
	v_and_b32_e32 v101, 0x3030303, v93
	v_ashrrev_i32_e32 v93, s3, v94
	v_and_b32_e32 v94, 0x3030303, v93
	v_add_u32_e32 v93, s18, v70
	ds_read_b32 v102, v102
	ds_read_u16 v103, v93 offset:16880
	v_dot4_i32_i8 v97, v101, v3, v97
	v_dot4_i32_i8 v94, v94, v4, v97
	s_waitcnt lgkmcnt(0)
	v_bfe_u32 v93, v103, 4, 4
	v_mul_lo_u32 v93, v93, s23
	v_dot4_i32_i8 v104, v93, v5, 0
	v_dot4_i32_i8 v96, v93, v6, v104
	;; [unrolled: 1-line block ×4, first 2 shown]
	v_and_b32_e32 v93, 15, v103
	v_mul_lo_u32 v93, v93, v95
	v_lshrrev_b32_sdwa v95, v80, v103 dst_sel:DWORD dst_unused:UNUSED_PAD src0_sel:DWORD src1_sel:BYTE_1
	v_mul_lo_u32 v95, v95, s23
	v_dot4_i32_i8 v96, v95, v1, v96
	v_dot4_i32_i8 v96, v95, v2, v96
	;; [unrolled: 1-line block ×4, first 2 shown]
	v_and_b32_sdwa v96, v103, v81 dst_sel:DWORD dst_unused:UNUSED_PAD src0_sel:BYTE_1 src1_sel:DWORD
	v_mad_u64_u32 v[93:94], s[24:25], v96, v94, v[93:94]
	v_cvt_f32_f16_sdwa v94, v102 dst_sel:DWORD dst_unused:UNUSED_PAD src0_sel:WORD_1
	v_cvt_f32_i32_e32 v95, v95
	v_cvt_f32_i32_e32 v93, v93
	v_mul_f32_e32 v94, v94, v95
	v_fma_mix_f32 v93, v102, v93, -v94 op_sel_hi:[1,0,0]
	v_fmac_f32_e32 v29, v91, v93
	v_add_u32_e32 v93, 0x1080, v92
	ds_read2_b32 v[93:94], v93 offset1:1
	v_add3_u32 v102, s19, v82, v83
	s_waitcnt lgkmcnt(0)
	v_ashrrev_i32_e32 v93, s3, v93
	v_and_b32_e32 v95, 0x3030303, v93
	v_ashrrev_i32_e32 v93, s3, v94
	v_and_b32_e32 v96, 0x3030303, v93
	v_add_u32_e32 v93, 0x1088, v92
	ds_read2_b32 v[93:94], v93 offset1:1
	v_dot4_i32_i8 v95, v95, v5, 0
	v_dot4_i32_i8 v95, v96, v6, v95
	s_waitcnt lgkmcnt(0)
	v_ashrrev_i32_e32 v93, s3, v93
	v_and_b32_e32 v97, 0x3030303, v93
	v_ashrrev_i32_e32 v93, s3, v94
	v_and_b32_e32 v98, 0x3030303, v93
	v_add_u32_e32 v93, 0x1090, v92
	ds_read2_b32 v[93:94], v93 offset1:1
	v_dot4_i32_i8 v95, v97, v7, v95
	v_dot4_i32_i8 v95, v98, v8, v95
	s_waitcnt lgkmcnt(0)
	v_ashrrev_i32_e32 v93, s3, v93
	v_and_b32_e32 v99, 0x3030303, v93
	v_ashrrev_i32_e32 v93, s3, v94
	v_and_b32_e32 v100, 0x3030303, v93
	v_add_u32_e32 v93, 0x1098, v92
	ds_read2_b32 v[93:94], v93 offset1:1
	v_dot4_i32_i8 v97, v99, v1, 0
	v_dot4_i32_i8 v97, v100, v2, v97
	s_waitcnt lgkmcnt(0)
	v_ashrrev_i32_e32 v93, s3, v93
	v_and_b32_e32 v101, 0x3030303, v93
	v_ashrrev_i32_e32 v93, s3, v94
	v_and_b32_e32 v94, 0x3030303, v93
	v_add_u32_e32 v93, s18, v72
	ds_read_b32 v102, v102
	ds_read_u16 v103, v93 offset:17904
	v_dot4_i32_i8 v97, v101, v3, v97
	v_dot4_i32_i8 v94, v94, v4, v97
	s_waitcnt lgkmcnt(0)
	v_bfe_u32 v93, v103, 4, 4
	v_mul_lo_u32 v93, v93, s23
	v_dot4_i32_i8 v104, v93, v5, 0
	v_dot4_i32_i8 v96, v93, v6, v104
	;; [unrolled: 1-line block ×4, first 2 shown]
	v_and_b32_e32 v93, 15, v103
	v_mul_lo_u32 v93, v93, v95
	v_lshrrev_b32_sdwa v95, v80, v103 dst_sel:DWORD dst_unused:UNUSED_PAD src0_sel:DWORD src1_sel:BYTE_1
	v_mul_lo_u32 v95, v95, s23
	v_dot4_i32_i8 v96, v95, v1, v96
	v_dot4_i32_i8 v96, v95, v2, v96
	;; [unrolled: 1-line block ×4, first 2 shown]
	v_and_b32_sdwa v96, v103, v81 dst_sel:DWORD dst_unused:UNUSED_PAD src0_sel:BYTE_1 src1_sel:DWORD
	v_mad_u64_u32 v[93:94], s[24:25], v96, v94, v[93:94]
	v_cvt_f32_f16_sdwa v94, v102 dst_sel:DWORD dst_unused:UNUSED_PAD src0_sel:WORD_1
	v_cvt_f32_i32_e32 v95, v95
	v_cvt_f32_i32_e32 v93, v93
	v_mul_f32_e32 v94, v94, v95
	v_fma_mix_f32 v93, v102, v93, -v94 op_sel_hi:[1,0,0]
	v_fmac_f32_e32 v62, v91, v93
	v_add_u32_e32 v93, 0x2100, v92
	ds_read2_b32 v[93:94], v93 offset1:1
	v_add3_u32 v102, s19, v84, v85
	s_waitcnt lgkmcnt(0)
	v_ashrrev_i32_e32 v93, s3, v93
	v_and_b32_e32 v95, 0x3030303, v93
	v_ashrrev_i32_e32 v93, s3, v94
	v_and_b32_e32 v96, 0x3030303, v93
	v_add_u32_e32 v93, 0x2108, v92
	ds_read2_b32 v[93:94], v93 offset1:1
	v_dot4_i32_i8 v95, v95, v5, 0
	v_dot4_i32_i8 v95, v96, v6, v95
	s_waitcnt lgkmcnt(0)
	v_ashrrev_i32_e32 v93, s3, v93
	v_and_b32_e32 v97, 0x3030303, v93
	v_ashrrev_i32_e32 v93, s3, v94
	v_and_b32_e32 v98, 0x3030303, v93
	v_add_u32_e32 v93, 0x2110, v92
	ds_read2_b32 v[93:94], v93 offset1:1
	v_dot4_i32_i8 v95, v97, v7, v95
	v_dot4_i32_i8 v95, v98, v8, v95
	;; [unrolled: 9-line block ×3, first 2 shown]
	v_add_u32_e32 v100, s18, v69
	s_waitcnt lgkmcnt(0)
	v_ashrrev_i32_e32 v93, s3, v93
	v_and_b32_e32 v101, 0x3030303, v93
	v_ashrrev_i32_e32 v93, s3, v94
	v_and_b32_e32 v94, 0x3030303, v93
	v_add_u32_e32 v93, s18, v73
	ds_read_b32 v102, v102
	ds_read_u16 v103, v93 offset:18928
	v_dot4_i32_i8 v97, v101, v3, v97
	v_dot4_i32_i8 v94, v94, v4, v97
	v_add3_u32 v101, s19, v86, v87
	s_waitcnt lgkmcnt(0)
	v_bfe_u32 v93, v103, 4, 4
	v_mul_lo_u32 v93, v93, s23
	v_dot4_i32_i8 v104, v93, v5, 0
	v_dot4_i32_i8 v96, v93, v6, v104
	;; [unrolled: 1-line block ×4, first 2 shown]
	v_and_b32_e32 v93, 15, v103
	v_mul_lo_u32 v93, v93, v95
	v_lshrrev_b32_sdwa v95, v80, v103 dst_sel:DWORD dst_unused:UNUSED_PAD src0_sel:DWORD src1_sel:BYTE_1
	v_mul_lo_u32 v95, v95, s23
	v_dot4_i32_i8 v96, v95, v1, v96
	v_dot4_i32_i8 v96, v95, v2, v96
	v_dot4_i32_i8 v96, v95, v3, v96
	v_dot4_i32_i8 v95, v95, v4, v96
	v_and_b32_sdwa v96, v103, v81 dst_sel:DWORD dst_unused:UNUSED_PAD src0_sel:BYTE_1 src1_sel:DWORD
	v_mad_u64_u32 v[93:94], s[24:25], v96, v94, v[93:94]
	v_cvt_f32_f16_sdwa v94, v102 dst_sel:DWORD dst_unused:UNUSED_PAD src0_sel:WORD_1
	v_cvt_f32_i32_e32 v95, v95
	v_cvt_f32_i32_e32 v93, v93
	v_mul_f32_e32 v94, v94, v95
	v_fma_mix_f32 v93, v102, v93, -v94 op_sel_hi:[1,0,0]
	v_fmac_f32_e32 v59, v91, v93
	v_add_u32_e32 v93, 0x3180, v92
	ds_read2_b32 v[93:94], v93 offset1:1
	s_waitcnt lgkmcnt(0)
	v_ashrrev_i32_e32 v93, s3, v93
	v_and_b32_e32 v95, 0x3030303, v93
	v_ashrrev_i32_e32 v93, s3, v94
	v_and_b32_e32 v96, 0x3030303, v93
	v_add_u32_e32 v93, 0x3188, v92
	ds_read2_b32 v[93:94], v93 offset1:1
	v_dot4_i32_i8 v95, v95, v5, 0
	v_dot4_i32_i8 v95, v96, v6, v95
	s_waitcnt lgkmcnt(0)
	v_ashrrev_i32_e32 v93, s3, v93
	v_and_b32_e32 v97, 0x3030303, v93
	v_ashrrev_i32_e32 v93, s3, v94
	v_and_b32_e32 v98, 0x3030303, v93
	v_add_u32_e32 v93, 0x3190, v92
	ds_read2_b32 v[93:94], v93 offset1:1
	v_add_u32_e32 v92, 0x3198, v92
	s_waitcnt lgkmcnt(0)
	v_ashrrev_i32_e32 v93, s3, v93
	v_and_b32_e32 v99, 0x3030303, v93
	v_ashrrev_i32_e32 v93, s3, v94
	v_and_b32_e32 v94, 0x3030303, v93
	ds_read2_b32 v[92:93], v92 offset1:1
	ds_read_b32 v101, v101
	ds_read_u16 v100, v100 offset:19952
	s_waitcnt lgkmcnt(2)
	v_ashrrev_i32_e32 v92, s3, v92
	s_waitcnt lgkmcnt(0)
	v_bfe_u32 v102, v100, 4, 4
	v_mul_lo_u32 v102, v102, s23
	v_and_b32_e32 v92, 0x3030303, v92
	v_ashrrev_i32_e32 v93, s3, v93
	v_and_b32_e32 v93, 0x3030303, v93
	v_dot4_i32_i8 v5, v102, v5, 0
	v_dot4_i32_i8 v5, v102, v6, v5
	;; [unrolled: 1-line block ×6, first 2 shown]
	v_and_b32_e32 v5, 15, v100
	v_mul_lo_u32 v5, v5, v6
	v_lshrrev_b32_sdwa v6, v80, v100 dst_sel:DWORD dst_unused:UNUSED_PAD src0_sel:DWORD src1_sel:BYTE_1
	v_mul_lo_u32 v6, v6, s23
	v_dot4_i32_i8 v8, v99, v1, 0
	s_add_i32 s3, s2, 2
	s_cmp_lt_u32 s2, 30
	v_dot4_i32_i8 v1, v6, v1, v7
	v_dot4_i32_i8 v7, v94, v2, v8
	;; [unrolled: 1-line block ×7, first 2 shown]
	v_and_b32_sdwa v1, v100, v81 dst_sel:DWORD dst_unused:UNUSED_PAD src0_sel:BYTE_1 src1_sel:DWORD
	v_mad_u64_u32 v[1:2], s[18:19], v1, v2, v[5:6]
	v_cvt_f32_f16_sdwa v2, v101 dst_sel:DWORD dst_unused:UNUSED_PAD src0_sel:WORD_1
	v_cvt_f32_i32_e32 v3, v3
	v_cvt_f32_i32_e32 v1, v1
	s_mov_b32 s2, s3
	v_mul_f32_e32 v2, v2, v3
	v_fma_mix_f32 v1, v101, v1, -v2 op_sel_hi:[1,0,0]
	v_fmac_f32_e32 v25, v91, v1
	s_cbranch_scc1 .LBB208_35
; %bb.36:                               ;   in Loop: Header=BB208_5 Depth=1
	s_barrier
	s_branch .LBB208_4
.LBB208_37:
	s_mul_i32 s0, s14, s11
	s_waitcnt vmcnt(0)
	v_cmp_gt_i32_e32 vcc, s0, v28
	s_and_saveexec_b64 s[0:1], vcc
	s_cbranch_execz .LBB208_46
; %bb.38:
	v_mul_lo_u32 v1, v28, s13
	v_add_u32_e32 v0, s15, v0
	v_cmp_gt_u32_e32 vcc, s13, v0
	s_and_saveexec_b64 s[0:1], vcc
	s_cbranch_execz .LBB208_40
; %bb.39:
	v_add_u32_e32 v2, v1, v0
	v_mov_b32_e32 v3, 0
	v_lshlrev_b64 v[2:3], 1, v[2:3]
	v_cvt_f16_f32_e32 v5, v29
	v_mov_b32_e32 v4, s17
	v_add_co_u32_e32 v2, vcc, s16, v2
	v_addc_co_u32_e32 v3, vcc, v4, v3, vcc
	global_store_short v[2:3], v5, off
.LBB208_40:
	s_or_b64 exec, exec, s[0:1]
	v_add_u32_e32 v2, 32, v0
	v_cmp_gt_u32_e32 vcc, s13, v2
	s_and_saveexec_b64 s[0:1], vcc
	s_cbranch_execz .LBB208_42
; %bb.41:
	v_add_u32_e32 v2, v1, v2
	v_mov_b32_e32 v3, 0
	v_lshlrev_b64 v[2:3], 1, v[2:3]
	v_cvt_f16_f32_e32 v5, v62
	v_mov_b32_e32 v4, s17
	v_add_co_u32_e32 v2, vcc, s16, v2
	v_addc_co_u32_e32 v3, vcc, v4, v3, vcc
	global_store_short v[2:3], v5, off
.LBB208_42:
	s_or_b64 exec, exec, s[0:1]
	;; [unrolled: 15-line block ×3, first 2 shown]
	v_add_u32_e32 v0, 0x60, v0
	v_cmp_gt_u32_e32 vcc, s13, v0
	s_and_b64 exec, exec, vcc
	s_cbranch_execz .LBB208_46
; %bb.45:
	v_add_u32_e32 v0, v1, v0
	v_mov_b32_e32 v1, 0
	v_lshlrev_b64 v[0:1], 1, v[0:1]
	v_cvt_f16_f32_e32 v3, v25
	v_mov_b32_e32 v2, s17
	v_add_co_u32_e32 v0, vcc, s16, v0
	v_addc_co_u32_e32 v1, vcc, v2, v1, vcc
	global_store_short v[0:1], v3, off
.LBB208_46:
	s_endpgm
	.section	.rodata,"a",@progbits
	.p2align	6, 0x0
	.amdhsa_kernel _ZL8moe_q2_KIN3c104HalfELb1EEvPKvS3_PT_PKiS7_S7_iiiiiii
		.amdhsa_group_segment_fixed_size 23328
		.amdhsa_private_segment_fixed_size 0
		.amdhsa_kernarg_size 76
		.amdhsa_user_sgpr_count 6
		.amdhsa_user_sgpr_private_segment_buffer 1
		.amdhsa_user_sgpr_dispatch_ptr 0
		.amdhsa_user_sgpr_queue_ptr 0
		.amdhsa_user_sgpr_kernarg_segment_ptr 1
		.amdhsa_user_sgpr_dispatch_id 0
		.amdhsa_user_sgpr_flat_scratch_init 0
		.amdhsa_user_sgpr_private_segment_size 0
		.amdhsa_uses_dynamic_stack 0
		.amdhsa_system_sgpr_private_segment_wavefront_offset 0
		.amdhsa_system_sgpr_workgroup_id_x 1
		.amdhsa_system_sgpr_workgroup_id_y 1
		.amdhsa_system_sgpr_workgroup_id_z 0
		.amdhsa_system_sgpr_workgroup_info 0
		.amdhsa_system_vgpr_workitem_id 1
		.amdhsa_next_free_vgpr 109
		.amdhsa_next_free_sgpr 98
		.amdhsa_reserve_vcc 1
		.amdhsa_reserve_flat_scratch 0
		.amdhsa_float_round_mode_32 0
		.amdhsa_float_round_mode_16_64 0
		.amdhsa_float_denorm_mode_32 3
		.amdhsa_float_denorm_mode_16_64 3
		.amdhsa_dx10_clamp 1
		.amdhsa_ieee_mode 1
		.amdhsa_fp16_overflow 0
		.amdhsa_exception_fp_ieee_invalid_op 0
		.amdhsa_exception_fp_denorm_src 0
		.amdhsa_exception_fp_ieee_div_zero 0
		.amdhsa_exception_fp_ieee_overflow 0
		.amdhsa_exception_fp_ieee_underflow 0
		.amdhsa_exception_fp_ieee_inexact 0
		.amdhsa_exception_int_div_zero 0
	.end_amdhsa_kernel
	.section	.text._ZL8moe_q2_KIN3c104HalfELb1EEvPKvS3_PT_PKiS7_S7_iiiiiii,"axG",@progbits,_ZL8moe_q2_KIN3c104HalfELb1EEvPKvS3_PT_PKiS7_S7_iiiiiii,comdat
.Lfunc_end208:
	.size	_ZL8moe_q2_KIN3c104HalfELb1EEvPKvS3_PT_PKiS7_S7_iiiiiii, .Lfunc_end208-_ZL8moe_q2_KIN3c104HalfELb1EEvPKvS3_PT_PKiS7_S7_iiiiiii
                                        ; -- End function
	.set _ZL8moe_q2_KIN3c104HalfELb1EEvPKvS3_PT_PKiS7_S7_iiiiiii.num_vgpr, 109
	.set _ZL8moe_q2_KIN3c104HalfELb1EEvPKvS3_PT_PKiS7_S7_iiiiiii.num_agpr, 0
	.set _ZL8moe_q2_KIN3c104HalfELb1EEvPKvS3_PT_PKiS7_S7_iiiiiii.numbered_sgpr, 28
	.set _ZL8moe_q2_KIN3c104HalfELb1EEvPKvS3_PT_PKiS7_S7_iiiiiii.num_named_barrier, 0
	.set _ZL8moe_q2_KIN3c104HalfELb1EEvPKvS3_PT_PKiS7_S7_iiiiiii.private_seg_size, 0
	.set _ZL8moe_q2_KIN3c104HalfELb1EEvPKvS3_PT_PKiS7_S7_iiiiiii.uses_vcc, 1
	.set _ZL8moe_q2_KIN3c104HalfELb1EEvPKvS3_PT_PKiS7_S7_iiiiiii.uses_flat_scratch, 0
	.set _ZL8moe_q2_KIN3c104HalfELb1EEvPKvS3_PT_PKiS7_S7_iiiiiii.has_dyn_sized_stack, 0
	.set _ZL8moe_q2_KIN3c104HalfELb1EEvPKvS3_PT_PKiS7_S7_iiiiiii.has_recursion, 0
	.set _ZL8moe_q2_KIN3c104HalfELb1EEvPKvS3_PT_PKiS7_S7_iiiiiii.has_indirect_call, 0
	.section	.AMDGPU.csdata,"",@progbits
; Kernel info:
; codeLenInByte = 10508
; TotalNumSgprs: 32
; NumVgprs: 109
; ScratchSize: 0
; MemoryBound: 0
; FloatMode: 240
; IeeeMode: 1
; LDSByteSize: 23328 bytes/workgroup (compile time only)
; SGPRBlocks: 12
; VGPRBlocks: 27
; NumSGPRsForWavesPerEU: 102
; NumVGPRsForWavesPerEU: 109
; Occupancy: 2
; WaveLimiterHint : 1
; COMPUTE_PGM_RSRC2:SCRATCH_EN: 0
; COMPUTE_PGM_RSRC2:USER_SGPR: 6
; COMPUTE_PGM_RSRC2:TRAP_HANDLER: 0
; COMPUTE_PGM_RSRC2:TGID_X_EN: 1
; COMPUTE_PGM_RSRC2:TGID_Y_EN: 1
; COMPUTE_PGM_RSRC2:TGID_Z_EN: 0
; COMPUTE_PGM_RSRC2:TIDIG_COMP_CNT: 1
	.section	.text._ZL8moe_q3_KIN3c104HalfELb0EEvPKvS3_PT_PKiS7_S7_iiiiiii,"axG",@progbits,_ZL8moe_q3_KIN3c104HalfELb0EEvPKvS3_PT_PKiS7_S7_iiiiiii,comdat
	.globl	_ZL8moe_q3_KIN3c104HalfELb0EEvPKvS3_PT_PKiS7_S7_iiiiiii ; -- Begin function _ZL8moe_q3_KIN3c104HalfELb0EEvPKvS3_PT_PKiS7_S7_iiiiiii
	.p2align	8
	.type	_ZL8moe_q3_KIN3c104HalfELb0EEvPKvS3_PT_PKiS7_S7_iiiiiii,@function
_ZL8moe_q3_KIN3c104HalfELb0EEvPKvS3_PT_PKiS7_S7_iiiiiii: ; @_ZL8moe_q3_KIN3c104HalfELb0EEvPKvS3_PT_PKiS7_S7_iiiiiii
; %bb.0:
	s_load_dwordx4 s[0:3], s[4:5], 0x18
	s_mov_b32 s8, s7
	s_mov_b32 s9, 0
	s_lshl_b64 s[10:11], s[8:9], 2
	s_waitcnt lgkmcnt(0)
	s_add_u32 s2, s2, s10
	s_addc_u32 s3, s3, s11
	s_load_dword s2, s[2:3], 0x0
	s_waitcnt lgkmcnt(0)
	s_cmpk_gt_u32 s2, 0xff
	s_cbranch_scc1 .LBB209_46
; %bb.1:
	s_load_dwordx2 s[10:11], s[4:5], 0x28
	s_lshl_b32 s3, s8, 3
	s_waitcnt lgkmcnt(0)
	s_load_dword s7, s[10:11], 0x0
	s_waitcnt lgkmcnt(0)
	s_cmp_gt_u32 s3, s7
	s_cbranch_scc1 .LBB209_46
; %bb.2:
	v_add_u32_e32 v8, s3, v1
	v_mov_b32_e32 v9, 0
	v_lshlrev_b64 v[2:3], 2, v[8:9]
	v_mov_b32_e32 v4, s1
	v_add_co_u32_e32 v2, vcc, s0, v2
	v_addc_co_u32_e32 v3, vcc, v4, v3, vcc
	global_load_dword v12, v[2:3], off
	s_load_dwordx2 s[14:15], s[4:5], 0x30
	s_load_dwordx2 s[12:13], s[4:5], 0x10
	s_load_dwordx4 s[8:11], s[4:5], 0x3c
	s_lshl_b32 s18, s6, 7
	v_mov_b32_e32 v64, v9
	s_waitcnt lgkmcnt(0)
	s_cmpk_lt_i32 s15, 0x100
	v_mov_b32_e32 v68, v9
	v_mov_b32_e32 v13, v9
	s_cbranch_scc1 .LBB209_37
; %bb.3:
	s_ashr_i32 s0, s15, 31
	s_lshr_b32 s0, s0, 24
	s_load_dwordx4 s[4:7], s[4:5], 0x0
	s_add_i32 s0, s15, s0
	s_ashr_i32 s19, s0, 8
	s_ashr_i32 s0, s9, 31
	s_lshr_b32 s0, s0, 27
	s_add_i32 s0, s9, s0
	s_mul_i32 s2, s2, s14
	s_ashr_i32 s9, s0, 5
	s_ashr_i32 s0, s2, 31
	s_waitcnt lgkmcnt(0)
	s_add_u32 s1, s4, s2
	s_mul_i32 s2, s19, s18
	s_addc_u32 s0, s5, s0
	s_mul_hi_i32 s3, s2, 0x6e
	s_mulk_i32 s2, 0x6e
	s_add_u32 s20, s1, s2
	s_addc_u32 s21, s0, s3
	v_lshlrev_b32_e32 v3, 2, v0
	s_movk_i32 s0, 0x84
	v_mad_u32_u24 v17, v1, s0, v3
	s_lshl_b32 s0, s19, 3
	v_mov_b32_e32 v4, s0
	v_mad_i32_i24 v18, s19, v1, v4
	v_add_u32_e32 v19, s0, v18
	v_add_u32_e32 v20, s0, v19
	v_add_u32_e32 v21, s0, v20
	v_add_u32_e32 v22, s0, v21
	v_add_u32_e32 v23, s0, v22
	v_add_u32_e32 v24, s0, v23
	v_add_u32_e32 v25, s0, v24
	v_add_u32_e32 v26, s0, v25
	v_add_u32_e32 v27, s0, v26
	v_add_u32_e32 v28, s0, v27
	v_add_u32_e32 v29, s0, v28
	v_lshlrev_b32_e32 v4, 4, v1
	v_lshrrev_b32_e32 v37, 1, v0
	v_add_u32_e32 v30, s0, v29
	v_and_b32_e32 v36, 1, v0
	v_add_u32_e32 v5, v37, v4
	v_add_u32_e32 v32, s0, v30
	v_and_b32_e32 v6, 0x7f, v5
	v_lshlrev_b32_e32 v7, 2, v36
	v_lshrrev_b32_e32 v5, 2, v5
	v_add_u32_e32 v34, s0, v32
	v_mul_i32_i24_e32 v38, s19, v6
	v_lshl_or_b32 v6, v6, 3, v7
	v_and_b32_e32 v5, 28, v5
	s_movk_i32 s0, 0x7380
	v_lshrrev_b32_e32 v14, 4, v0
	v_add3_u32 v39, v6, v5, s0
	v_lshlrev_b32_e32 v5, 1, v1
	v_add_u32_e32 v6, v14, v5
	v_add_u32_e32 v10, 32, v6
	v_and_b32_e32 v2, 15, v0
	v_lshlrev_b32_e32 v11, 1, v10
	v_lshlrev_b32_e32 v15, 2, v2
	s_movk_i32 s0, 0x4200
	v_and_b32_e32 v11, 0xffc, v11
	v_lshlrev_b32_e32 v68, 6, v10
	v_add_u32_e32 v10, 48, v6
	v_add3_u32 v64, v11, v15, s0
	v_lshlrev_b32_e32 v11, 1, v10
	s_lshl_b32 s1, s19, 4
	v_and_b32_e32 v11, 0xffc, v11
	v_lshlrev_b32_e32 v84, 6, v10
	v_add_u32_e32 v10, 64, v6
	v_mov_b32_e32 v9, s1
	v_add3_u32 v83, v11, v15, s0
	v_lshlrev_b32_e32 v11, 1, v10
	v_mad_i32_i24 v43, s19, v6, v9
	v_and_b32_e32 v11, 0xffc, v11
	v_lshlrev_b32_e32 v86, 6, v10
	v_add_u32_e32 v10, 0x50, v6
	v_add_u32_e32 v44, s1, v43
	v_add3_u32 v85, v11, v15, s0
	v_lshlrev_b32_e32 v11, 1, v10
	v_add_u32_e32 v45, s1, v44
	v_and_b32_e32 v11, 0xffc, v11
	v_lshlrev_b32_e32 v88, 6, v10
	v_add_u32_e32 v10, 0x60, v6
	v_cmp_lt_u32_e32 vcc, 7, v2
	v_and_b32_e32 v2, 7, v0
	v_mul_i32_i24_e32 v42, s19, v6
	v_lshlrev_b32_e32 v7, 6, v6
	v_add_u32_e32 v8, 16, v6
	v_add_u32_e32 v46, s1, v45
	v_add3_u32 v87, v11, v15, s0
	v_lshlrev_b32_e32 v11, 1, v10
	v_add_u32_e32 v6, 0x70, v6
	v_cndmask_b32_e64 v40, 0, 1, vcc
	v_lshlrev_b32_e32 v41, 2, v2
	v_add_u32_e32 v47, s1, v46
	v_and_b32_e32 v11, 0xffc, v11
	v_lshlrev_b32_e32 v90, 6, v10
	v_lshlrev_b32_e32 v10, 1, v6
	v_cmp_lt_u32_e32 vcc, 3, v2
	v_and_b32_e32 v2, 3, v0
	v_add_u32_e32 v48, s1, v47
	v_add3_u32 v89, v11, v15, s0
	v_and_b32_e32 v10, 0xffc, v10
	v_lshrrev_b32_e32 v50, 3, v0
	v_cndmask_b32_e64 v51, 0, 1, vcc
	v_add_u16_e32 v11, -2, v2
	v_cmp_gt_u32_e32 vcc, 2, v2
	v_add_u32_e32 v49, s1, v48
	v_add3_u32 v91, v10, v15, s0
	v_lshl_add_u32 v10, v1, 2, v50
	v_cndmask_b32_e32 v11, v11, v2, vcc
	v_mov_b32_e32 v54, 2
	s_lshl_b32 s1, s19, 5
	v_lshlrev_b32_sdwa v54, v54, v11 dst_sel:DWORD dst_unused:UNUSED_PAD src0_sel:DWORD src1_sel:BYTE_0
	v_add_u32_e32 v11, 32, v10
	v_mov_b32_e32 v57, s1
	v_lshlrev_b32_e32 v55, 1, v2
	v_mul_i32_i24_e32 v56, s19, v10
	v_and_b32_e32 v2, 0x7fc, v10
	v_lshlrev_b32_e32 v92, 5, v10
	v_mad_i32_i24 v57, s19, v10, v57
	v_and_b32_e32 v58, 0xffc, v11
	v_lshlrev_b32_e32 v94, 5, v11
	v_add_u32_e32 v11, 64, v10
	v_add_u32_e32 v10, 0x60, v10
	v_mov_b32_e32 v60, 0x77a0
	v_and_b32_e32 v59, 0xffc, v11
	v_lshlrev_b32_e32 v96, 5, v11
	v_and_b32_e32 v11, 0xffc, v10
	v_lshlrev_b32_e32 v98, 5, v10
	v_and_b32_e32 v10, 31, v0
	v_lshl_add_u32 v60, v1, 7, v60
	s_abs_i32 s2, s11
	v_lshl_add_u32 v61, v10, 2, v60
	v_cvt_f32_u32_e32 v10, s2
	v_add_u16_e32 v5, v14, v5
	v_lshrrev_b16_e32 v5, 1, v5
	v_lshlrev_b32_e32 v9, 1, v8
	v_rcp_iflag_f32_e32 v10, v10
	v_lshlrev_b32_e32 v5, 2, v5
	v_and_b32_e32 v9, 0xffc, v9
	v_add3_u32 v5, v5, v15, s0
	v_mul_f32_e32 v10, 0x4f7ffffe, v10
	v_cvt_u32_f32_e32 v10, v10
	v_add3_u32 v9, v9, v15, s0
	s_movk_i32 s0, 0x6300
	v_add3_u32 v2, v2, v41, s0
	v_add3_u32 v93, v58, v41, s0
	;; [unrolled: 1-line block ×4, first 2 shown]
	s_sub_i32 s0, 0, s2
	v_mul_lo_u32 v65, s0, v10
	s_waitcnt vmcnt(0)
	v_sub_u32_e32 v66, 0, v12
	v_max_i32_e32 v69, v12, v66
	v_add_u32_e32 v58, s1, v57
	v_mul_hi_u32 v65, v10, v65
	v_add_u32_e32 v59, s1, v58
	v_xor_b32_e32 v71, s11, v12
	v_ashrrev_i32_e32 v71, 31, v71
	v_add_u32_e32 v10, v10, v65
	v_mul_hi_u32 v10, v69, v10
	v_and_b32_e32 v11, 28, v3
	v_mul_i32_i24_e32 v16, s19, v1
	v_mul_u32_u24_e32 v1, 33, v0
	v_mul_lo_u32 v70, v10, s2
	v_add_u32_e32 v72, 0x60, v0
	v_add_u32_e32 v62, 0x7ba0, v4
	v_lshlrev_b32_e32 v4, 5, v0
	v_sub_u32_e32 v69, v69, v70
	v_add_u32_e32 v70, 1, v10
	v_cmp_le_u32_e64 s[0:1], s2, v69
	v_cndmask_b32_e64 v10, v10, v70, s[0:1]
	v_subrev_u32_e32 v70, s2, v69
	v_cndmask_b32_e64 v69, v69, v70, s[0:1]
	v_add_u32_e32 v70, 1, v10
	v_cmp_le_u32_e64 s[0:1], s2, v69
	v_cndmask_b32_e64 v10, v10, v70, s[0:1]
	v_xor_b32_e32 v10, v10, v71
	v_sub_u32_e32 v10, v10, v71
	v_cmp_gt_i32_e64 s[0:1], s8, v10
	v_mul_lo_u32 v69, v10, s9
	v_mov_b32_e32 v70, s7
	v_add_co_u32_e64 v10, s[2:3], s6, v11
	v_add_u32_e32 v74, 64, v0
	v_addc_co_u32_e64 v11, s[2:3], 0, v70, s[2:3]
	v_lshlrev_b32_e32 v70, 2, v1
	v_and_b32_e32 v1, 0x1fc, v72
	v_add_u32_e32 v76, 32, v0
	v_lshlrev_b32_e32 v107, 4, v72
	v_lshrrev_b32_e32 v108, 1, v72
	v_lshlrev_b32_e32 v109, 1, v72
	v_lshrrev_b32_e32 v110, 4, v72
	v_lshrrev_b32_e32 v67, 3, v72
	v_add_u32_e32 v72, v4, v1
	v_and_b32_e32 v1, 0x1fc, v74
	v_lshlrev_b32_e32 v103, 4, v74
	v_lshrrev_b32_e32 v104, 1, v74
	v_lshlrev_b32_e32 v105, 1, v74
	v_lshrrev_b32_e32 v106, 4, v74
	v_lshrrev_b32_e32 v66, 3, v74
	v_add_u32_e32 v74, v4, v1
	v_and_b32_e32 v1, 0x1fc, v76
	;; [unrolled: 7-line block ×3, first 2 shown]
	v_lshlrev_b32_e32 v8, 6, v8
	v_lshlrev_b32_e32 v6, 6, v6
	;; [unrolled: 1-line block ×3, first 2 shown]
	v_cmp_gt_u32_e32 vcc, 4, v0
	v_add_u32_e32 v63, v62, v3
	v_lshlrev_b32_e32 v3, 4, v0
	v_add_u32_e32 v78, v4, v1
	s_movk_i32 s14, 0x6e
	s_mov_b32 s22, 0
	v_mov_b32_e32 v13, 0
	v_add_u32_e32 v31, 0x35a0, v17
	v_add_u32_e32 v33, 0x39c0, v17
	;; [unrolled: 1-line block ×3, first 2 shown]
	v_and_b32_e32 v53, 4, v52
	s_and_b64 s[4:5], vcc, s[0:1]
	v_ashrrev_i32_e32 v71, 31, v69
	v_add_u32_e32 v73, 0x6f00, v72
	v_add_u32_e32 v75, 0x6b00, v74
	;; [unrolled: 1-line block ×12, first 2 shown]
	s_mov_b32 s23, 0x30303030
	s_movk_i32 s24, 0x3f00
	s_movk_i32 s25, 0xe000
	v_add_u32_e32 v88, v2, v92
	v_add_u32_e32 v89, v93, v94
	;; [unrolled: 1-line block ×4, first 2 shown]
	v_mov_b32_e32 v92, 8
	v_lshlrev_b32_e32 v93, 2, v3
	v_lshlrev_b32_e32 v94, 2, v100
	;; [unrolled: 1-line block ×13, first 2 shown]
	v_mov_b32_e32 v68, 0
	v_mov_b32_e32 v64, 0
	;; [unrolled: 1-line block ×3, first 2 shown]
	s_branch .LBB209_5
.LBB209_4:                              ;   in Loop: Header=BB209_5 Depth=1
	s_add_i32 s22, s22, 2
	s_cmp_ge_i32 s22, s19
	s_cbranch_scc1 .LBB209_37
.LBB209_5:                              ; =>This Loop Header: Depth=1
                                        ;     Child Loop BB209_11 Depth 2
                                        ;     Child Loop BB209_19 Depth 2
	;; [unrolled: 1-line block ×4, first 2 shown]
	s_mul_i32 s2, s22, 0x6e
	s_mul_hi_u32 s3, s22, 0x6e
	s_add_u32 s2, s20, s2
	s_addc_u32 s3, s21, s3
	v_mov_b32_e32 v1, s2
	v_mov_b32_e32 v2, s3
	v_mad_u64_u32 v[3:4], s[2:3], v14, s14, v[1:2]
	s_lshl_b32 s26, s22, 8
	s_cmp_lt_i32 s26, s15
	v_mad_u64_u32 v[5:6], s[2:3], v16, s14, v[3:4]
	v_add_co_u32_e64 v5, s[2:3], v5, v15
	v_addc_co_u32_e64 v6, s[2:3], 0, v6, s[2:3]
	global_load_dword v5, v[5:6], off offset:32
	s_waitcnt vmcnt(0)
	ds_write_b32 v17, v5
	v_mad_u64_u32 v[5:6], s[2:3], v18, s14, v[3:4]
	v_add_co_u32_e64 v5, s[2:3], v5, v15
	v_addc_co_u32_e64 v6, s[2:3], 0, v6, s[2:3]
	global_load_dword v5, v[5:6], off offset:32
	v_add_u32_e32 v6, 0x420, v17
	s_waitcnt vmcnt(0)
	ds_write_b32 v6, v5
	v_mad_u64_u32 v[5:6], s[2:3], v19, s14, v[3:4]
	v_add_co_u32_e64 v5, s[2:3], v5, v15
	v_addc_co_u32_e64 v6, s[2:3], 0, v6, s[2:3]
	global_load_dword v5, v[5:6], off offset:32
	v_add_u32_e32 v6, 0x840, v17
	;; [unrolled: 7-line block ×12, first 2 shown]
	s_waitcnt vmcnt(0)
	ds_write_b32 v6, v5
	v_mad_u64_u32 v[5:6], s[2:3], v30, s14, v[3:4]
	v_add_co_u32_e64 v5, s[2:3], v5, v15
	v_addc_co_u32_e64 v6, s[2:3], 0, v6, s[2:3]
	global_load_dword v5, v[5:6], off offset:32
	s_waitcnt vmcnt(0)
	ds_write_b32 v31, v5
	v_mad_u64_u32 v[5:6], s[2:3], v32, s14, v[3:4]
	v_add_co_u32_e64 v5, s[2:3], v5, v15
	v_addc_co_u32_e64 v6, s[2:3], 0, v6, s[2:3]
	v_mad_u64_u32 v[3:4], s[2:3], v34, s14, v[3:4]
	global_load_dword v5, v[5:6], off offset:32
	v_add_co_u32_e64 v3, s[2:3], v3, v15
	v_addc_co_u32_e64 v4, s[2:3], 0, v4, s[2:3]
	global_load_dword v3, v[3:4], off offset:32
	s_waitcnt vmcnt(1)
	ds_write_b32 v33, v5
	s_waitcnt vmcnt(0)
	ds_write_b32 v35, v3
	v_mad_u64_u32 v[3:4], s[2:3], v38, s14, v[1:2]
	v_mad_u64_u32 v[3:4], s[2:3], v36, s14, v[3:4]
	global_load_ushort v3, v[3:4], off offset:108
	s_waitcnt vmcnt(0)
	v_cvt_f32_f16_e32 v3, v3
	ds_write_b32 v39, v3
	v_mad_u64_u32 v[3:4], s[2:3], v40, s14, v[1:2]
	v_add_co_u32_e64 v3, s[2:3], v3, v41
	v_addc_co_u32_e64 v4, s[2:3], 0, v4, s[2:3]
	v_mad_u64_u32 v[5:6], s[2:3], v42, s14, v[3:4]
	v_mad_u64_u32 v[1:2], s[2:3], v51, s14, v[1:2]
	global_load_dword v5, v[5:6], off
	s_waitcnt vmcnt(0)
	v_not_b32_e32 v5, v5
	ds_write_b32 v80, v5
	v_mad_u64_u32 v[5:6], s[2:3], v43, s14, v[3:4]
	global_load_dword v5, v[5:6], off
	s_waitcnt vmcnt(0)
	v_not_b32_e32 v5, v5
	ds_write_b32 v81, v5
	;; [unrolled: 5-line block ×6, first 2 shown]
	v_mad_u64_u32 v[5:6], s[2:3], v48, s14, v[3:4]
	v_mad_u64_u32 v[3:4], s[2:3], v49, s14, v[3:4]
	global_load_dword v5, v[5:6], off
	s_nop 0
	global_load_dword v3, v[3:4], off
	s_waitcnt vmcnt(1)
	v_not_b32_e32 v5, v5
	ds_write_b32 v86, v5
	s_waitcnt vmcnt(0)
	v_not_b32_e32 v3, v3
	ds_write_b32 v87, v3
	v_mad_u64_u32 v[3:4], s[2:3], v56, s14, v[1:2]
	v_add_co_u32_e64 v5, s[2:3], v3, v54
	v_addc_co_u32_e64 v6, s[2:3], 0, v4, s[2:3]
	global_load_dword v5, v[5:6], off offset:96
	s_nop 0
	global_load_dword v3, v[3:4], off offset:104
	s_waitcnt vmcnt(1)
	v_ashrrev_i32_e32 v5, v53, v5
	v_and_b32_e32 v5, 0xf0f0f0f, v5
	s_waitcnt vmcnt(0)
	v_ashrrev_i32_e32 v3, v55, v3
	v_lshlrev_b32_e32 v3, 4, v3
	v_and_or_b32 v3, v3, s23, v5
	v_lshlrev_b16_e32 v5, 8, v3
	v_and_b32_e32 v4, 0x3f00, v3
	v_add_u16_e32 v5, 0xe000, v5
	v_or_b32_sdwa v4, v4, v5 dst_sel:DWORD dst_unused:UNUSED_PAD src0_sel:DWORD src1_sel:BYTE_1
	v_and_b32_sdwa v5, v3, s24 dst_sel:DWORD dst_unused:UNUSED_PAD src0_sel:WORD_1 src1_sel:DWORD
	v_lshlrev_b16_sdwa v3, v92, v3 dst_sel:DWORD dst_unused:UNUSED_PAD src0_sel:DWORD src1_sel:WORD_1
	v_add_u16_e32 v3, 0xe000, v3
	v_or_b32_sdwa v3, v5, v3 dst_sel:DWORD dst_unused:UNUSED_PAD src0_sel:DWORD src1_sel:BYTE_1
	v_add_u16_e32 v4, 0xe000, v4
	v_add_u16_sdwa v3, v3, s25 dst_sel:WORD_1 dst_unused:UNUSED_PAD src0_sel:DWORD src1_sel:DWORD
	v_or_b32_e32 v3, v4, v3
	ds_write_b32 v88, v3
	v_mad_u64_u32 v[3:4], s[2:3], v57, s14, v[1:2]
	v_add_co_u32_e64 v5, s[2:3], v3, v54
	v_addc_co_u32_e64 v6, s[2:3], 0, v4, s[2:3]
	global_load_dword v5, v[5:6], off offset:96
	s_nop 0
	global_load_dword v3, v[3:4], off offset:104
	s_waitcnt vmcnt(1)
	v_ashrrev_i32_e32 v5, v53, v5
	v_and_b32_e32 v5, 0xf0f0f0f, v5
	s_waitcnt vmcnt(0)
	v_ashrrev_i32_e32 v3, v55, v3
	v_lshlrev_b32_e32 v3, 4, v3
	v_and_or_b32 v3, v3, s23, v5
	v_lshlrev_b16_e32 v5, 8, v3
	v_and_b32_e32 v4, 0x3f00, v3
	v_add_u16_e32 v5, 0xe000, v5
	v_or_b32_sdwa v4, v4, v5 dst_sel:DWORD dst_unused:UNUSED_PAD src0_sel:DWORD src1_sel:BYTE_1
	v_and_b32_sdwa v5, v3, s24 dst_sel:DWORD dst_unused:UNUSED_PAD src0_sel:WORD_1 src1_sel:DWORD
	v_lshlrev_b16_sdwa v3, v92, v3 dst_sel:DWORD dst_unused:UNUSED_PAD src0_sel:DWORD src1_sel:WORD_1
	v_add_u16_e32 v3, 0xe000, v3
	v_or_b32_sdwa v3, v5, v3 dst_sel:DWORD dst_unused:UNUSED_PAD src0_sel:DWORD src1_sel:BYTE_1
	v_add_u16_e32 v4, 0xe000, v4
	v_add_u16_sdwa v3, v3, s25 dst_sel:WORD_1 dst_unused:UNUSED_PAD src0_sel:DWORD src1_sel:DWORD
	v_or_b32_e32 v3, v4, v3
	;; [unrolled: 25-line block ×4, first 2 shown]
	ds_write_b32 v91, v1
	s_cbranch_scc0 .LBB209_4
; %bb.6:                                ;   in Loop: Header=BB209_5 Depth=1
	s_lshl_b32 s27, s22, 3
	v_add_u32_e32 v1, s27, v50
	v_cmp_gt_i32_e64 s[2:3], s9, v1
	s_and_b64 s[16:17], s[0:1], s[2:3]
	s_and_saveexec_b64 s[2:3], s[16:17]
	s_cbranch_execz .LBB209_8
; %bb.7:                                ;   in Loop: Header=BB209_5 Depth=1
	v_add_u32_e32 v1, v69, v1
	v_mad_i64_i32 v[1:2], s[16:17], v1, 36, v[10:11]
	global_load_dword v1, v[1:2], off offset:4
	s_waitcnt vmcnt(0)
	ds_write_b32 v61, v1
.LBB209_8:                              ;   in Loop: Header=BB209_5 Depth=1
	s_or_b64 exec, exec, s[2:3]
	v_add_u32_e32 v109, s27, v0
	v_cmp_gt_i32_e64 s[2:3], s9, v109
	s_and_b64 s[16:17], s[4:5], s[2:3]
	s_and_saveexec_b64 s[2:3], s[16:17]
	s_cbranch_execz .LBB209_10
; %bb.9:                                ;   in Loop: Header=BB209_5 Depth=1
	v_add_u32_e32 v1, v69, v109
	v_mad_i64_i32 v[1:2], s[16:17], v1, 36, s[6:7]
	global_load_dword v1, v[1:2], off
	s_waitcnt vmcnt(0)
	v_cvt_f32_f16_e32 v1, v1
	ds_write_b32 v63, v1
.LBB209_10:                             ;   in Loop: Header=BB209_5 Depth=1
	s_or_b64 exec, exec, s[2:3]
	s_mov_b32 s17, -2
	s_mov_b32 s2, 0
	v_mov_b32_e32 v110, v62
	v_mov_b32_e32 v111, v60
	s_mov_b32 s3, 0
	s_waitcnt lgkmcnt(0)
	s_barrier
.LBB209_11:                             ;   Parent Loop BB209_5 Depth=1
                                        ; =>  This Inner Loop Header: Depth=2
	s_add_i32 s16, s17, 2
	s_and_b32 s29, s16, 0x3ffffff8
	v_lshl_add_u32 v113, s29, 2, v70
	ds_read_b32 v112, v110
	ds_read_b128 v[5:8], v111
	ds_read_b128 v[1:4], v111 offset:16
	ds_read2_b32 v[106:107], v113 offset1:1
	s_lshr_b32 s30, s16, 4
	s_lshl_b32 s29, s30, 5
	s_addk_i32 s29, 0x4200
	s_and_b32 s28, s3, -16
	s_waitcnt lgkmcnt(0)
	v_ashrrev_i32_e32 v106, s16, v106
	v_and_b32_e32 v108, 0x3030303, v106
	v_bfe_u32 v116, v106, 24, 2
	v_lshlrev_b32_e32 v106, 2, v37
	v_add3_u32 v120, s29, v106, v93
	ds_read2_b32 v[114:115], v120 offset1:1
	v_ashrrev_i32_e32 v107, s16, v107
	s_add_i32 s28, s17, s28
	s_lshl_b32 s17, s30, 2
	s_addk_i32 s17, 0x7380
	s_waitcnt lgkmcnt(0)
	v_ashrrev_i32_e32 v114, s2, v114
	v_lshlrev_b32_e32 v114, 2, v114
	v_and_b32_e32 v114, 0x4040404, v114
	v_sub_u16_e32 v117, v108, v114
	v_sub_u16_sdwa v118, v108, v114 dst_sel:BYTE_1 dst_unused:UNUSED_PAD src0_sel:BYTE_1 src1_sel:BYTE_1
	v_sub_u16_sdwa v116, v116, v114 dst_sel:BYTE_1 dst_unused:UNUSED_PAD src0_sel:DWORD src1_sel:BYTE_3
	v_sub_u16_sdwa v108, v108, v114 dst_sel:DWORD dst_unused:UNUSED_PAD src0_sel:WORD_1 src1_sel:WORD_1
	v_ashrrev_i32_e32 v115, s2, v115
	v_or_b32_sdwa v117, v117, v118 dst_sel:DWORD dst_unused:UNUSED_PAD src0_sel:BYTE_0 src1_sel:DWORD
	v_or_b32_sdwa v108, v108, v116 dst_sel:WORD_1 dst_unused:UNUSED_PAD src0_sel:BYTE_0 src1_sel:DWORD
	v_lshlrev_b32_e32 v115, 2, v115
	v_or_b32_sdwa v114, v117, v108 dst_sel:DWORD dst_unused:UNUSED_PAD src0_sel:WORD_0 src1_sel:DWORD
	v_and_b32_e32 v108, 0x3030303, v107
	v_bfe_u32 v107, v107, 24, 2
	v_and_b32_e32 v115, 0x4040404, v115
	v_sub_u16_e32 v116, v108, v115
	v_sub_u16_sdwa v117, v108, v115 dst_sel:BYTE_1 dst_unused:UNUSED_PAD src0_sel:BYTE_1 src1_sel:BYTE_1
	v_sub_u16_sdwa v107, v107, v115 dst_sel:BYTE_1 dst_unused:UNUSED_PAD src0_sel:DWORD src1_sel:BYTE_3
	v_sub_u16_sdwa v108, v108, v115 dst_sel:DWORD dst_unused:UNUSED_PAD src0_sel:WORD_1 src1_sel:WORD_1
	v_or_b32_sdwa v116, v116, v117 dst_sel:DWORD dst_unused:UNUSED_PAD src0_sel:BYTE_0 src1_sel:DWORD
	v_or_b32_sdwa v107, v108, v107 dst_sel:WORD_1 dst_unused:UNUSED_PAD src0_sel:BYTE_0 src1_sel:DWORD
	v_or_b32_sdwa v115, v116, v107 dst_sel:DWORD dst_unused:UNUSED_PAD src0_sel:WORD_0 src1_sel:DWORD
	ds_read2_b32 v[107:108], v113 offset0:2 offset1:3
	ds_read2_b32 v[116:117], v120 offset0:2 offset1:3
	v_dot4_i32_i8 v114, v114, v5, 0
	v_dot4_i32_i8 v114, v115, v6, v114
	s_add_i32 s3, s3, 2
	s_waitcnt lgkmcnt(1)
	v_ashrrev_i32_e32 v107, s16, v107
	s_waitcnt lgkmcnt(0)
	v_ashrrev_i32_e32 v116, s2, v116
	v_lshlrev_b32_e32 v116, 2, v116
	v_and_b32_e32 v118, 0x3030303, v107
	v_bfe_u32 v107, v107, 24, 2
	v_and_b32_e32 v116, 0x4040404, v116
	v_sub_u16_e32 v119, v118, v116
	v_sub_u16_sdwa v121, v118, v116 dst_sel:BYTE_1 dst_unused:UNUSED_PAD src0_sel:BYTE_1 src1_sel:BYTE_1
	v_sub_u16_sdwa v107, v107, v116 dst_sel:BYTE_1 dst_unused:UNUSED_PAD src0_sel:DWORD src1_sel:BYTE_3
	v_sub_u16_sdwa v116, v118, v116 dst_sel:DWORD dst_unused:UNUSED_PAD src0_sel:WORD_1 src1_sel:WORD_1
	v_or_b32_sdwa v119, v119, v121 dst_sel:DWORD dst_unused:UNUSED_PAD src0_sel:BYTE_0 src1_sel:DWORD
	v_or_b32_sdwa v107, v116, v107 dst_sel:WORD_1 dst_unused:UNUSED_PAD src0_sel:BYTE_0 src1_sel:DWORD
	v_ashrrev_i32_e32 v117, s2, v117
	v_or_b32_sdwa v116, v119, v107 dst_sel:DWORD dst_unused:UNUSED_PAD src0_sel:WORD_0 src1_sel:DWORD
	v_ashrrev_i32_e32 v107, s16, v108
	v_lshlrev_b32_e32 v117, 2, v117
	v_and_b32_e32 v108, 0x3030303, v107
	v_bfe_u32 v107, v107, 24, 2
	v_and_b32_e32 v117, 0x4040404, v117
	v_sub_u16_e32 v118, v108, v117
	v_sub_u16_sdwa v119, v108, v117 dst_sel:BYTE_1 dst_unused:UNUSED_PAD src0_sel:BYTE_1 src1_sel:BYTE_1
	v_sub_u16_sdwa v107, v107, v117 dst_sel:BYTE_1 dst_unused:UNUSED_PAD src0_sel:DWORD src1_sel:BYTE_3
	v_sub_u16_sdwa v108, v108, v117 dst_sel:DWORD dst_unused:UNUSED_PAD src0_sel:WORD_1 src1_sel:WORD_1
	v_or_b32_sdwa v118, v118, v119 dst_sel:DWORD dst_unused:UNUSED_PAD src0_sel:BYTE_0 src1_sel:DWORD
	v_or_b32_sdwa v107, v108, v107 dst_sel:WORD_1 dst_unused:UNUSED_PAD src0_sel:BYTE_0 src1_sel:DWORD
	v_or_b32_sdwa v117, v118, v107 dst_sel:DWORD dst_unused:UNUSED_PAD src0_sel:WORD_0 src1_sel:DWORD
	ds_read2_b32 v[107:108], v113 offset0:4 offset1:5
	ds_read2_b32 v[118:119], v120 offset0:4 offset1:5
	v_dot4_i32_i8 v114, v116, v7, v114
	v_dot4_i32_i8 v114, v117, v8, v114
	v_add_u32_e32 v111, 32, v111
	s_waitcnt lgkmcnt(1)
	v_ashrrev_i32_e32 v107, s16, v107
	s_waitcnt lgkmcnt(0)
	v_ashrrev_i32_e32 v118, s2, v118
	v_lshlrev_b32_e32 v118, 2, v118
	v_and_b32_e32 v121, 0x3030303, v107
	v_bfe_u32 v107, v107, 24, 2
	v_and_b32_e32 v118, 0x4040404, v118
	v_sub_u16_e32 v122, v121, v118
	v_sub_u16_sdwa v123, v121, v118 dst_sel:BYTE_1 dst_unused:UNUSED_PAD src0_sel:BYTE_1 src1_sel:BYTE_1
	v_sub_u16_sdwa v107, v107, v118 dst_sel:BYTE_1 dst_unused:UNUSED_PAD src0_sel:DWORD src1_sel:BYTE_3
	v_sub_u16_sdwa v118, v121, v118 dst_sel:DWORD dst_unused:UNUSED_PAD src0_sel:WORD_1 src1_sel:WORD_1
	v_or_b32_sdwa v122, v122, v123 dst_sel:DWORD dst_unused:UNUSED_PAD src0_sel:BYTE_0 src1_sel:DWORD
	v_or_b32_sdwa v107, v118, v107 dst_sel:WORD_1 dst_unused:UNUSED_PAD src0_sel:BYTE_0 src1_sel:DWORD
	v_ashrrev_i32_e32 v119, s2, v119
	v_or_b32_sdwa v118, v122, v107 dst_sel:DWORD dst_unused:UNUSED_PAD src0_sel:WORD_0 src1_sel:DWORD
	v_ashrrev_i32_e32 v107, s16, v108
	v_lshlrev_b32_e32 v119, 2, v119
	v_and_b32_e32 v108, 0x3030303, v107
	v_bfe_u32 v107, v107, 24, 2
	v_and_b32_e32 v119, 0x4040404, v119
	v_sub_u16_e32 v121, v108, v119
	v_sub_u16_sdwa v122, v108, v119 dst_sel:BYTE_1 dst_unused:UNUSED_PAD src0_sel:BYTE_1 src1_sel:BYTE_1
	v_sub_u16_sdwa v107, v107, v119 dst_sel:BYTE_1 dst_unused:UNUSED_PAD src0_sel:DWORD src1_sel:BYTE_3
	v_sub_u16_sdwa v108, v108, v119 dst_sel:DWORD dst_unused:UNUSED_PAD src0_sel:WORD_1 src1_sel:WORD_1
	v_or_b32_sdwa v121, v121, v122 dst_sel:DWORD dst_unused:UNUSED_PAD src0_sel:BYTE_0 src1_sel:DWORD
	v_or_b32_sdwa v107, v108, v107 dst_sel:WORD_1 dst_unused:UNUSED_PAD src0_sel:BYTE_0 src1_sel:DWORD
	v_or_b32_sdwa v119, v121, v107 dst_sel:DWORD dst_unused:UNUSED_PAD src0_sel:WORD_0 src1_sel:DWORD
	ds_read2_b32 v[107:108], v113 offset0:6 offset1:7
	ds_read2_b32 v[120:121], v120 offset0:6 offset1:7
	v_dot4_i32_i8 v115, v118, v1, 0
	v_dot4_i32_i8 v115, v119, v2, v115
	v_add_u32_e32 v110, 4, v110
	s_waitcnt lgkmcnt(1)
	v_ashrrev_i32_e32 v107, s16, v107
	s_waitcnt lgkmcnt(0)
	v_ashrrev_i32_e32 v120, s2, v120
	v_lshlrev_b32_e32 v120, 2, v120
	v_and_b32_e32 v122, 0x3030303, v107
	v_bfe_u32 v107, v107, 24, 2
	v_and_b32_e32 v120, 0x4040404, v120
	v_sub_u16_e32 v123, v122, v120
	v_sub_u16_sdwa v124, v122, v120 dst_sel:BYTE_1 dst_unused:UNUSED_PAD src0_sel:BYTE_1 src1_sel:BYTE_1
	v_sub_u16_sdwa v107, v107, v120 dst_sel:BYTE_1 dst_unused:UNUSED_PAD src0_sel:DWORD src1_sel:BYTE_3
	v_sub_u16_sdwa v120, v122, v120 dst_sel:DWORD dst_unused:UNUSED_PAD src0_sel:WORD_1 src1_sel:WORD_1
	v_or_b32_sdwa v123, v123, v124 dst_sel:DWORD dst_unused:UNUSED_PAD src0_sel:BYTE_0 src1_sel:DWORD
	v_or_b32_sdwa v107, v120, v107 dst_sel:WORD_1 dst_unused:UNUSED_PAD src0_sel:BYTE_0 src1_sel:DWORD
	v_ashrrev_i32_e32 v121, s2, v121
	v_or_b32_sdwa v120, v123, v107 dst_sel:DWORD dst_unused:UNUSED_PAD src0_sel:WORD_0 src1_sel:DWORD
	v_ashrrev_i32_e32 v107, s16, v108
	v_lshlrev_b32_e32 v121, 2, v121
	v_and_b32_e32 v108, 0x3030303, v107
	v_bfe_u32 v107, v107, 24, 2
	v_and_b32_e32 v121, 0x4040404, v121
	v_sub_u16_e32 v122, v108, v121
	v_sub_u16_sdwa v123, v108, v121 dst_sel:BYTE_1 dst_unused:UNUSED_PAD src0_sel:BYTE_1 src1_sel:BYTE_1
	v_sub_u16_sdwa v107, v107, v121 dst_sel:BYTE_1 dst_unused:UNUSED_PAD src0_sel:DWORD src1_sel:BYTE_3
	v_sub_u16_sdwa v108, v108, v121 dst_sel:DWORD dst_unused:UNUSED_PAD src0_sel:WORD_1 src1_sel:WORD_1
	v_or_b32_sdwa v122, v122, v123 dst_sel:DWORD dst_unused:UNUSED_PAD src0_sel:BYTE_0 src1_sel:DWORD
	v_or_b32_sdwa v107, v108, v107 dst_sel:WORD_1 dst_unused:UNUSED_PAD src0_sel:BYTE_0 src1_sel:DWORD
	v_or_b32_sdwa v121, v122, v107 dst_sel:DWORD dst_unused:UNUSED_PAD src0_sel:WORD_0 src1_sel:DWORD
	v_lshlrev_b32_e32 v107, 2, v14
	v_lshlrev_b32_e32 v108, 2, v52
	v_add_u32_e32 v122, s28, v79
	v_add3_u32 v123, s17, v107, v108
	ds_read_b32 v123, v123
	ds_read_u16 v116, v122 offset:2
	v_dot4_i32_i8 v115, v120, v3, v115
	v_dot4_i32_i8 v115, v121, v4, v115
	v_add3_u32 v122, s29, v94, v95
	s_waitcnt lgkmcnt(0)
	v_lshrrev_b16_e32 v117, 8, v116
	v_bfe_i32 v116, v116, 0, 8
	v_mul_lo_u32 v114, v114, v116
	v_bfe_i32 v117, v117, 0, 8
	v_mad_u64_u32 v[114:115], s[30:31], v115, v117, v[114:115]
	v_mul_f32_e32 v115, v112, v123
	ds_read2_b32 v[116:117], v122 offset1:1
	v_cvt_f32_i32_e32 v114, v114
	v_fmac_f32_e32 v13, v115, v114
	v_add_u32_e32 v114, 0x1080, v113
	ds_read2_b32 v[114:115], v114 offset1:1
	s_waitcnt lgkmcnt(1)
	v_ashrrev_i32_e32 v116, s2, v116
	v_lshlrev_b32_e32 v116, 2, v116
	v_and_b32_e32 v116, 0x4040404, v116
	v_ashrrev_i32_e32 v117, s2, v117
	s_waitcnt lgkmcnt(0)
	v_ashrrev_i32_e32 v114, s16, v114
	v_and_b32_e32 v118, 0x3030303, v114
	v_bfe_u32 v114, v114, 24, 2
	v_sub_u16_e32 v119, v118, v116
	v_sub_u16_sdwa v120, v118, v116 dst_sel:BYTE_1 dst_unused:UNUSED_PAD src0_sel:BYTE_1 src1_sel:BYTE_1
	v_sub_u16_sdwa v114, v114, v116 dst_sel:BYTE_1 dst_unused:UNUSED_PAD src0_sel:DWORD src1_sel:BYTE_3
	v_sub_u16_sdwa v116, v118, v116 dst_sel:DWORD dst_unused:UNUSED_PAD src0_sel:WORD_1 src1_sel:WORD_1
	v_ashrrev_i32_e32 v115, s16, v115
	v_lshlrev_b32_e32 v117, 2, v117
	v_or_b32_sdwa v119, v119, v120 dst_sel:DWORD dst_unused:UNUSED_PAD src0_sel:BYTE_0 src1_sel:DWORD
	v_or_b32_sdwa v114, v116, v114 dst_sel:WORD_1 dst_unused:UNUSED_PAD src0_sel:BYTE_0 src1_sel:DWORD
	v_and_b32_e32 v116, 0x3030303, v115
	v_bfe_u32 v115, v115, 24, 2
	v_and_b32_e32 v117, 0x4040404, v117
	v_or_b32_sdwa v114, v119, v114 dst_sel:DWORD dst_unused:UNUSED_PAD src0_sel:WORD_0 src1_sel:DWORD
	v_sub_u16_e32 v118, v116, v117
	v_sub_u16_sdwa v119, v116, v117 dst_sel:BYTE_1 dst_unused:UNUSED_PAD src0_sel:BYTE_1 src1_sel:BYTE_1
	v_sub_u16_sdwa v115, v115, v117 dst_sel:BYTE_1 dst_unused:UNUSED_PAD src0_sel:DWORD src1_sel:BYTE_3
	v_sub_u16_sdwa v116, v116, v117 dst_sel:DWORD dst_unused:UNUSED_PAD src0_sel:WORD_1 src1_sel:WORD_1
	v_or_b32_sdwa v118, v118, v119 dst_sel:DWORD dst_unused:UNUSED_PAD src0_sel:BYTE_0 src1_sel:DWORD
	v_or_b32_sdwa v115, v116, v115 dst_sel:WORD_1 dst_unused:UNUSED_PAD src0_sel:BYTE_0 src1_sel:DWORD
	v_add_u32_e32 v116, 0x1088, v113
	v_or_b32_sdwa v115, v118, v115 dst_sel:DWORD dst_unused:UNUSED_PAD src0_sel:WORD_0 src1_sel:DWORD
	ds_read2_b32 v[116:117], v116 offset1:1
	ds_read2_b32 v[118:119], v122 offset0:2 offset1:3
	v_dot4_i32_i8 v114, v114, v5, 0
	v_dot4_i32_i8 v114, v115, v6, v114
	s_waitcnt lgkmcnt(1)
	v_ashrrev_i32_e32 v116, s16, v116
	s_waitcnt lgkmcnt(0)
	v_ashrrev_i32_e32 v118, s2, v118
	v_lshlrev_b32_e32 v118, 2, v118
	v_and_b32_e32 v120, 0x3030303, v116
	v_bfe_u32 v116, v116, 24, 2
	v_and_b32_e32 v118, 0x4040404, v118
	v_ashrrev_i32_e32 v119, s2, v119
	v_sub_u16_e32 v121, v120, v118
	v_sub_u16_sdwa v123, v120, v118 dst_sel:BYTE_1 dst_unused:UNUSED_PAD src0_sel:BYTE_1 src1_sel:BYTE_1
	v_sub_u16_sdwa v116, v116, v118 dst_sel:BYTE_1 dst_unused:UNUSED_PAD src0_sel:DWORD src1_sel:BYTE_3
	v_sub_u16_sdwa v118, v120, v118 dst_sel:DWORD dst_unused:UNUSED_PAD src0_sel:WORD_1 src1_sel:WORD_1
	v_ashrrev_i32_e32 v117, s16, v117
	v_lshlrev_b32_e32 v119, 2, v119
	v_or_b32_sdwa v121, v121, v123 dst_sel:DWORD dst_unused:UNUSED_PAD src0_sel:BYTE_0 src1_sel:DWORD
	v_or_b32_sdwa v116, v118, v116 dst_sel:WORD_1 dst_unused:UNUSED_PAD src0_sel:BYTE_0 src1_sel:DWORD
	v_and_b32_e32 v118, 0x3030303, v117
	v_bfe_u32 v117, v117, 24, 2
	v_and_b32_e32 v119, 0x4040404, v119
	v_or_b32_sdwa v116, v121, v116 dst_sel:DWORD dst_unused:UNUSED_PAD src0_sel:WORD_0 src1_sel:DWORD
	v_sub_u16_e32 v120, v118, v119
	v_sub_u16_sdwa v121, v118, v119 dst_sel:BYTE_1 dst_unused:UNUSED_PAD src0_sel:BYTE_1 src1_sel:BYTE_1
	v_sub_u16_sdwa v117, v117, v119 dst_sel:BYTE_1 dst_unused:UNUSED_PAD src0_sel:DWORD src1_sel:BYTE_3
	v_sub_u16_sdwa v118, v118, v119 dst_sel:DWORD dst_unused:UNUSED_PAD src0_sel:WORD_1 src1_sel:WORD_1
	v_or_b32_sdwa v120, v120, v121 dst_sel:DWORD dst_unused:UNUSED_PAD src0_sel:BYTE_0 src1_sel:DWORD
	v_or_b32_sdwa v117, v118, v117 dst_sel:WORD_1 dst_unused:UNUSED_PAD src0_sel:BYTE_0 src1_sel:DWORD
	v_add_u32_e32 v118, 0x1090, v113
	v_or_b32_sdwa v117, v120, v117 dst_sel:DWORD dst_unused:UNUSED_PAD src0_sel:WORD_0 src1_sel:DWORD
	ds_read2_b32 v[118:119], v118 offset1:1
	ds_read2_b32 v[120:121], v122 offset0:4 offset1:5
	v_dot4_i32_i8 v114, v116, v7, v114
	v_dot4_i32_i8 v114, v117, v8, v114
	s_waitcnt lgkmcnt(1)
	v_ashrrev_i32_e32 v118, s16, v118
	s_waitcnt lgkmcnt(0)
	v_ashrrev_i32_e32 v120, s2, v120
	v_lshlrev_b32_e32 v120, 2, v120
	v_and_b32_e32 v123, 0x3030303, v118
	v_bfe_u32 v118, v118, 24, 2
	v_and_b32_e32 v120, 0x4040404, v120
	v_ashrrev_i32_e32 v121, s2, v121
	;; [unrolled: 33-line block ×3, first 2 shown]
	v_sub_u16_e32 v125, v124, v122
	v_sub_u16_sdwa v126, v124, v122 dst_sel:BYTE_1 dst_unused:UNUSED_PAD src0_sel:BYTE_1 src1_sel:BYTE_1
	v_sub_u16_sdwa v120, v120, v122 dst_sel:BYTE_1 dst_unused:UNUSED_PAD src0_sel:DWORD src1_sel:BYTE_3
	v_sub_u16_sdwa v122, v124, v122 dst_sel:DWORD dst_unused:UNUSED_PAD src0_sel:WORD_1 src1_sel:WORD_1
	v_ashrrev_i32_e32 v121, s16, v121
	v_lshlrev_b32_e32 v123, 2, v123
	v_or_b32_sdwa v125, v125, v126 dst_sel:DWORD dst_unused:UNUSED_PAD src0_sel:BYTE_0 src1_sel:DWORD
	v_or_b32_sdwa v120, v122, v120 dst_sel:WORD_1 dst_unused:UNUSED_PAD src0_sel:BYTE_0 src1_sel:DWORD
	v_and_b32_e32 v122, 0x3030303, v121
	v_bfe_u32 v121, v121, 24, 2
	v_and_b32_e32 v123, 0x4040404, v123
	v_or_b32_sdwa v120, v125, v120 dst_sel:DWORD dst_unused:UNUSED_PAD src0_sel:WORD_0 src1_sel:DWORD
	v_sub_u16_e32 v124, v122, v123
	v_sub_u16_sdwa v125, v122, v123 dst_sel:BYTE_1 dst_unused:UNUSED_PAD src0_sel:BYTE_1 src1_sel:BYTE_1
	v_sub_u16_sdwa v121, v121, v123 dst_sel:BYTE_1 dst_unused:UNUSED_PAD src0_sel:DWORD src1_sel:BYTE_3
	v_sub_u16_sdwa v122, v122, v123 dst_sel:DWORD dst_unused:UNUSED_PAD src0_sel:WORD_1 src1_sel:WORD_1
	v_or_b32_sdwa v121, v122, v121 dst_sel:WORD_1 dst_unused:UNUSED_PAD src0_sel:BYTE_0 src1_sel:DWORD
	v_add_u32_e32 v122, s28, v77
	v_add3_u32 v123, s17, v96, v97
	ds_read_b32 v123, v123
	ds_read_u16 v116, v122 offset:2
	v_or_b32_sdwa v124, v124, v125 dst_sel:DWORD dst_unused:UNUSED_PAD src0_sel:BYTE_0 src1_sel:DWORD
	v_or_b32_sdwa v121, v124, v121 dst_sel:DWORD dst_unused:UNUSED_PAD src0_sel:WORD_0 src1_sel:DWORD
	v_dot4_i32_i8 v115, v120, v3, v115
	v_dot4_i32_i8 v115, v121, v4, v115
	s_waitcnt lgkmcnt(0)
	v_lshrrev_b16_e32 v117, 8, v116
	v_bfe_i32 v116, v116, 0, 8
	v_mul_lo_u32 v114, v114, v116
	v_bfe_i32 v117, v117, 0, 8
	v_add3_u32 v122, s29, v98, v99
	v_mad_u64_u32 v[114:115], s[30:31], v115, v117, v[114:115]
	v_mul_f32_e32 v115, v112, v123
	ds_read2_b32 v[116:117], v122 offset1:1
	v_cvt_f32_i32_e32 v114, v114
	v_fmac_f32_e32 v68, v115, v114
	v_add_u32_e32 v114, 0x2100, v113
	ds_read2_b32 v[114:115], v114 offset1:1
	s_waitcnt lgkmcnt(1)
	v_ashrrev_i32_e32 v116, s2, v116
	v_lshlrev_b32_e32 v116, 2, v116
	v_and_b32_e32 v116, 0x4040404, v116
	v_ashrrev_i32_e32 v117, s2, v117
	s_waitcnt lgkmcnt(0)
	v_ashrrev_i32_e32 v114, s16, v114
	v_and_b32_e32 v118, 0x3030303, v114
	v_bfe_u32 v114, v114, 24, 2
	v_sub_u16_e32 v119, v118, v116
	v_sub_u16_sdwa v120, v118, v116 dst_sel:BYTE_1 dst_unused:UNUSED_PAD src0_sel:BYTE_1 src1_sel:BYTE_1
	v_sub_u16_sdwa v114, v114, v116 dst_sel:BYTE_1 dst_unused:UNUSED_PAD src0_sel:DWORD src1_sel:BYTE_3
	v_sub_u16_sdwa v116, v118, v116 dst_sel:DWORD dst_unused:UNUSED_PAD src0_sel:WORD_1 src1_sel:WORD_1
	v_ashrrev_i32_e32 v115, s16, v115
	v_lshlrev_b32_e32 v117, 2, v117
	v_or_b32_sdwa v119, v119, v120 dst_sel:DWORD dst_unused:UNUSED_PAD src0_sel:BYTE_0 src1_sel:DWORD
	v_or_b32_sdwa v114, v116, v114 dst_sel:WORD_1 dst_unused:UNUSED_PAD src0_sel:BYTE_0 src1_sel:DWORD
	v_and_b32_e32 v116, 0x3030303, v115
	v_bfe_u32 v115, v115, 24, 2
	v_and_b32_e32 v117, 0x4040404, v117
	v_or_b32_sdwa v114, v119, v114 dst_sel:DWORD dst_unused:UNUSED_PAD src0_sel:WORD_0 src1_sel:DWORD
	v_sub_u16_e32 v118, v116, v117
	v_sub_u16_sdwa v119, v116, v117 dst_sel:BYTE_1 dst_unused:UNUSED_PAD src0_sel:BYTE_1 src1_sel:BYTE_1
	v_sub_u16_sdwa v115, v115, v117 dst_sel:BYTE_1 dst_unused:UNUSED_PAD src0_sel:DWORD src1_sel:BYTE_3
	v_sub_u16_sdwa v116, v116, v117 dst_sel:DWORD dst_unused:UNUSED_PAD src0_sel:WORD_1 src1_sel:WORD_1
	v_or_b32_sdwa v118, v118, v119 dst_sel:DWORD dst_unused:UNUSED_PAD src0_sel:BYTE_0 src1_sel:DWORD
	v_or_b32_sdwa v115, v116, v115 dst_sel:WORD_1 dst_unused:UNUSED_PAD src0_sel:BYTE_0 src1_sel:DWORD
	v_add_u32_e32 v116, 0x2108, v113
	v_or_b32_sdwa v115, v118, v115 dst_sel:DWORD dst_unused:UNUSED_PAD src0_sel:WORD_0 src1_sel:DWORD
	ds_read2_b32 v[116:117], v116 offset1:1
	ds_read2_b32 v[118:119], v122 offset0:2 offset1:3
	v_dot4_i32_i8 v114, v114, v5, 0
	v_dot4_i32_i8 v114, v115, v6, v114
	s_waitcnt lgkmcnt(1)
	v_ashrrev_i32_e32 v116, s16, v116
	s_waitcnt lgkmcnt(0)
	v_ashrrev_i32_e32 v118, s2, v118
	v_lshlrev_b32_e32 v118, 2, v118
	v_and_b32_e32 v120, 0x3030303, v116
	v_bfe_u32 v116, v116, 24, 2
	v_and_b32_e32 v118, 0x4040404, v118
	v_ashrrev_i32_e32 v119, s2, v119
	v_sub_u16_e32 v121, v120, v118
	v_sub_u16_sdwa v123, v120, v118 dst_sel:BYTE_1 dst_unused:UNUSED_PAD src0_sel:BYTE_1 src1_sel:BYTE_1
	v_sub_u16_sdwa v116, v116, v118 dst_sel:BYTE_1 dst_unused:UNUSED_PAD src0_sel:DWORD src1_sel:BYTE_3
	v_sub_u16_sdwa v118, v120, v118 dst_sel:DWORD dst_unused:UNUSED_PAD src0_sel:WORD_1 src1_sel:WORD_1
	v_ashrrev_i32_e32 v117, s16, v117
	v_lshlrev_b32_e32 v119, 2, v119
	v_or_b32_sdwa v121, v121, v123 dst_sel:DWORD dst_unused:UNUSED_PAD src0_sel:BYTE_0 src1_sel:DWORD
	v_or_b32_sdwa v116, v118, v116 dst_sel:WORD_1 dst_unused:UNUSED_PAD src0_sel:BYTE_0 src1_sel:DWORD
	v_and_b32_e32 v118, 0x3030303, v117
	v_bfe_u32 v117, v117, 24, 2
	v_and_b32_e32 v119, 0x4040404, v119
	v_or_b32_sdwa v116, v121, v116 dst_sel:DWORD dst_unused:UNUSED_PAD src0_sel:WORD_0 src1_sel:DWORD
	v_sub_u16_e32 v120, v118, v119
	v_sub_u16_sdwa v121, v118, v119 dst_sel:BYTE_1 dst_unused:UNUSED_PAD src0_sel:BYTE_1 src1_sel:BYTE_1
	v_sub_u16_sdwa v117, v117, v119 dst_sel:BYTE_1 dst_unused:UNUSED_PAD src0_sel:DWORD src1_sel:BYTE_3
	v_sub_u16_sdwa v118, v118, v119 dst_sel:DWORD dst_unused:UNUSED_PAD src0_sel:WORD_1 src1_sel:WORD_1
	v_or_b32_sdwa v120, v120, v121 dst_sel:DWORD dst_unused:UNUSED_PAD src0_sel:BYTE_0 src1_sel:DWORD
	v_or_b32_sdwa v117, v118, v117 dst_sel:WORD_1 dst_unused:UNUSED_PAD src0_sel:BYTE_0 src1_sel:DWORD
	v_add_u32_e32 v118, 0x2110, v113
	v_or_b32_sdwa v117, v120, v117 dst_sel:DWORD dst_unused:UNUSED_PAD src0_sel:WORD_0 src1_sel:DWORD
	ds_read2_b32 v[118:119], v118 offset1:1
	ds_read2_b32 v[120:121], v122 offset0:4 offset1:5
	v_dot4_i32_i8 v114, v116, v7, v114
	v_dot4_i32_i8 v114, v117, v8, v114
	s_waitcnt lgkmcnt(1)
	v_ashrrev_i32_e32 v118, s16, v118
	s_waitcnt lgkmcnt(0)
	v_ashrrev_i32_e32 v120, s2, v120
	v_lshlrev_b32_e32 v120, 2, v120
	v_and_b32_e32 v123, 0x3030303, v118
	v_bfe_u32 v118, v118, 24, 2
	v_and_b32_e32 v120, 0x4040404, v120
	v_ashrrev_i32_e32 v121, s2, v121
	;; [unrolled: 33-line block ×3, first 2 shown]
	v_sub_u16_e32 v125, v124, v122
	v_sub_u16_sdwa v126, v124, v122 dst_sel:BYTE_1 dst_unused:UNUSED_PAD src0_sel:BYTE_1 src1_sel:BYTE_1
	v_sub_u16_sdwa v120, v120, v122 dst_sel:BYTE_1 dst_unused:UNUSED_PAD src0_sel:DWORD src1_sel:BYTE_3
	v_sub_u16_sdwa v122, v124, v122 dst_sel:DWORD dst_unused:UNUSED_PAD src0_sel:WORD_1 src1_sel:WORD_1
	v_ashrrev_i32_e32 v121, s16, v121
	v_lshlrev_b32_e32 v123, 2, v123
	v_or_b32_sdwa v125, v125, v126 dst_sel:DWORD dst_unused:UNUSED_PAD src0_sel:BYTE_0 src1_sel:DWORD
	v_or_b32_sdwa v120, v122, v120 dst_sel:WORD_1 dst_unused:UNUSED_PAD src0_sel:BYTE_0 src1_sel:DWORD
	v_and_b32_e32 v122, 0x3030303, v121
	v_bfe_u32 v121, v121, 24, 2
	v_and_b32_e32 v123, 0x4040404, v123
	v_or_b32_sdwa v120, v125, v120 dst_sel:DWORD dst_unused:UNUSED_PAD src0_sel:WORD_0 src1_sel:DWORD
	v_sub_u16_e32 v124, v122, v123
	v_sub_u16_sdwa v125, v122, v123 dst_sel:BYTE_1 dst_unused:UNUSED_PAD src0_sel:BYTE_1 src1_sel:BYTE_1
	v_sub_u16_sdwa v121, v121, v123 dst_sel:BYTE_1 dst_unused:UNUSED_PAD src0_sel:DWORD src1_sel:BYTE_3
	v_sub_u16_sdwa v122, v122, v123 dst_sel:DWORD dst_unused:UNUSED_PAD src0_sel:WORD_1 src1_sel:WORD_1
	v_or_b32_sdwa v121, v122, v121 dst_sel:WORD_1 dst_unused:UNUSED_PAD src0_sel:BYTE_0 src1_sel:DWORD
	v_add_u32_e32 v122, s28, v75
	v_add3_u32 v123, s17, v100, v101
	ds_read_b32 v123, v123
	ds_read_u16 v116, v122 offset:2
	v_or_b32_sdwa v124, v124, v125 dst_sel:DWORD dst_unused:UNUSED_PAD src0_sel:BYTE_0 src1_sel:DWORD
	v_or_b32_sdwa v121, v124, v121 dst_sel:DWORD dst_unused:UNUSED_PAD src0_sel:WORD_0 src1_sel:DWORD
	v_dot4_i32_i8 v115, v120, v3, v115
	v_dot4_i32_i8 v115, v121, v4, v115
	s_waitcnt lgkmcnt(0)
	v_lshrrev_b16_e32 v117, 8, v116
	v_bfe_i32 v116, v116, 0, 8
	v_mul_lo_u32 v114, v114, v116
	v_bfe_i32 v117, v117, 0, 8
	v_add3_u32 v122, s29, v102, v103
	v_mad_u64_u32 v[114:115], s[30:31], v115, v117, v[114:115]
	v_mul_f32_e32 v115, v112, v123
	ds_read2_b32 v[116:117], v122 offset1:1
	v_cvt_f32_i32_e32 v114, v114
	v_fmac_f32_e32 v64, v115, v114
	v_add_u32_e32 v114, 0x3180, v113
	ds_read2_b32 v[114:115], v114 offset1:1
	s_waitcnt lgkmcnt(1)
	v_ashrrev_i32_e32 v116, s2, v116
	v_lshlrev_b32_e32 v116, 2, v116
	v_and_b32_e32 v116, 0x4040404, v116
	v_ashrrev_i32_e32 v117, s2, v117
	s_waitcnt lgkmcnt(0)
	v_ashrrev_i32_e32 v114, s16, v114
	v_and_b32_e32 v118, 0x3030303, v114
	v_bfe_u32 v114, v114, 24, 2
	v_sub_u16_e32 v119, v118, v116
	v_sub_u16_sdwa v120, v118, v116 dst_sel:BYTE_1 dst_unused:UNUSED_PAD src0_sel:BYTE_1 src1_sel:BYTE_1
	v_sub_u16_sdwa v114, v114, v116 dst_sel:BYTE_1 dst_unused:UNUSED_PAD src0_sel:DWORD src1_sel:BYTE_3
	v_sub_u16_sdwa v116, v118, v116 dst_sel:DWORD dst_unused:UNUSED_PAD src0_sel:WORD_1 src1_sel:WORD_1
	v_ashrrev_i32_e32 v115, s16, v115
	v_lshlrev_b32_e32 v117, 2, v117
	v_or_b32_sdwa v119, v119, v120 dst_sel:DWORD dst_unused:UNUSED_PAD src0_sel:BYTE_0 src1_sel:DWORD
	v_or_b32_sdwa v114, v116, v114 dst_sel:WORD_1 dst_unused:UNUSED_PAD src0_sel:BYTE_0 src1_sel:DWORD
	v_and_b32_e32 v116, 0x3030303, v115
	v_bfe_u32 v115, v115, 24, 2
	v_and_b32_e32 v117, 0x4040404, v117
	v_or_b32_sdwa v114, v119, v114 dst_sel:DWORD dst_unused:UNUSED_PAD src0_sel:WORD_0 src1_sel:DWORD
	v_sub_u16_e32 v118, v116, v117
	v_sub_u16_sdwa v119, v116, v117 dst_sel:BYTE_1 dst_unused:UNUSED_PAD src0_sel:BYTE_1 src1_sel:BYTE_1
	v_sub_u16_sdwa v115, v115, v117 dst_sel:BYTE_1 dst_unused:UNUSED_PAD src0_sel:DWORD src1_sel:BYTE_3
	v_sub_u16_sdwa v116, v116, v117 dst_sel:DWORD dst_unused:UNUSED_PAD src0_sel:WORD_1 src1_sel:WORD_1
	v_or_b32_sdwa v118, v118, v119 dst_sel:DWORD dst_unused:UNUSED_PAD src0_sel:BYTE_0 src1_sel:DWORD
	v_or_b32_sdwa v115, v116, v115 dst_sel:WORD_1 dst_unused:UNUSED_PAD src0_sel:BYTE_0 src1_sel:DWORD
	v_add_u32_e32 v116, 0x3188, v113
	v_or_b32_sdwa v115, v118, v115 dst_sel:DWORD dst_unused:UNUSED_PAD src0_sel:WORD_0 src1_sel:DWORD
	ds_read2_b32 v[116:117], v116 offset1:1
	ds_read2_b32 v[118:119], v122 offset0:2 offset1:3
	v_dot4_i32_i8 v5, v114, v5, 0
	v_dot4_i32_i8 v5, v115, v6, v5
	s_waitcnt lgkmcnt(1)
	v_ashrrev_i32_e32 v116, s16, v116
	s_waitcnt lgkmcnt(0)
	v_ashrrev_i32_e32 v118, s2, v118
	v_lshlrev_b32_e32 v118, 2, v118
	v_and_b32_e32 v120, 0x3030303, v116
	v_bfe_u32 v116, v116, 24, 2
	v_and_b32_e32 v118, 0x4040404, v118
	v_ashrrev_i32_e32 v119, s2, v119
	v_sub_u16_e32 v121, v120, v118
	v_sub_u16_sdwa v123, v120, v118 dst_sel:BYTE_1 dst_unused:UNUSED_PAD src0_sel:BYTE_1 src1_sel:BYTE_1
	v_sub_u16_sdwa v116, v116, v118 dst_sel:BYTE_1 dst_unused:UNUSED_PAD src0_sel:DWORD src1_sel:BYTE_3
	v_sub_u16_sdwa v118, v120, v118 dst_sel:DWORD dst_unused:UNUSED_PAD src0_sel:WORD_1 src1_sel:WORD_1
	v_ashrrev_i32_e32 v117, s16, v117
	v_lshlrev_b32_e32 v119, 2, v119
	v_or_b32_sdwa v121, v121, v123 dst_sel:DWORD dst_unused:UNUSED_PAD src0_sel:BYTE_0 src1_sel:DWORD
	v_or_b32_sdwa v116, v118, v116 dst_sel:WORD_1 dst_unused:UNUSED_PAD src0_sel:BYTE_0 src1_sel:DWORD
	v_and_b32_e32 v118, 0x3030303, v117
	v_bfe_u32 v117, v117, 24, 2
	v_and_b32_e32 v119, 0x4040404, v119
	v_or_b32_sdwa v116, v121, v116 dst_sel:DWORD dst_unused:UNUSED_PAD src0_sel:WORD_0 src1_sel:DWORD
	v_sub_u16_e32 v120, v118, v119
	v_sub_u16_sdwa v121, v118, v119 dst_sel:BYTE_1 dst_unused:UNUSED_PAD src0_sel:BYTE_1 src1_sel:BYTE_1
	v_sub_u16_sdwa v117, v117, v119 dst_sel:BYTE_1 dst_unused:UNUSED_PAD src0_sel:DWORD src1_sel:BYTE_3
	v_sub_u16_sdwa v118, v118, v119 dst_sel:DWORD dst_unused:UNUSED_PAD src0_sel:WORD_1 src1_sel:WORD_1
	v_or_b32_sdwa v120, v120, v121 dst_sel:DWORD dst_unused:UNUSED_PAD src0_sel:BYTE_0 src1_sel:DWORD
	v_or_b32_sdwa v117, v118, v117 dst_sel:WORD_1 dst_unused:UNUSED_PAD src0_sel:BYTE_0 src1_sel:DWORD
	v_add_u32_e32 v118, 0x3190, v113
	v_or_b32_sdwa v117, v120, v117 dst_sel:DWORD dst_unused:UNUSED_PAD src0_sel:WORD_0 src1_sel:DWORD
	ds_read2_b32 v[118:119], v118 offset1:1
	ds_read2_b32 v[120:121], v122 offset0:4 offset1:5
	v_add_u32_e32 v113, 0x3198, v113
	v_dot4_i32_i8 v5, v116, v7, v5
	v_dot4_i32_i8 v5, v117, v8, v5
	s_waitcnt lgkmcnt(1)
	v_ashrrev_i32_e32 v118, s16, v118
	s_waitcnt lgkmcnt(0)
	v_ashrrev_i32_e32 v120, s2, v120
	v_lshlrev_b32_e32 v120, 2, v120
	v_and_b32_e32 v123, 0x3030303, v118
	v_bfe_u32 v118, v118, 24, 2
	v_and_b32_e32 v120, 0x4040404, v120
	v_ashrrev_i32_e32 v121, s2, v121
	v_sub_u16_e32 v124, v123, v120
	v_sub_u16_sdwa v125, v123, v120 dst_sel:BYTE_1 dst_unused:UNUSED_PAD src0_sel:BYTE_1 src1_sel:BYTE_1
	v_sub_u16_sdwa v118, v118, v120 dst_sel:BYTE_1 dst_unused:UNUSED_PAD src0_sel:DWORD src1_sel:BYTE_3
	v_sub_u16_sdwa v120, v123, v120 dst_sel:DWORD dst_unused:UNUSED_PAD src0_sel:WORD_1 src1_sel:WORD_1
	v_ashrrev_i32_e32 v119, s16, v119
	v_lshlrev_b32_e32 v121, 2, v121
	v_or_b32_sdwa v124, v124, v125 dst_sel:DWORD dst_unused:UNUSED_PAD src0_sel:BYTE_0 src1_sel:DWORD
	v_or_b32_sdwa v118, v120, v118 dst_sel:WORD_1 dst_unused:UNUSED_PAD src0_sel:BYTE_0 src1_sel:DWORD
	v_and_b32_e32 v120, 0x3030303, v119
	v_bfe_u32 v119, v119, 24, 2
	v_and_b32_e32 v121, 0x4040404, v121
	v_or_b32_sdwa v118, v124, v118 dst_sel:DWORD dst_unused:UNUSED_PAD src0_sel:WORD_0 src1_sel:DWORD
	v_sub_u16_e32 v123, v120, v121
	v_sub_u16_sdwa v124, v120, v121 dst_sel:BYTE_1 dst_unused:UNUSED_PAD src0_sel:BYTE_1 src1_sel:BYTE_1
	v_sub_u16_sdwa v119, v119, v121 dst_sel:BYTE_1 dst_unused:UNUSED_PAD src0_sel:DWORD src1_sel:BYTE_3
	v_sub_u16_sdwa v120, v120, v121 dst_sel:DWORD dst_unused:UNUSED_PAD src0_sel:WORD_1 src1_sel:WORD_1
	v_or_b32_sdwa v123, v123, v124 dst_sel:DWORD dst_unused:UNUSED_PAD src0_sel:BYTE_0 src1_sel:DWORD
	v_or_b32_sdwa v119, v120, v119 dst_sel:WORD_1 dst_unused:UNUSED_PAD src0_sel:BYTE_0 src1_sel:DWORD
	v_or_b32_sdwa v119, v123, v119 dst_sel:DWORD dst_unused:UNUSED_PAD src0_sel:WORD_0 src1_sel:DWORD
	ds_read2_b32 v[120:121], v113 offset1:1
	ds_read2_b32 v[122:123], v122 offset0:6 offset1:7
	v_dot4_i32_i8 v1, v118, v1, 0
	v_dot4_i32_i8 v1, v119, v2, v1
	s_waitcnt lgkmcnt(1)
	v_ashrrev_i32_e32 v113, s16, v120
	s_waitcnt lgkmcnt(0)
	v_ashrrev_i32_e32 v122, s2, v122
	v_lshlrev_b32_e32 v122, 2, v122
	v_and_b32_e32 v120, 0x3030303, v113
	v_bfe_u32 v113, v113, 24, 2
	v_and_b32_e32 v122, 0x4040404, v122
	v_sub_u16_e32 v124, v120, v122
	v_sub_u16_sdwa v125, v120, v122 dst_sel:BYTE_1 dst_unused:UNUSED_PAD src0_sel:BYTE_1 src1_sel:BYTE_1
	v_sub_u16_sdwa v113, v113, v122 dst_sel:BYTE_1 dst_unused:UNUSED_PAD src0_sel:DWORD src1_sel:BYTE_3
	v_sub_u16_sdwa v120, v120, v122 dst_sel:DWORD dst_unused:UNUSED_PAD src0_sel:WORD_1 src1_sel:WORD_1
	v_ashrrev_i32_e32 v122, s2, v123
	v_or_b32_sdwa v113, v120, v113 dst_sel:WORD_1 dst_unused:UNUSED_PAD src0_sel:BYTE_0 src1_sel:DWORD
	v_ashrrev_i32_e32 v120, s16, v121
	v_lshlrev_b32_e32 v122, 2, v122
	v_or_b32_sdwa v124, v124, v125 dst_sel:DWORD dst_unused:UNUSED_PAD src0_sel:BYTE_0 src1_sel:DWORD
	v_and_b32_e32 v121, 0x3030303, v120
	v_bfe_u32 v120, v120, 24, 2
	v_and_b32_e32 v122, 0x4040404, v122
	v_or_b32_sdwa v113, v124, v113 dst_sel:DWORD dst_unused:UNUSED_PAD src0_sel:WORD_0 src1_sel:DWORD
	v_sub_u16_e32 v123, v121, v122
	v_sub_u16_sdwa v124, v121, v122 dst_sel:BYTE_1 dst_unused:UNUSED_PAD src0_sel:BYTE_1 src1_sel:BYTE_1
	v_sub_u16_sdwa v120, v120, v122 dst_sel:BYTE_1 dst_unused:UNUSED_PAD src0_sel:DWORD src1_sel:BYTE_3
	v_sub_u16_sdwa v121, v121, v122 dst_sel:DWORD dst_unused:UNUSED_PAD src0_sel:WORD_1 src1_sel:WORD_1
	v_or_b32_sdwa v123, v123, v124 dst_sel:DWORD dst_unused:UNUSED_PAD src0_sel:BYTE_0 src1_sel:DWORD
	v_or_b32_sdwa v120, v121, v120 dst_sel:WORD_1 dst_unused:UNUSED_PAD src0_sel:BYTE_0 src1_sel:DWORD
	v_or_b32_sdwa v120, v123, v120 dst_sel:DWORD dst_unused:UNUSED_PAD src0_sel:WORD_0 src1_sel:DWORD
	v_add_u32_e32 v122, s28, v73
	v_add3_u32 v121, s17, v104, v105
	v_dot4_i32_i8 v1, v113, v3, v1
	ds_read_b32 v121, v121
	v_dot4_i32_i8 v2, v120, v4, v1
	ds_read_u16 v1, v122 offset:2
	s_add_i32 s2, s2, 1
	s_cmp_lt_u32 s16, 6
	s_mov_b32 s17, s16
	s_waitcnt lgkmcnt(0)
	v_lshrrev_b16_e32 v3, 8, v1
	v_bfe_i32 v1, v1, 0, 8
	v_mul_lo_u32 v1, v5, v1
	v_bfe_i32 v3, v3, 0, 8
	v_mad_u64_u32 v[1:2], s[28:29], v2, v3, v[1:2]
	v_mul_f32_e32 v2, v112, v121
	v_cvt_f32_i32_e32 v1, v1
	v_fmac_f32_e32 v9, v2, v1
	s_cbranch_scc1 .LBB209_11
; %bb.12:                               ;   in Loop: Header=BB209_5 Depth=1
	s_or_b32 s2, s26, 0x80
	s_cmp_ge_i32 s2, s15
	s_barrier
	s_cbranch_scc1 .LBB209_4
; %bb.13:                               ;   in Loop: Header=BB209_5 Depth=1
	v_add_u32_e32 v1, s27, v65
	v_cmp_gt_i32_e64 s[2:3], s9, v1
	s_and_b64 s[16:17], s[0:1], s[2:3]
	s_and_saveexec_b64 s[2:3], s[16:17]
	s_cbranch_execz .LBB209_15
; %bb.14:                               ;   in Loop: Header=BB209_5 Depth=1
	v_add_u32_e32 v1, v69, v1
	v_mad_i64_i32 v[1:2], s[16:17], v1, 36, v[10:11]
	global_load_dword v1, v[1:2], off offset:4
	s_waitcnt vmcnt(0)
	ds_write_b32 v61, v1
.LBB209_15:                             ;   in Loop: Header=BB209_5 Depth=1
	s_or_b64 exec, exec, s[2:3]
	s_and_saveexec_b64 s[16:17], vcc
	s_cbranch_execz .LBB209_18
; %bb.16:                               ;   in Loop: Header=BB209_5 Depth=1
	v_or_b32_e32 v1, 4, v109
	v_cmp_gt_i32_e64 s[2:3], s9, v1
	s_and_b64 s[2:3], s[0:1], s[2:3]
	s_and_b64 exec, exec, s[2:3]
	s_cbranch_execz .LBB209_18
; %bb.17:                               ;   in Loop: Header=BB209_5 Depth=1
	v_ashrrev_i32_e32 v1, 31, v109
	v_add_co_u32_e64 v2, s[2:3], v69, v109
	v_addc_co_u32_e64 v3, s[2:3], v71, v1, s[2:3]
	v_mad_u64_u32 v[1:2], s[2:3], v2, 36, s[6:7]
	v_mad_i32_i24 v2, v3, 36, v2
	global_load_dword v1, v[1:2], off offset:144
	s_waitcnt vmcnt(0)
	v_cvt_f32_f16_e32 v1, v1
	ds_write_b32 v63, v1
.LBB209_18:                             ;   in Loop: Header=BB209_5 Depth=1
	s_or_b64 exec, exec, s[16:17]
	s_mov_b32 s2, 8
	s_mov_b32 s17, 6
	;; [unrolled: 1-line block ×3, first 2 shown]
	v_mov_b32_e32 v110, v60
	v_mov_b32_e32 v111, v62
	s_waitcnt lgkmcnt(0)
	s_barrier
.LBB209_19:                             ;   Parent Loop BB209_5 Depth=1
                                        ; =>  This Inner Loop Header: Depth=2
	s_add_i32 s16, s17, 2
	s_lshr_b32 s31, s16, 4
	s_and_b32 s30, s16, 0x3ffffff8
	v_lshl_add_u32 v113, s30, 2, v70
	s_lshl_b32 s30, s31, 5
	s_addk_i32 s30, 0x4200
	v_add3_u32 v122, s30, v106, v93
	ds_read_b32 v112, v111
	ds_read_b128 v[5:8], v110
	ds_read_b128 v[1:4], v110 offset:16
	ds_read2_b32 v[114:115], v113 offset1:1
	ds_read2_b32 v[116:117], v122 offset1:1
	s_add_i32 s29, s17, -6
	s_and_b32 s28, s2, -16
	s_add_i32 s28, s17, s28
	s_waitcnt lgkmcnt(1)
	v_ashrrev_i32_e32 v114, s29, v114
	s_waitcnt lgkmcnt(0)
	v_ashrrev_i32_e32 v116, s3, v116
	v_lshlrev_b32_e32 v116, 2, v116
	v_and_b32_e32 v118, 0x3030303, v114
	v_bfe_u32 v114, v114, 24, 2
	v_and_b32_e32 v116, 0x4040404, v116
	v_ashrrev_i32_e32 v117, s3, v117
	v_sub_u16_e32 v119, v118, v116
	v_sub_u16_sdwa v120, v118, v116 dst_sel:BYTE_1 dst_unused:UNUSED_PAD src0_sel:BYTE_1 src1_sel:BYTE_1
	v_sub_u16_sdwa v114, v114, v116 dst_sel:BYTE_1 dst_unused:UNUSED_PAD src0_sel:DWORD src1_sel:BYTE_3
	v_sub_u16_sdwa v116, v118, v116 dst_sel:DWORD dst_unused:UNUSED_PAD src0_sel:WORD_1 src1_sel:WORD_1
	v_ashrrev_i32_e32 v115, s29, v115
	v_lshlrev_b32_e32 v117, 2, v117
	v_or_b32_sdwa v119, v119, v120 dst_sel:DWORD dst_unused:UNUSED_PAD src0_sel:BYTE_0 src1_sel:DWORD
	v_or_b32_sdwa v114, v116, v114 dst_sel:WORD_1 dst_unused:UNUSED_PAD src0_sel:BYTE_0 src1_sel:DWORD
	v_and_b32_e32 v116, 0x3030303, v115
	v_bfe_u32 v115, v115, 24, 2
	v_and_b32_e32 v117, 0x4040404, v117
	v_or_b32_sdwa v114, v119, v114 dst_sel:DWORD dst_unused:UNUSED_PAD src0_sel:WORD_0 src1_sel:DWORD
	v_sub_u16_e32 v118, v116, v117
	v_sub_u16_sdwa v119, v116, v117 dst_sel:BYTE_1 dst_unused:UNUSED_PAD src0_sel:BYTE_1 src1_sel:BYTE_1
	v_sub_u16_sdwa v115, v115, v117 dst_sel:BYTE_1 dst_unused:UNUSED_PAD src0_sel:DWORD src1_sel:BYTE_3
	v_sub_u16_sdwa v116, v116, v117 dst_sel:DWORD dst_unused:UNUSED_PAD src0_sel:WORD_1 src1_sel:WORD_1
	v_or_b32_sdwa v118, v118, v119 dst_sel:DWORD dst_unused:UNUSED_PAD src0_sel:BYTE_0 src1_sel:DWORD
	v_or_b32_sdwa v115, v116, v115 dst_sel:WORD_1 dst_unused:UNUSED_PAD src0_sel:BYTE_0 src1_sel:DWORD
	v_or_b32_sdwa v115, v118, v115 dst_sel:DWORD dst_unused:UNUSED_PAD src0_sel:WORD_0 src1_sel:DWORD
	ds_read2_b32 v[116:117], v113 offset0:2 offset1:3
	ds_read2_b32 v[118:119], v122 offset0:2 offset1:3
	s_lshl_b32 s17, s31, 2
	s_addk_i32 s17, 0x7380
	v_dot4_i32_i8 v114, v114, v5, 0
	s_waitcnt lgkmcnt(1)
	v_ashrrev_i32_e32 v116, s29, v116
	s_waitcnt lgkmcnt(0)
	v_ashrrev_i32_e32 v118, s3, v118
	v_lshlrev_b32_e32 v118, 2, v118
	v_and_b32_e32 v120, 0x3030303, v116
	v_bfe_u32 v116, v116, 24, 2
	v_and_b32_e32 v118, 0x4040404, v118
	v_ashrrev_i32_e32 v119, s3, v119
	v_sub_u16_e32 v121, v120, v118
	v_sub_u16_sdwa v123, v120, v118 dst_sel:BYTE_1 dst_unused:UNUSED_PAD src0_sel:BYTE_1 src1_sel:BYTE_1
	v_sub_u16_sdwa v116, v116, v118 dst_sel:BYTE_1 dst_unused:UNUSED_PAD src0_sel:DWORD src1_sel:BYTE_3
	v_sub_u16_sdwa v118, v120, v118 dst_sel:DWORD dst_unused:UNUSED_PAD src0_sel:WORD_1 src1_sel:WORD_1
	v_ashrrev_i32_e32 v117, s29, v117
	v_lshlrev_b32_e32 v119, 2, v119
	v_or_b32_sdwa v121, v121, v123 dst_sel:DWORD dst_unused:UNUSED_PAD src0_sel:BYTE_0 src1_sel:DWORD
	v_or_b32_sdwa v116, v118, v116 dst_sel:WORD_1 dst_unused:UNUSED_PAD src0_sel:BYTE_0 src1_sel:DWORD
	v_and_b32_e32 v118, 0x3030303, v117
	v_bfe_u32 v117, v117, 24, 2
	v_and_b32_e32 v119, 0x4040404, v119
	v_or_b32_sdwa v116, v121, v116 dst_sel:DWORD dst_unused:UNUSED_PAD src0_sel:WORD_0 src1_sel:DWORD
	v_sub_u16_e32 v120, v118, v119
	v_sub_u16_sdwa v121, v118, v119 dst_sel:BYTE_1 dst_unused:UNUSED_PAD src0_sel:BYTE_1 src1_sel:BYTE_1
	v_sub_u16_sdwa v117, v117, v119 dst_sel:BYTE_1 dst_unused:UNUSED_PAD src0_sel:DWORD src1_sel:BYTE_3
	v_sub_u16_sdwa v118, v118, v119 dst_sel:DWORD dst_unused:UNUSED_PAD src0_sel:WORD_1 src1_sel:WORD_1
	v_or_b32_sdwa v120, v120, v121 dst_sel:DWORD dst_unused:UNUSED_PAD src0_sel:BYTE_0 src1_sel:DWORD
	v_or_b32_sdwa v117, v118, v117 dst_sel:WORD_1 dst_unused:UNUSED_PAD src0_sel:BYTE_0 src1_sel:DWORD
	v_or_b32_sdwa v117, v120, v117 dst_sel:DWORD dst_unused:UNUSED_PAD src0_sel:WORD_0 src1_sel:DWORD
	ds_read2_b32 v[118:119], v113 offset0:4 offset1:5
	ds_read2_b32 v[120:121], v122 offset0:4 offset1:5
	v_dot4_i32_i8 v114, v115, v6, v114
	v_dot4_i32_i8 v114, v116, v7, v114
	;; [unrolled: 1-line block ×3, first 2 shown]
	s_waitcnt lgkmcnt(1)
	v_ashrrev_i32_e32 v118, s29, v118
	s_waitcnt lgkmcnt(0)
	v_ashrrev_i32_e32 v120, s3, v120
	v_lshlrev_b32_e32 v120, 2, v120
	v_and_b32_e32 v123, 0x3030303, v118
	v_bfe_u32 v118, v118, 24, 2
	v_and_b32_e32 v120, 0x4040404, v120
	v_ashrrev_i32_e32 v121, s3, v121
	v_sub_u16_e32 v124, v123, v120
	v_sub_u16_sdwa v125, v123, v120 dst_sel:BYTE_1 dst_unused:UNUSED_PAD src0_sel:BYTE_1 src1_sel:BYTE_1
	v_sub_u16_sdwa v118, v118, v120 dst_sel:BYTE_1 dst_unused:UNUSED_PAD src0_sel:DWORD src1_sel:BYTE_3
	v_sub_u16_sdwa v120, v123, v120 dst_sel:DWORD dst_unused:UNUSED_PAD src0_sel:WORD_1 src1_sel:WORD_1
	v_ashrrev_i32_e32 v119, s29, v119
	v_lshlrev_b32_e32 v121, 2, v121
	v_or_b32_sdwa v124, v124, v125 dst_sel:DWORD dst_unused:UNUSED_PAD src0_sel:BYTE_0 src1_sel:DWORD
	v_or_b32_sdwa v118, v120, v118 dst_sel:WORD_1 dst_unused:UNUSED_PAD src0_sel:BYTE_0 src1_sel:DWORD
	v_and_b32_e32 v120, 0x3030303, v119
	v_bfe_u32 v119, v119, 24, 2
	v_and_b32_e32 v121, 0x4040404, v121
	v_or_b32_sdwa v118, v124, v118 dst_sel:DWORD dst_unused:UNUSED_PAD src0_sel:WORD_0 src1_sel:DWORD
	v_sub_u16_e32 v123, v120, v121
	v_sub_u16_sdwa v124, v120, v121 dst_sel:BYTE_1 dst_unused:UNUSED_PAD src0_sel:BYTE_1 src1_sel:BYTE_1
	v_sub_u16_sdwa v119, v119, v121 dst_sel:BYTE_1 dst_unused:UNUSED_PAD src0_sel:DWORD src1_sel:BYTE_3
	v_sub_u16_sdwa v120, v120, v121 dst_sel:DWORD dst_unused:UNUSED_PAD src0_sel:WORD_1 src1_sel:WORD_1
	v_or_b32_sdwa v123, v123, v124 dst_sel:DWORD dst_unused:UNUSED_PAD src0_sel:BYTE_0 src1_sel:DWORD
	v_or_b32_sdwa v119, v120, v119 dst_sel:WORD_1 dst_unused:UNUSED_PAD src0_sel:BYTE_0 src1_sel:DWORD
	v_or_b32_sdwa v119, v123, v119 dst_sel:DWORD dst_unused:UNUSED_PAD src0_sel:WORD_0 src1_sel:DWORD
	ds_read2_b32 v[120:121], v113 offset0:6 offset1:7
	ds_read2_b32 v[122:123], v122 offset0:6 offset1:7
	v_dot4_i32_i8 v115, v118, v1, 0
	v_dot4_i32_i8 v115, v119, v2, v115
	s_add_i32 s2, s2, 2
	s_waitcnt lgkmcnt(1)
	v_ashrrev_i32_e32 v120, s29, v120
	s_waitcnt lgkmcnt(0)
	v_ashrrev_i32_e32 v122, s3, v122
	v_lshlrev_b32_e32 v122, 2, v122
	v_and_b32_e32 v124, 0x3030303, v120
	v_bfe_u32 v120, v120, 24, 2
	v_and_b32_e32 v122, 0x4040404, v122
	v_ashrrev_i32_e32 v123, s3, v123
	v_sub_u16_e32 v125, v124, v122
	v_sub_u16_sdwa v126, v124, v122 dst_sel:BYTE_1 dst_unused:UNUSED_PAD src0_sel:BYTE_1 src1_sel:BYTE_1
	v_sub_u16_sdwa v120, v120, v122 dst_sel:BYTE_1 dst_unused:UNUSED_PAD src0_sel:DWORD src1_sel:BYTE_3
	v_sub_u16_sdwa v122, v124, v122 dst_sel:DWORD dst_unused:UNUSED_PAD src0_sel:WORD_1 src1_sel:WORD_1
	v_ashrrev_i32_e32 v121, s29, v121
	v_lshlrev_b32_e32 v123, 2, v123
	v_or_b32_sdwa v125, v125, v126 dst_sel:DWORD dst_unused:UNUSED_PAD src0_sel:BYTE_0 src1_sel:DWORD
	v_or_b32_sdwa v120, v122, v120 dst_sel:WORD_1 dst_unused:UNUSED_PAD src0_sel:BYTE_0 src1_sel:DWORD
	v_and_b32_e32 v122, 0x3030303, v121
	v_bfe_u32 v121, v121, 24, 2
	v_and_b32_e32 v123, 0x4040404, v123
	v_or_b32_sdwa v120, v125, v120 dst_sel:DWORD dst_unused:UNUSED_PAD src0_sel:WORD_0 src1_sel:DWORD
	v_sub_u16_e32 v124, v122, v123
	v_sub_u16_sdwa v125, v122, v123 dst_sel:BYTE_1 dst_unused:UNUSED_PAD src0_sel:BYTE_1 src1_sel:BYTE_1
	v_sub_u16_sdwa v121, v121, v123 dst_sel:BYTE_1 dst_unused:UNUSED_PAD src0_sel:DWORD src1_sel:BYTE_3
	v_sub_u16_sdwa v122, v122, v123 dst_sel:DWORD dst_unused:UNUSED_PAD src0_sel:WORD_1 src1_sel:WORD_1
	v_or_b32_sdwa v121, v122, v121 dst_sel:WORD_1 dst_unused:UNUSED_PAD src0_sel:BYTE_0 src1_sel:DWORD
	v_add_u32_e32 v122, s28, v78
	v_add3_u32 v123, s17, v107, v108
	ds_read_b32 v123, v123
	ds_read_u16 v116, v122 offset:25346
	v_or_b32_sdwa v124, v124, v125 dst_sel:DWORD dst_unused:UNUSED_PAD src0_sel:BYTE_0 src1_sel:DWORD
	v_or_b32_sdwa v121, v124, v121 dst_sel:DWORD dst_unused:UNUSED_PAD src0_sel:WORD_0 src1_sel:DWORD
	v_dot4_i32_i8 v115, v120, v3, v115
	v_dot4_i32_i8 v115, v121, v4, v115
	s_waitcnt lgkmcnt(0)
	v_lshrrev_b16_e32 v117, 8, v116
	v_bfe_i32 v116, v116, 0, 8
	v_mul_lo_u32 v114, v114, v116
	v_bfe_i32 v117, v117, 0, 8
	v_add3_u32 v122, s30, v94, v95
	v_add_u32_e32 v111, 4, v111
	v_mad_u64_u32 v[114:115], s[34:35], v115, v117, v[114:115]
	v_mul_f32_e32 v115, v112, v123
	ds_read2_b32 v[116:117], v122 offset1:1
	v_cvt_f32_i32_e32 v114, v114
	v_add_u32_e32 v110, 32, v110
	v_fmac_f32_e32 v13, v115, v114
	v_add_u32_e32 v114, 0x1080, v113
	ds_read2_b32 v[114:115], v114 offset1:1
	s_waitcnt lgkmcnt(1)
	v_ashrrev_i32_e32 v116, s3, v116
	v_lshlrev_b32_e32 v116, 2, v116
	v_and_b32_e32 v116, 0x4040404, v116
	v_ashrrev_i32_e32 v117, s3, v117
	s_waitcnt lgkmcnt(0)
	v_ashrrev_i32_e32 v114, s29, v114
	v_and_b32_e32 v118, 0x3030303, v114
	v_bfe_u32 v114, v114, 24, 2
	v_sub_u16_e32 v119, v118, v116
	v_sub_u16_sdwa v120, v118, v116 dst_sel:BYTE_1 dst_unused:UNUSED_PAD src0_sel:BYTE_1 src1_sel:BYTE_1
	v_sub_u16_sdwa v114, v114, v116 dst_sel:BYTE_1 dst_unused:UNUSED_PAD src0_sel:DWORD src1_sel:BYTE_3
	v_sub_u16_sdwa v116, v118, v116 dst_sel:DWORD dst_unused:UNUSED_PAD src0_sel:WORD_1 src1_sel:WORD_1
	v_ashrrev_i32_e32 v115, s29, v115
	v_lshlrev_b32_e32 v117, 2, v117
	v_or_b32_sdwa v119, v119, v120 dst_sel:DWORD dst_unused:UNUSED_PAD src0_sel:BYTE_0 src1_sel:DWORD
	v_or_b32_sdwa v114, v116, v114 dst_sel:WORD_1 dst_unused:UNUSED_PAD src0_sel:BYTE_0 src1_sel:DWORD
	v_and_b32_e32 v116, 0x3030303, v115
	v_bfe_u32 v115, v115, 24, 2
	v_and_b32_e32 v117, 0x4040404, v117
	v_or_b32_sdwa v114, v119, v114 dst_sel:DWORD dst_unused:UNUSED_PAD src0_sel:WORD_0 src1_sel:DWORD
	v_sub_u16_e32 v118, v116, v117
	v_sub_u16_sdwa v119, v116, v117 dst_sel:BYTE_1 dst_unused:UNUSED_PAD src0_sel:BYTE_1 src1_sel:BYTE_1
	v_sub_u16_sdwa v115, v115, v117 dst_sel:BYTE_1 dst_unused:UNUSED_PAD src0_sel:DWORD src1_sel:BYTE_3
	v_sub_u16_sdwa v116, v116, v117 dst_sel:DWORD dst_unused:UNUSED_PAD src0_sel:WORD_1 src1_sel:WORD_1
	v_or_b32_sdwa v118, v118, v119 dst_sel:DWORD dst_unused:UNUSED_PAD src0_sel:BYTE_0 src1_sel:DWORD
	v_or_b32_sdwa v115, v116, v115 dst_sel:WORD_1 dst_unused:UNUSED_PAD src0_sel:BYTE_0 src1_sel:DWORD
	v_add_u32_e32 v116, 0x1088, v113
	v_or_b32_sdwa v115, v118, v115 dst_sel:DWORD dst_unused:UNUSED_PAD src0_sel:WORD_0 src1_sel:DWORD
	ds_read2_b32 v[116:117], v116 offset1:1
	ds_read2_b32 v[118:119], v122 offset0:2 offset1:3
	v_dot4_i32_i8 v114, v114, v5, 0
	v_dot4_i32_i8 v114, v115, v6, v114
	s_waitcnt lgkmcnt(1)
	v_ashrrev_i32_e32 v116, s29, v116
	s_waitcnt lgkmcnt(0)
	v_ashrrev_i32_e32 v118, s3, v118
	v_lshlrev_b32_e32 v118, 2, v118
	v_and_b32_e32 v120, 0x3030303, v116
	v_bfe_u32 v116, v116, 24, 2
	v_and_b32_e32 v118, 0x4040404, v118
	v_ashrrev_i32_e32 v119, s3, v119
	v_sub_u16_e32 v121, v120, v118
	v_sub_u16_sdwa v123, v120, v118 dst_sel:BYTE_1 dst_unused:UNUSED_PAD src0_sel:BYTE_1 src1_sel:BYTE_1
	v_sub_u16_sdwa v116, v116, v118 dst_sel:BYTE_1 dst_unused:UNUSED_PAD src0_sel:DWORD src1_sel:BYTE_3
	v_sub_u16_sdwa v118, v120, v118 dst_sel:DWORD dst_unused:UNUSED_PAD src0_sel:WORD_1 src1_sel:WORD_1
	v_ashrrev_i32_e32 v117, s29, v117
	v_lshlrev_b32_e32 v119, 2, v119
	v_or_b32_sdwa v121, v121, v123 dst_sel:DWORD dst_unused:UNUSED_PAD src0_sel:BYTE_0 src1_sel:DWORD
	v_or_b32_sdwa v116, v118, v116 dst_sel:WORD_1 dst_unused:UNUSED_PAD src0_sel:BYTE_0 src1_sel:DWORD
	v_and_b32_e32 v118, 0x3030303, v117
	v_bfe_u32 v117, v117, 24, 2
	v_and_b32_e32 v119, 0x4040404, v119
	v_or_b32_sdwa v116, v121, v116 dst_sel:DWORD dst_unused:UNUSED_PAD src0_sel:WORD_0 src1_sel:DWORD
	v_sub_u16_e32 v120, v118, v119
	v_sub_u16_sdwa v121, v118, v119 dst_sel:BYTE_1 dst_unused:UNUSED_PAD src0_sel:BYTE_1 src1_sel:BYTE_1
	v_sub_u16_sdwa v117, v117, v119 dst_sel:BYTE_1 dst_unused:UNUSED_PAD src0_sel:DWORD src1_sel:BYTE_3
	v_sub_u16_sdwa v118, v118, v119 dst_sel:DWORD dst_unused:UNUSED_PAD src0_sel:WORD_1 src1_sel:WORD_1
	v_or_b32_sdwa v120, v120, v121 dst_sel:DWORD dst_unused:UNUSED_PAD src0_sel:BYTE_0 src1_sel:DWORD
	v_or_b32_sdwa v117, v118, v117 dst_sel:WORD_1 dst_unused:UNUSED_PAD src0_sel:BYTE_0 src1_sel:DWORD
	v_add_u32_e32 v118, 0x1090, v113
	v_or_b32_sdwa v117, v120, v117 dst_sel:DWORD dst_unused:UNUSED_PAD src0_sel:WORD_0 src1_sel:DWORD
	ds_read2_b32 v[118:119], v118 offset1:1
	ds_read2_b32 v[120:121], v122 offset0:4 offset1:5
	v_dot4_i32_i8 v114, v116, v7, v114
	v_dot4_i32_i8 v114, v117, v8, v114
	s_waitcnt lgkmcnt(1)
	v_ashrrev_i32_e32 v118, s29, v118
	s_waitcnt lgkmcnt(0)
	v_ashrrev_i32_e32 v120, s3, v120
	v_lshlrev_b32_e32 v120, 2, v120
	v_and_b32_e32 v123, 0x3030303, v118
	v_bfe_u32 v118, v118, 24, 2
	v_and_b32_e32 v120, 0x4040404, v120
	v_ashrrev_i32_e32 v121, s3, v121
	;; [unrolled: 33-line block ×3, first 2 shown]
	v_sub_u16_e32 v125, v124, v122
	v_sub_u16_sdwa v126, v124, v122 dst_sel:BYTE_1 dst_unused:UNUSED_PAD src0_sel:BYTE_1 src1_sel:BYTE_1
	v_sub_u16_sdwa v120, v120, v122 dst_sel:BYTE_1 dst_unused:UNUSED_PAD src0_sel:DWORD src1_sel:BYTE_3
	v_sub_u16_sdwa v122, v124, v122 dst_sel:DWORD dst_unused:UNUSED_PAD src0_sel:WORD_1 src1_sel:WORD_1
	v_ashrrev_i32_e32 v121, s29, v121
	v_lshlrev_b32_e32 v123, 2, v123
	v_or_b32_sdwa v125, v125, v126 dst_sel:DWORD dst_unused:UNUSED_PAD src0_sel:BYTE_0 src1_sel:DWORD
	v_or_b32_sdwa v120, v122, v120 dst_sel:WORD_1 dst_unused:UNUSED_PAD src0_sel:BYTE_0 src1_sel:DWORD
	v_and_b32_e32 v122, 0x3030303, v121
	v_bfe_u32 v121, v121, 24, 2
	v_and_b32_e32 v123, 0x4040404, v123
	v_or_b32_sdwa v120, v125, v120 dst_sel:DWORD dst_unused:UNUSED_PAD src0_sel:WORD_0 src1_sel:DWORD
	v_sub_u16_e32 v124, v122, v123
	v_sub_u16_sdwa v125, v122, v123 dst_sel:BYTE_1 dst_unused:UNUSED_PAD src0_sel:BYTE_1 src1_sel:BYTE_1
	v_sub_u16_sdwa v121, v121, v123 dst_sel:BYTE_1 dst_unused:UNUSED_PAD src0_sel:DWORD src1_sel:BYTE_3
	v_sub_u16_sdwa v122, v122, v123 dst_sel:DWORD dst_unused:UNUSED_PAD src0_sel:WORD_1 src1_sel:WORD_1
	v_or_b32_sdwa v121, v122, v121 dst_sel:WORD_1 dst_unused:UNUSED_PAD src0_sel:BYTE_0 src1_sel:DWORD
	v_add_u32_e32 v122, s28, v76
	v_add3_u32 v123, s17, v96, v97
	ds_read_b32 v123, v123
	ds_read_u16 v116, v122 offset:26370
	v_or_b32_sdwa v124, v124, v125 dst_sel:DWORD dst_unused:UNUSED_PAD src0_sel:BYTE_0 src1_sel:DWORD
	v_or_b32_sdwa v121, v124, v121 dst_sel:DWORD dst_unused:UNUSED_PAD src0_sel:WORD_0 src1_sel:DWORD
	v_dot4_i32_i8 v115, v120, v3, v115
	v_dot4_i32_i8 v115, v121, v4, v115
	s_waitcnt lgkmcnt(0)
	v_lshrrev_b16_e32 v117, 8, v116
	v_bfe_i32 v116, v116, 0, 8
	v_mul_lo_u32 v114, v114, v116
	v_bfe_i32 v117, v117, 0, 8
	v_add3_u32 v122, s30, v98, v99
	v_mad_u64_u32 v[114:115], s[34:35], v115, v117, v[114:115]
	v_mul_f32_e32 v115, v112, v123
	ds_read2_b32 v[116:117], v122 offset1:1
	v_cvt_f32_i32_e32 v114, v114
	v_fmac_f32_e32 v68, v115, v114
	v_add_u32_e32 v114, 0x2100, v113
	ds_read2_b32 v[114:115], v114 offset1:1
	s_waitcnt lgkmcnt(1)
	v_ashrrev_i32_e32 v116, s3, v116
	v_lshlrev_b32_e32 v116, 2, v116
	v_and_b32_e32 v116, 0x4040404, v116
	v_ashrrev_i32_e32 v117, s3, v117
	s_waitcnt lgkmcnt(0)
	v_ashrrev_i32_e32 v114, s29, v114
	v_and_b32_e32 v118, 0x3030303, v114
	v_bfe_u32 v114, v114, 24, 2
	v_sub_u16_e32 v119, v118, v116
	v_sub_u16_sdwa v120, v118, v116 dst_sel:BYTE_1 dst_unused:UNUSED_PAD src0_sel:BYTE_1 src1_sel:BYTE_1
	v_sub_u16_sdwa v114, v114, v116 dst_sel:BYTE_1 dst_unused:UNUSED_PAD src0_sel:DWORD src1_sel:BYTE_3
	v_sub_u16_sdwa v116, v118, v116 dst_sel:DWORD dst_unused:UNUSED_PAD src0_sel:WORD_1 src1_sel:WORD_1
	v_ashrrev_i32_e32 v115, s29, v115
	v_lshlrev_b32_e32 v117, 2, v117
	v_or_b32_sdwa v119, v119, v120 dst_sel:DWORD dst_unused:UNUSED_PAD src0_sel:BYTE_0 src1_sel:DWORD
	v_or_b32_sdwa v114, v116, v114 dst_sel:WORD_1 dst_unused:UNUSED_PAD src0_sel:BYTE_0 src1_sel:DWORD
	v_and_b32_e32 v116, 0x3030303, v115
	v_bfe_u32 v115, v115, 24, 2
	v_and_b32_e32 v117, 0x4040404, v117
	v_or_b32_sdwa v114, v119, v114 dst_sel:DWORD dst_unused:UNUSED_PAD src0_sel:WORD_0 src1_sel:DWORD
	v_sub_u16_e32 v118, v116, v117
	v_sub_u16_sdwa v119, v116, v117 dst_sel:BYTE_1 dst_unused:UNUSED_PAD src0_sel:BYTE_1 src1_sel:BYTE_1
	v_sub_u16_sdwa v115, v115, v117 dst_sel:BYTE_1 dst_unused:UNUSED_PAD src0_sel:DWORD src1_sel:BYTE_3
	v_sub_u16_sdwa v116, v116, v117 dst_sel:DWORD dst_unused:UNUSED_PAD src0_sel:WORD_1 src1_sel:WORD_1
	v_or_b32_sdwa v118, v118, v119 dst_sel:DWORD dst_unused:UNUSED_PAD src0_sel:BYTE_0 src1_sel:DWORD
	v_or_b32_sdwa v115, v116, v115 dst_sel:WORD_1 dst_unused:UNUSED_PAD src0_sel:BYTE_0 src1_sel:DWORD
	v_add_u32_e32 v116, 0x2108, v113
	v_or_b32_sdwa v115, v118, v115 dst_sel:DWORD dst_unused:UNUSED_PAD src0_sel:WORD_0 src1_sel:DWORD
	ds_read2_b32 v[116:117], v116 offset1:1
	ds_read2_b32 v[118:119], v122 offset0:2 offset1:3
	v_dot4_i32_i8 v114, v114, v5, 0
	v_dot4_i32_i8 v114, v115, v6, v114
	s_waitcnt lgkmcnt(1)
	v_ashrrev_i32_e32 v116, s29, v116
	s_waitcnt lgkmcnt(0)
	v_ashrrev_i32_e32 v118, s3, v118
	v_lshlrev_b32_e32 v118, 2, v118
	v_and_b32_e32 v120, 0x3030303, v116
	v_bfe_u32 v116, v116, 24, 2
	v_and_b32_e32 v118, 0x4040404, v118
	v_ashrrev_i32_e32 v119, s3, v119
	v_sub_u16_e32 v121, v120, v118
	v_sub_u16_sdwa v123, v120, v118 dst_sel:BYTE_1 dst_unused:UNUSED_PAD src0_sel:BYTE_1 src1_sel:BYTE_1
	v_sub_u16_sdwa v116, v116, v118 dst_sel:BYTE_1 dst_unused:UNUSED_PAD src0_sel:DWORD src1_sel:BYTE_3
	v_sub_u16_sdwa v118, v120, v118 dst_sel:DWORD dst_unused:UNUSED_PAD src0_sel:WORD_1 src1_sel:WORD_1
	v_ashrrev_i32_e32 v117, s29, v117
	v_lshlrev_b32_e32 v119, 2, v119
	v_or_b32_sdwa v121, v121, v123 dst_sel:DWORD dst_unused:UNUSED_PAD src0_sel:BYTE_0 src1_sel:DWORD
	v_or_b32_sdwa v116, v118, v116 dst_sel:WORD_1 dst_unused:UNUSED_PAD src0_sel:BYTE_0 src1_sel:DWORD
	v_and_b32_e32 v118, 0x3030303, v117
	v_bfe_u32 v117, v117, 24, 2
	v_and_b32_e32 v119, 0x4040404, v119
	v_or_b32_sdwa v116, v121, v116 dst_sel:DWORD dst_unused:UNUSED_PAD src0_sel:WORD_0 src1_sel:DWORD
	v_sub_u16_e32 v120, v118, v119
	v_sub_u16_sdwa v121, v118, v119 dst_sel:BYTE_1 dst_unused:UNUSED_PAD src0_sel:BYTE_1 src1_sel:BYTE_1
	v_sub_u16_sdwa v117, v117, v119 dst_sel:BYTE_1 dst_unused:UNUSED_PAD src0_sel:DWORD src1_sel:BYTE_3
	v_sub_u16_sdwa v118, v118, v119 dst_sel:DWORD dst_unused:UNUSED_PAD src0_sel:WORD_1 src1_sel:WORD_1
	v_or_b32_sdwa v120, v120, v121 dst_sel:DWORD dst_unused:UNUSED_PAD src0_sel:BYTE_0 src1_sel:DWORD
	v_or_b32_sdwa v117, v118, v117 dst_sel:WORD_1 dst_unused:UNUSED_PAD src0_sel:BYTE_0 src1_sel:DWORD
	v_add_u32_e32 v118, 0x2110, v113
	v_or_b32_sdwa v117, v120, v117 dst_sel:DWORD dst_unused:UNUSED_PAD src0_sel:WORD_0 src1_sel:DWORD
	ds_read2_b32 v[118:119], v118 offset1:1
	ds_read2_b32 v[120:121], v122 offset0:4 offset1:5
	v_dot4_i32_i8 v114, v116, v7, v114
	v_dot4_i32_i8 v114, v117, v8, v114
	s_waitcnt lgkmcnt(1)
	v_ashrrev_i32_e32 v118, s29, v118
	s_waitcnt lgkmcnt(0)
	v_ashrrev_i32_e32 v120, s3, v120
	v_lshlrev_b32_e32 v120, 2, v120
	v_and_b32_e32 v123, 0x3030303, v118
	v_bfe_u32 v118, v118, 24, 2
	v_and_b32_e32 v120, 0x4040404, v120
	v_ashrrev_i32_e32 v121, s3, v121
	;; [unrolled: 33-line block ×3, first 2 shown]
	v_sub_u16_e32 v125, v124, v122
	v_sub_u16_sdwa v126, v124, v122 dst_sel:BYTE_1 dst_unused:UNUSED_PAD src0_sel:BYTE_1 src1_sel:BYTE_1
	v_sub_u16_sdwa v120, v120, v122 dst_sel:BYTE_1 dst_unused:UNUSED_PAD src0_sel:DWORD src1_sel:BYTE_3
	v_sub_u16_sdwa v122, v124, v122 dst_sel:DWORD dst_unused:UNUSED_PAD src0_sel:WORD_1 src1_sel:WORD_1
	v_ashrrev_i32_e32 v121, s29, v121
	v_lshlrev_b32_e32 v123, 2, v123
	v_or_b32_sdwa v125, v125, v126 dst_sel:DWORD dst_unused:UNUSED_PAD src0_sel:BYTE_0 src1_sel:DWORD
	v_or_b32_sdwa v120, v122, v120 dst_sel:WORD_1 dst_unused:UNUSED_PAD src0_sel:BYTE_0 src1_sel:DWORD
	v_and_b32_e32 v122, 0x3030303, v121
	v_bfe_u32 v121, v121, 24, 2
	v_and_b32_e32 v123, 0x4040404, v123
	v_or_b32_sdwa v120, v125, v120 dst_sel:DWORD dst_unused:UNUSED_PAD src0_sel:WORD_0 src1_sel:DWORD
	v_sub_u16_e32 v124, v122, v123
	v_sub_u16_sdwa v125, v122, v123 dst_sel:BYTE_1 dst_unused:UNUSED_PAD src0_sel:BYTE_1 src1_sel:BYTE_1
	v_sub_u16_sdwa v121, v121, v123 dst_sel:BYTE_1 dst_unused:UNUSED_PAD src0_sel:DWORD src1_sel:BYTE_3
	v_sub_u16_sdwa v122, v122, v123 dst_sel:DWORD dst_unused:UNUSED_PAD src0_sel:WORD_1 src1_sel:WORD_1
	v_or_b32_sdwa v121, v122, v121 dst_sel:WORD_1 dst_unused:UNUSED_PAD src0_sel:BYTE_0 src1_sel:DWORD
	v_add_u32_e32 v122, s28, v74
	v_add3_u32 v123, s17, v100, v101
	ds_read_b32 v123, v123
	ds_read_u16 v116, v122 offset:27394
	v_or_b32_sdwa v124, v124, v125 dst_sel:DWORD dst_unused:UNUSED_PAD src0_sel:BYTE_0 src1_sel:DWORD
	v_or_b32_sdwa v121, v124, v121 dst_sel:DWORD dst_unused:UNUSED_PAD src0_sel:WORD_0 src1_sel:DWORD
	v_dot4_i32_i8 v115, v120, v3, v115
	v_dot4_i32_i8 v115, v121, v4, v115
	s_waitcnt lgkmcnt(0)
	v_lshrrev_b16_e32 v117, 8, v116
	v_bfe_i32 v116, v116, 0, 8
	v_mul_lo_u32 v114, v114, v116
	v_bfe_i32 v117, v117, 0, 8
	v_add3_u32 v122, s30, v102, v103
	v_mad_u64_u32 v[114:115], s[34:35], v115, v117, v[114:115]
	v_mul_f32_e32 v115, v112, v123
	ds_read2_b32 v[116:117], v122 offset1:1
	v_cvt_f32_i32_e32 v114, v114
	v_fmac_f32_e32 v64, v115, v114
	v_add_u32_e32 v114, 0x3180, v113
	ds_read2_b32 v[114:115], v114 offset1:1
	s_waitcnt lgkmcnt(1)
	v_ashrrev_i32_e32 v116, s3, v116
	v_lshlrev_b32_e32 v116, 2, v116
	v_and_b32_e32 v116, 0x4040404, v116
	v_ashrrev_i32_e32 v117, s3, v117
	s_waitcnt lgkmcnt(0)
	v_ashrrev_i32_e32 v114, s29, v114
	v_and_b32_e32 v118, 0x3030303, v114
	v_bfe_u32 v114, v114, 24, 2
	v_sub_u16_e32 v119, v118, v116
	v_sub_u16_sdwa v120, v118, v116 dst_sel:BYTE_1 dst_unused:UNUSED_PAD src0_sel:BYTE_1 src1_sel:BYTE_1
	v_sub_u16_sdwa v114, v114, v116 dst_sel:BYTE_1 dst_unused:UNUSED_PAD src0_sel:DWORD src1_sel:BYTE_3
	v_sub_u16_sdwa v116, v118, v116 dst_sel:DWORD dst_unused:UNUSED_PAD src0_sel:WORD_1 src1_sel:WORD_1
	v_ashrrev_i32_e32 v115, s29, v115
	v_lshlrev_b32_e32 v117, 2, v117
	v_or_b32_sdwa v119, v119, v120 dst_sel:DWORD dst_unused:UNUSED_PAD src0_sel:BYTE_0 src1_sel:DWORD
	v_or_b32_sdwa v114, v116, v114 dst_sel:WORD_1 dst_unused:UNUSED_PAD src0_sel:BYTE_0 src1_sel:DWORD
	v_and_b32_e32 v116, 0x3030303, v115
	v_bfe_u32 v115, v115, 24, 2
	v_and_b32_e32 v117, 0x4040404, v117
	v_or_b32_sdwa v114, v119, v114 dst_sel:DWORD dst_unused:UNUSED_PAD src0_sel:WORD_0 src1_sel:DWORD
	v_sub_u16_e32 v118, v116, v117
	v_sub_u16_sdwa v119, v116, v117 dst_sel:BYTE_1 dst_unused:UNUSED_PAD src0_sel:BYTE_1 src1_sel:BYTE_1
	v_sub_u16_sdwa v115, v115, v117 dst_sel:BYTE_1 dst_unused:UNUSED_PAD src0_sel:DWORD src1_sel:BYTE_3
	v_sub_u16_sdwa v116, v116, v117 dst_sel:DWORD dst_unused:UNUSED_PAD src0_sel:WORD_1 src1_sel:WORD_1
	v_or_b32_sdwa v118, v118, v119 dst_sel:DWORD dst_unused:UNUSED_PAD src0_sel:BYTE_0 src1_sel:DWORD
	v_or_b32_sdwa v115, v116, v115 dst_sel:WORD_1 dst_unused:UNUSED_PAD src0_sel:BYTE_0 src1_sel:DWORD
	v_add_u32_e32 v116, 0x3188, v113
	v_or_b32_sdwa v115, v118, v115 dst_sel:DWORD dst_unused:UNUSED_PAD src0_sel:WORD_0 src1_sel:DWORD
	ds_read2_b32 v[116:117], v116 offset1:1
	ds_read2_b32 v[118:119], v122 offset0:2 offset1:3
	v_dot4_i32_i8 v5, v114, v5, 0
	v_dot4_i32_i8 v5, v115, v6, v5
	s_waitcnt lgkmcnt(1)
	v_ashrrev_i32_e32 v116, s29, v116
	s_waitcnt lgkmcnt(0)
	v_ashrrev_i32_e32 v118, s3, v118
	v_lshlrev_b32_e32 v118, 2, v118
	v_and_b32_e32 v120, 0x3030303, v116
	v_bfe_u32 v116, v116, 24, 2
	v_and_b32_e32 v118, 0x4040404, v118
	v_ashrrev_i32_e32 v119, s3, v119
	v_sub_u16_e32 v121, v120, v118
	v_sub_u16_sdwa v123, v120, v118 dst_sel:BYTE_1 dst_unused:UNUSED_PAD src0_sel:BYTE_1 src1_sel:BYTE_1
	v_sub_u16_sdwa v116, v116, v118 dst_sel:BYTE_1 dst_unused:UNUSED_PAD src0_sel:DWORD src1_sel:BYTE_3
	v_sub_u16_sdwa v118, v120, v118 dst_sel:DWORD dst_unused:UNUSED_PAD src0_sel:WORD_1 src1_sel:WORD_1
	v_ashrrev_i32_e32 v117, s29, v117
	v_lshlrev_b32_e32 v119, 2, v119
	v_or_b32_sdwa v121, v121, v123 dst_sel:DWORD dst_unused:UNUSED_PAD src0_sel:BYTE_0 src1_sel:DWORD
	v_or_b32_sdwa v116, v118, v116 dst_sel:WORD_1 dst_unused:UNUSED_PAD src0_sel:BYTE_0 src1_sel:DWORD
	v_and_b32_e32 v118, 0x3030303, v117
	v_bfe_u32 v117, v117, 24, 2
	v_and_b32_e32 v119, 0x4040404, v119
	v_or_b32_sdwa v116, v121, v116 dst_sel:DWORD dst_unused:UNUSED_PAD src0_sel:WORD_0 src1_sel:DWORD
	v_sub_u16_e32 v120, v118, v119
	v_sub_u16_sdwa v121, v118, v119 dst_sel:BYTE_1 dst_unused:UNUSED_PAD src0_sel:BYTE_1 src1_sel:BYTE_1
	v_sub_u16_sdwa v117, v117, v119 dst_sel:BYTE_1 dst_unused:UNUSED_PAD src0_sel:DWORD src1_sel:BYTE_3
	v_sub_u16_sdwa v118, v118, v119 dst_sel:DWORD dst_unused:UNUSED_PAD src0_sel:WORD_1 src1_sel:WORD_1
	v_or_b32_sdwa v120, v120, v121 dst_sel:DWORD dst_unused:UNUSED_PAD src0_sel:BYTE_0 src1_sel:DWORD
	v_or_b32_sdwa v117, v118, v117 dst_sel:WORD_1 dst_unused:UNUSED_PAD src0_sel:BYTE_0 src1_sel:DWORD
	v_add_u32_e32 v118, 0x3190, v113
	v_or_b32_sdwa v117, v120, v117 dst_sel:DWORD dst_unused:UNUSED_PAD src0_sel:WORD_0 src1_sel:DWORD
	ds_read2_b32 v[118:119], v118 offset1:1
	ds_read2_b32 v[120:121], v122 offset0:4 offset1:5
	v_add_u32_e32 v113, 0x3198, v113
	v_dot4_i32_i8 v5, v116, v7, v5
	v_dot4_i32_i8 v5, v117, v8, v5
	s_waitcnt lgkmcnt(1)
	v_ashrrev_i32_e32 v118, s29, v118
	s_waitcnt lgkmcnt(0)
	v_ashrrev_i32_e32 v120, s3, v120
	v_lshlrev_b32_e32 v120, 2, v120
	v_and_b32_e32 v123, 0x3030303, v118
	v_bfe_u32 v118, v118, 24, 2
	v_and_b32_e32 v120, 0x4040404, v120
	v_ashrrev_i32_e32 v121, s3, v121
	v_sub_u16_e32 v124, v123, v120
	v_sub_u16_sdwa v125, v123, v120 dst_sel:BYTE_1 dst_unused:UNUSED_PAD src0_sel:BYTE_1 src1_sel:BYTE_1
	v_sub_u16_sdwa v118, v118, v120 dst_sel:BYTE_1 dst_unused:UNUSED_PAD src0_sel:DWORD src1_sel:BYTE_3
	v_sub_u16_sdwa v120, v123, v120 dst_sel:DWORD dst_unused:UNUSED_PAD src0_sel:WORD_1 src1_sel:WORD_1
	v_ashrrev_i32_e32 v119, s29, v119
	v_lshlrev_b32_e32 v121, 2, v121
	v_or_b32_sdwa v124, v124, v125 dst_sel:DWORD dst_unused:UNUSED_PAD src0_sel:BYTE_0 src1_sel:DWORD
	v_or_b32_sdwa v118, v120, v118 dst_sel:WORD_1 dst_unused:UNUSED_PAD src0_sel:BYTE_0 src1_sel:DWORD
	v_and_b32_e32 v120, 0x3030303, v119
	v_bfe_u32 v119, v119, 24, 2
	v_and_b32_e32 v121, 0x4040404, v121
	v_or_b32_sdwa v118, v124, v118 dst_sel:DWORD dst_unused:UNUSED_PAD src0_sel:WORD_0 src1_sel:DWORD
	v_sub_u16_e32 v123, v120, v121
	v_sub_u16_sdwa v124, v120, v121 dst_sel:BYTE_1 dst_unused:UNUSED_PAD src0_sel:BYTE_1 src1_sel:BYTE_1
	v_sub_u16_sdwa v119, v119, v121 dst_sel:BYTE_1 dst_unused:UNUSED_PAD src0_sel:DWORD src1_sel:BYTE_3
	v_sub_u16_sdwa v120, v120, v121 dst_sel:DWORD dst_unused:UNUSED_PAD src0_sel:WORD_1 src1_sel:WORD_1
	v_or_b32_sdwa v123, v123, v124 dst_sel:DWORD dst_unused:UNUSED_PAD src0_sel:BYTE_0 src1_sel:DWORD
	v_or_b32_sdwa v119, v120, v119 dst_sel:WORD_1 dst_unused:UNUSED_PAD src0_sel:BYTE_0 src1_sel:DWORD
	v_or_b32_sdwa v119, v123, v119 dst_sel:DWORD dst_unused:UNUSED_PAD src0_sel:WORD_0 src1_sel:DWORD
	ds_read2_b32 v[120:121], v113 offset1:1
	ds_read2_b32 v[122:123], v122 offset0:6 offset1:7
	v_dot4_i32_i8 v1, v118, v1, 0
	v_dot4_i32_i8 v1, v119, v2, v1
	s_waitcnt lgkmcnt(1)
	v_ashrrev_i32_e32 v113, s29, v120
	s_waitcnt lgkmcnt(0)
	v_ashrrev_i32_e32 v122, s3, v122
	v_lshlrev_b32_e32 v122, 2, v122
	v_and_b32_e32 v120, 0x3030303, v113
	v_bfe_u32 v113, v113, 24, 2
	v_and_b32_e32 v122, 0x4040404, v122
	v_sub_u16_e32 v124, v120, v122
	v_sub_u16_sdwa v125, v120, v122 dst_sel:BYTE_1 dst_unused:UNUSED_PAD src0_sel:BYTE_1 src1_sel:BYTE_1
	v_sub_u16_sdwa v113, v113, v122 dst_sel:BYTE_1 dst_unused:UNUSED_PAD src0_sel:DWORD src1_sel:BYTE_3
	v_sub_u16_sdwa v120, v120, v122 dst_sel:DWORD dst_unused:UNUSED_PAD src0_sel:WORD_1 src1_sel:WORD_1
	v_ashrrev_i32_e32 v122, s3, v123
	v_or_b32_sdwa v113, v120, v113 dst_sel:WORD_1 dst_unused:UNUSED_PAD src0_sel:BYTE_0 src1_sel:DWORD
	v_ashrrev_i32_e32 v120, s29, v121
	v_lshlrev_b32_e32 v122, 2, v122
	v_or_b32_sdwa v124, v124, v125 dst_sel:DWORD dst_unused:UNUSED_PAD src0_sel:BYTE_0 src1_sel:DWORD
	v_and_b32_e32 v121, 0x3030303, v120
	v_bfe_u32 v120, v120, 24, 2
	v_and_b32_e32 v122, 0x4040404, v122
	v_or_b32_sdwa v113, v124, v113 dst_sel:DWORD dst_unused:UNUSED_PAD src0_sel:WORD_0 src1_sel:DWORD
	v_sub_u16_e32 v123, v121, v122
	v_sub_u16_sdwa v124, v121, v122 dst_sel:BYTE_1 dst_unused:UNUSED_PAD src0_sel:BYTE_1 src1_sel:BYTE_1
	v_sub_u16_sdwa v120, v120, v122 dst_sel:BYTE_1 dst_unused:UNUSED_PAD src0_sel:DWORD src1_sel:BYTE_3
	v_sub_u16_sdwa v121, v121, v122 dst_sel:DWORD dst_unused:UNUSED_PAD src0_sel:WORD_1 src1_sel:WORD_1
	v_or_b32_sdwa v123, v123, v124 dst_sel:DWORD dst_unused:UNUSED_PAD src0_sel:BYTE_0 src1_sel:DWORD
	v_or_b32_sdwa v120, v121, v120 dst_sel:WORD_1 dst_unused:UNUSED_PAD src0_sel:BYTE_0 src1_sel:DWORD
	v_or_b32_sdwa v120, v123, v120 dst_sel:DWORD dst_unused:UNUSED_PAD src0_sel:WORD_0 src1_sel:DWORD
	v_add_u32_e32 v122, s28, v72
	v_add3_u32 v121, s17, v104, v105
	v_dot4_i32_i8 v1, v113, v3, v1
	ds_read_b32 v121, v121
	v_dot4_i32_i8 v2, v120, v4, v1
	ds_read_u16 v1, v122 offset:28418
	s_add_i32 s3, s3, 1
	s_cmp_lt_u32 s16, 14
	s_mov_b32 s17, s16
	s_waitcnt lgkmcnt(0)
	v_lshrrev_b16_e32 v3, 8, v1
	v_bfe_i32 v1, v1, 0, 8
	v_mul_lo_u32 v1, v5, v1
	v_bfe_i32 v3, v3, 0, 8
	v_mad_u64_u32 v[1:2], s[28:29], v2, v3, v[1:2]
	v_mul_f32_e32 v2, v112, v121
	v_cvt_f32_i32_e32 v1, v1
	v_fmac_f32_e32 v9, v2, v1
	s_cbranch_scc1 .LBB209_19
; %bb.20:                               ;   in Loop: Header=BB209_5 Depth=1
	s_or_b32 s2, s26, 0x100
	s_cmp_ge_i32 s2, s15
	s_barrier
	s_cbranch_scc1 .LBB209_4
; %bb.21:                               ;   in Loop: Header=BB209_5 Depth=1
	v_add_u32_e32 v1, s27, v66
	v_cmp_gt_i32_e64 s[2:3], s9, v1
	s_and_b64 s[16:17], s[0:1], s[2:3]
	s_and_saveexec_b64 s[2:3], s[16:17]
	s_cbranch_execz .LBB209_23
; %bb.22:                               ;   in Loop: Header=BB209_5 Depth=1
	v_add_u32_e32 v1, v69, v1
	v_mad_i64_i32 v[1:2], s[16:17], v1, 36, v[10:11]
	global_load_dword v1, v[1:2], off offset:4
	s_waitcnt vmcnt(0)
	ds_write_b32 v61, v1
.LBB209_23:                             ;   in Loop: Header=BB209_5 Depth=1
	s_or_b64 exec, exec, s[2:3]
	s_and_saveexec_b64 s[16:17], vcc
	s_cbranch_execz .LBB209_26
; %bb.24:                               ;   in Loop: Header=BB209_5 Depth=1
	v_or_b32_e32 v1, 8, v109
	v_cmp_gt_i32_e64 s[2:3], s9, v1
	s_and_b64 s[2:3], s[0:1], s[2:3]
	s_and_b64 exec, exec, s[2:3]
	s_cbranch_execz .LBB209_26
; %bb.25:                               ;   in Loop: Header=BB209_5 Depth=1
	v_ashrrev_i32_e32 v1, 31, v109
	v_add_co_u32_e64 v2, s[2:3], v69, v109
	v_addc_co_u32_e64 v3, s[2:3], v71, v1, s[2:3]
	v_mad_u64_u32 v[1:2], s[2:3], v2, 36, s[6:7]
	v_mad_i32_i24 v2, v3, 36, v2
	global_load_dword v1, v[1:2], off offset:288
	s_waitcnt vmcnt(0)
	v_cvt_f32_f16_e32 v1, v1
	ds_write_b32 v63, v1
.LBB209_26:                             ;   in Loop: Header=BB209_5 Depth=1
	s_or_b64 exec, exec, s[16:17]
	s_mov_b32 s2, 16
	s_mov_b32 s17, 14
	;; [unrolled: 1-line block ×3, first 2 shown]
	v_mov_b32_e32 v110, v60
	v_mov_b32_e32 v111, v62
	s_waitcnt lgkmcnt(0)
	s_barrier
.LBB209_27:                             ;   Parent Loop BB209_5 Depth=1
                                        ; =>  This Inner Loop Header: Depth=2
	s_add_i32 s16, s17, 2
	s_lshr_b32 s31, s16, 4
	s_and_b32 s30, s16, 0x3ffffff8
	v_lshl_add_u32 v113, s30, 2, v70
	s_lshl_b32 s30, s31, 5
	s_addk_i32 s30, 0x4200
	v_add3_u32 v122, s30, v106, v93
	ds_read_b32 v112, v111
	ds_read_b128 v[5:8], v110
	ds_read_b128 v[1:4], v110 offset:16
	ds_read2_b32 v[114:115], v113 offset1:1
	ds_read2_b32 v[116:117], v122 offset1:1
	s_add_i32 s29, s17, -14
	s_and_b32 s28, s2, -16
	s_add_i32 s28, s17, s28
	s_waitcnt lgkmcnt(1)
	v_ashrrev_i32_e32 v114, s29, v114
	s_waitcnt lgkmcnt(0)
	v_ashrrev_i32_e32 v116, s3, v116
	v_lshlrev_b32_e32 v116, 2, v116
	v_and_b32_e32 v118, 0x3030303, v114
	v_bfe_u32 v114, v114, 24, 2
	v_and_b32_e32 v116, 0x4040404, v116
	v_ashrrev_i32_e32 v117, s3, v117
	v_sub_u16_e32 v119, v118, v116
	v_sub_u16_sdwa v120, v118, v116 dst_sel:BYTE_1 dst_unused:UNUSED_PAD src0_sel:BYTE_1 src1_sel:BYTE_1
	v_sub_u16_sdwa v114, v114, v116 dst_sel:BYTE_1 dst_unused:UNUSED_PAD src0_sel:DWORD src1_sel:BYTE_3
	v_sub_u16_sdwa v116, v118, v116 dst_sel:DWORD dst_unused:UNUSED_PAD src0_sel:WORD_1 src1_sel:WORD_1
	v_ashrrev_i32_e32 v115, s29, v115
	v_lshlrev_b32_e32 v117, 2, v117
	v_or_b32_sdwa v119, v119, v120 dst_sel:DWORD dst_unused:UNUSED_PAD src0_sel:BYTE_0 src1_sel:DWORD
	v_or_b32_sdwa v114, v116, v114 dst_sel:WORD_1 dst_unused:UNUSED_PAD src0_sel:BYTE_0 src1_sel:DWORD
	v_and_b32_e32 v116, 0x3030303, v115
	v_bfe_u32 v115, v115, 24, 2
	v_and_b32_e32 v117, 0x4040404, v117
	v_or_b32_sdwa v114, v119, v114 dst_sel:DWORD dst_unused:UNUSED_PAD src0_sel:WORD_0 src1_sel:DWORD
	v_sub_u16_e32 v118, v116, v117
	v_sub_u16_sdwa v119, v116, v117 dst_sel:BYTE_1 dst_unused:UNUSED_PAD src0_sel:BYTE_1 src1_sel:BYTE_1
	v_sub_u16_sdwa v115, v115, v117 dst_sel:BYTE_1 dst_unused:UNUSED_PAD src0_sel:DWORD src1_sel:BYTE_3
	v_sub_u16_sdwa v116, v116, v117 dst_sel:DWORD dst_unused:UNUSED_PAD src0_sel:WORD_1 src1_sel:WORD_1
	v_or_b32_sdwa v118, v118, v119 dst_sel:DWORD dst_unused:UNUSED_PAD src0_sel:BYTE_0 src1_sel:DWORD
	v_or_b32_sdwa v115, v116, v115 dst_sel:WORD_1 dst_unused:UNUSED_PAD src0_sel:BYTE_0 src1_sel:DWORD
	v_or_b32_sdwa v115, v118, v115 dst_sel:DWORD dst_unused:UNUSED_PAD src0_sel:WORD_0 src1_sel:DWORD
	ds_read2_b32 v[116:117], v113 offset0:2 offset1:3
	ds_read2_b32 v[118:119], v122 offset0:2 offset1:3
	s_lshl_b32 s17, s31, 2
	s_addk_i32 s17, 0x7380
	v_dot4_i32_i8 v114, v114, v5, 0
	s_waitcnt lgkmcnt(1)
	v_ashrrev_i32_e32 v116, s29, v116
	s_waitcnt lgkmcnt(0)
	v_ashrrev_i32_e32 v118, s3, v118
	v_lshlrev_b32_e32 v118, 2, v118
	v_and_b32_e32 v120, 0x3030303, v116
	v_bfe_u32 v116, v116, 24, 2
	v_and_b32_e32 v118, 0x4040404, v118
	v_ashrrev_i32_e32 v119, s3, v119
	v_sub_u16_e32 v121, v120, v118
	v_sub_u16_sdwa v123, v120, v118 dst_sel:BYTE_1 dst_unused:UNUSED_PAD src0_sel:BYTE_1 src1_sel:BYTE_1
	v_sub_u16_sdwa v116, v116, v118 dst_sel:BYTE_1 dst_unused:UNUSED_PAD src0_sel:DWORD src1_sel:BYTE_3
	v_sub_u16_sdwa v118, v120, v118 dst_sel:DWORD dst_unused:UNUSED_PAD src0_sel:WORD_1 src1_sel:WORD_1
	v_ashrrev_i32_e32 v117, s29, v117
	v_lshlrev_b32_e32 v119, 2, v119
	v_or_b32_sdwa v121, v121, v123 dst_sel:DWORD dst_unused:UNUSED_PAD src0_sel:BYTE_0 src1_sel:DWORD
	v_or_b32_sdwa v116, v118, v116 dst_sel:WORD_1 dst_unused:UNUSED_PAD src0_sel:BYTE_0 src1_sel:DWORD
	v_and_b32_e32 v118, 0x3030303, v117
	v_bfe_u32 v117, v117, 24, 2
	v_and_b32_e32 v119, 0x4040404, v119
	v_or_b32_sdwa v116, v121, v116 dst_sel:DWORD dst_unused:UNUSED_PAD src0_sel:WORD_0 src1_sel:DWORD
	v_sub_u16_e32 v120, v118, v119
	v_sub_u16_sdwa v121, v118, v119 dst_sel:BYTE_1 dst_unused:UNUSED_PAD src0_sel:BYTE_1 src1_sel:BYTE_1
	v_sub_u16_sdwa v117, v117, v119 dst_sel:BYTE_1 dst_unused:UNUSED_PAD src0_sel:DWORD src1_sel:BYTE_3
	v_sub_u16_sdwa v118, v118, v119 dst_sel:DWORD dst_unused:UNUSED_PAD src0_sel:WORD_1 src1_sel:WORD_1
	v_or_b32_sdwa v120, v120, v121 dst_sel:DWORD dst_unused:UNUSED_PAD src0_sel:BYTE_0 src1_sel:DWORD
	v_or_b32_sdwa v117, v118, v117 dst_sel:WORD_1 dst_unused:UNUSED_PAD src0_sel:BYTE_0 src1_sel:DWORD
	v_or_b32_sdwa v117, v120, v117 dst_sel:DWORD dst_unused:UNUSED_PAD src0_sel:WORD_0 src1_sel:DWORD
	ds_read2_b32 v[118:119], v113 offset0:4 offset1:5
	ds_read2_b32 v[120:121], v122 offset0:4 offset1:5
	v_dot4_i32_i8 v114, v115, v6, v114
	v_dot4_i32_i8 v114, v116, v7, v114
	v_dot4_i32_i8 v114, v117, v8, v114
	s_waitcnt lgkmcnt(1)
	v_ashrrev_i32_e32 v118, s29, v118
	s_waitcnt lgkmcnt(0)
	v_ashrrev_i32_e32 v120, s3, v120
	v_lshlrev_b32_e32 v120, 2, v120
	v_and_b32_e32 v123, 0x3030303, v118
	v_bfe_u32 v118, v118, 24, 2
	v_and_b32_e32 v120, 0x4040404, v120
	v_ashrrev_i32_e32 v121, s3, v121
	v_sub_u16_e32 v124, v123, v120
	v_sub_u16_sdwa v125, v123, v120 dst_sel:BYTE_1 dst_unused:UNUSED_PAD src0_sel:BYTE_1 src1_sel:BYTE_1
	v_sub_u16_sdwa v118, v118, v120 dst_sel:BYTE_1 dst_unused:UNUSED_PAD src0_sel:DWORD src1_sel:BYTE_3
	v_sub_u16_sdwa v120, v123, v120 dst_sel:DWORD dst_unused:UNUSED_PAD src0_sel:WORD_1 src1_sel:WORD_1
	v_ashrrev_i32_e32 v119, s29, v119
	v_lshlrev_b32_e32 v121, 2, v121
	v_or_b32_sdwa v124, v124, v125 dst_sel:DWORD dst_unused:UNUSED_PAD src0_sel:BYTE_0 src1_sel:DWORD
	v_or_b32_sdwa v118, v120, v118 dst_sel:WORD_1 dst_unused:UNUSED_PAD src0_sel:BYTE_0 src1_sel:DWORD
	v_and_b32_e32 v120, 0x3030303, v119
	v_bfe_u32 v119, v119, 24, 2
	v_and_b32_e32 v121, 0x4040404, v121
	v_or_b32_sdwa v118, v124, v118 dst_sel:DWORD dst_unused:UNUSED_PAD src0_sel:WORD_0 src1_sel:DWORD
	v_sub_u16_e32 v123, v120, v121
	v_sub_u16_sdwa v124, v120, v121 dst_sel:BYTE_1 dst_unused:UNUSED_PAD src0_sel:BYTE_1 src1_sel:BYTE_1
	v_sub_u16_sdwa v119, v119, v121 dst_sel:BYTE_1 dst_unused:UNUSED_PAD src0_sel:DWORD src1_sel:BYTE_3
	v_sub_u16_sdwa v120, v120, v121 dst_sel:DWORD dst_unused:UNUSED_PAD src0_sel:WORD_1 src1_sel:WORD_1
	v_or_b32_sdwa v123, v123, v124 dst_sel:DWORD dst_unused:UNUSED_PAD src0_sel:BYTE_0 src1_sel:DWORD
	v_or_b32_sdwa v119, v120, v119 dst_sel:WORD_1 dst_unused:UNUSED_PAD src0_sel:BYTE_0 src1_sel:DWORD
	v_or_b32_sdwa v119, v123, v119 dst_sel:DWORD dst_unused:UNUSED_PAD src0_sel:WORD_0 src1_sel:DWORD
	ds_read2_b32 v[120:121], v113 offset0:6 offset1:7
	ds_read2_b32 v[122:123], v122 offset0:6 offset1:7
	v_dot4_i32_i8 v115, v118, v1, 0
	v_dot4_i32_i8 v115, v119, v2, v115
	s_add_i32 s2, s2, 2
	s_waitcnt lgkmcnt(1)
	v_ashrrev_i32_e32 v120, s29, v120
	s_waitcnt lgkmcnt(0)
	v_ashrrev_i32_e32 v122, s3, v122
	v_lshlrev_b32_e32 v122, 2, v122
	v_and_b32_e32 v124, 0x3030303, v120
	v_bfe_u32 v120, v120, 24, 2
	v_and_b32_e32 v122, 0x4040404, v122
	v_ashrrev_i32_e32 v123, s3, v123
	v_sub_u16_e32 v125, v124, v122
	v_sub_u16_sdwa v126, v124, v122 dst_sel:BYTE_1 dst_unused:UNUSED_PAD src0_sel:BYTE_1 src1_sel:BYTE_1
	v_sub_u16_sdwa v120, v120, v122 dst_sel:BYTE_1 dst_unused:UNUSED_PAD src0_sel:DWORD src1_sel:BYTE_3
	v_sub_u16_sdwa v122, v124, v122 dst_sel:DWORD dst_unused:UNUSED_PAD src0_sel:WORD_1 src1_sel:WORD_1
	v_ashrrev_i32_e32 v121, s29, v121
	v_lshlrev_b32_e32 v123, 2, v123
	v_or_b32_sdwa v125, v125, v126 dst_sel:DWORD dst_unused:UNUSED_PAD src0_sel:BYTE_0 src1_sel:DWORD
	v_or_b32_sdwa v120, v122, v120 dst_sel:WORD_1 dst_unused:UNUSED_PAD src0_sel:BYTE_0 src1_sel:DWORD
	v_and_b32_e32 v122, 0x3030303, v121
	v_bfe_u32 v121, v121, 24, 2
	v_and_b32_e32 v123, 0x4040404, v123
	v_or_b32_sdwa v120, v125, v120 dst_sel:DWORD dst_unused:UNUSED_PAD src0_sel:WORD_0 src1_sel:DWORD
	v_sub_u16_e32 v124, v122, v123
	v_sub_u16_sdwa v125, v122, v123 dst_sel:BYTE_1 dst_unused:UNUSED_PAD src0_sel:BYTE_1 src1_sel:BYTE_1
	v_sub_u16_sdwa v121, v121, v123 dst_sel:BYTE_1 dst_unused:UNUSED_PAD src0_sel:DWORD src1_sel:BYTE_3
	v_sub_u16_sdwa v122, v122, v123 dst_sel:DWORD dst_unused:UNUSED_PAD src0_sel:WORD_1 src1_sel:WORD_1
	v_or_b32_sdwa v121, v122, v121 dst_sel:WORD_1 dst_unused:UNUSED_PAD src0_sel:BYTE_0 src1_sel:DWORD
	v_add_u32_e32 v122, s28, v78
	v_add3_u32 v123, s17, v107, v108
	ds_read_b32 v123, v123
	ds_read_u16 v116, v122 offset:25330
	v_or_b32_sdwa v124, v124, v125 dst_sel:DWORD dst_unused:UNUSED_PAD src0_sel:BYTE_0 src1_sel:DWORD
	v_or_b32_sdwa v121, v124, v121 dst_sel:DWORD dst_unused:UNUSED_PAD src0_sel:WORD_0 src1_sel:DWORD
	v_dot4_i32_i8 v115, v120, v3, v115
	v_dot4_i32_i8 v115, v121, v4, v115
	s_waitcnt lgkmcnt(0)
	v_lshrrev_b16_e32 v117, 8, v116
	v_bfe_i32 v116, v116, 0, 8
	v_mul_lo_u32 v114, v114, v116
	v_bfe_i32 v117, v117, 0, 8
	v_add3_u32 v122, s30, v94, v95
	v_add_u32_e32 v111, 4, v111
	v_mad_u64_u32 v[114:115], s[34:35], v115, v117, v[114:115]
	v_mul_f32_e32 v115, v112, v123
	ds_read2_b32 v[116:117], v122 offset1:1
	v_cvt_f32_i32_e32 v114, v114
	v_add_u32_e32 v110, 32, v110
	v_fmac_f32_e32 v13, v115, v114
	v_add_u32_e32 v114, 0x1080, v113
	ds_read2_b32 v[114:115], v114 offset1:1
	s_waitcnt lgkmcnt(1)
	v_ashrrev_i32_e32 v116, s3, v116
	v_lshlrev_b32_e32 v116, 2, v116
	v_and_b32_e32 v116, 0x4040404, v116
	v_ashrrev_i32_e32 v117, s3, v117
	s_waitcnt lgkmcnt(0)
	v_ashrrev_i32_e32 v114, s29, v114
	v_and_b32_e32 v118, 0x3030303, v114
	v_bfe_u32 v114, v114, 24, 2
	v_sub_u16_e32 v119, v118, v116
	v_sub_u16_sdwa v120, v118, v116 dst_sel:BYTE_1 dst_unused:UNUSED_PAD src0_sel:BYTE_1 src1_sel:BYTE_1
	v_sub_u16_sdwa v114, v114, v116 dst_sel:BYTE_1 dst_unused:UNUSED_PAD src0_sel:DWORD src1_sel:BYTE_3
	v_sub_u16_sdwa v116, v118, v116 dst_sel:DWORD dst_unused:UNUSED_PAD src0_sel:WORD_1 src1_sel:WORD_1
	v_ashrrev_i32_e32 v115, s29, v115
	v_lshlrev_b32_e32 v117, 2, v117
	v_or_b32_sdwa v119, v119, v120 dst_sel:DWORD dst_unused:UNUSED_PAD src0_sel:BYTE_0 src1_sel:DWORD
	v_or_b32_sdwa v114, v116, v114 dst_sel:WORD_1 dst_unused:UNUSED_PAD src0_sel:BYTE_0 src1_sel:DWORD
	v_and_b32_e32 v116, 0x3030303, v115
	v_bfe_u32 v115, v115, 24, 2
	v_and_b32_e32 v117, 0x4040404, v117
	v_or_b32_sdwa v114, v119, v114 dst_sel:DWORD dst_unused:UNUSED_PAD src0_sel:WORD_0 src1_sel:DWORD
	v_sub_u16_e32 v118, v116, v117
	v_sub_u16_sdwa v119, v116, v117 dst_sel:BYTE_1 dst_unused:UNUSED_PAD src0_sel:BYTE_1 src1_sel:BYTE_1
	v_sub_u16_sdwa v115, v115, v117 dst_sel:BYTE_1 dst_unused:UNUSED_PAD src0_sel:DWORD src1_sel:BYTE_3
	v_sub_u16_sdwa v116, v116, v117 dst_sel:DWORD dst_unused:UNUSED_PAD src0_sel:WORD_1 src1_sel:WORD_1
	v_or_b32_sdwa v118, v118, v119 dst_sel:DWORD dst_unused:UNUSED_PAD src0_sel:BYTE_0 src1_sel:DWORD
	v_or_b32_sdwa v115, v116, v115 dst_sel:WORD_1 dst_unused:UNUSED_PAD src0_sel:BYTE_0 src1_sel:DWORD
	v_add_u32_e32 v116, 0x1088, v113
	v_or_b32_sdwa v115, v118, v115 dst_sel:DWORD dst_unused:UNUSED_PAD src0_sel:WORD_0 src1_sel:DWORD
	ds_read2_b32 v[116:117], v116 offset1:1
	ds_read2_b32 v[118:119], v122 offset0:2 offset1:3
	v_dot4_i32_i8 v114, v114, v5, 0
	v_dot4_i32_i8 v114, v115, v6, v114
	s_waitcnt lgkmcnt(1)
	v_ashrrev_i32_e32 v116, s29, v116
	s_waitcnt lgkmcnt(0)
	v_ashrrev_i32_e32 v118, s3, v118
	v_lshlrev_b32_e32 v118, 2, v118
	v_and_b32_e32 v120, 0x3030303, v116
	v_bfe_u32 v116, v116, 24, 2
	v_and_b32_e32 v118, 0x4040404, v118
	v_ashrrev_i32_e32 v119, s3, v119
	v_sub_u16_e32 v121, v120, v118
	v_sub_u16_sdwa v123, v120, v118 dst_sel:BYTE_1 dst_unused:UNUSED_PAD src0_sel:BYTE_1 src1_sel:BYTE_1
	v_sub_u16_sdwa v116, v116, v118 dst_sel:BYTE_1 dst_unused:UNUSED_PAD src0_sel:DWORD src1_sel:BYTE_3
	v_sub_u16_sdwa v118, v120, v118 dst_sel:DWORD dst_unused:UNUSED_PAD src0_sel:WORD_1 src1_sel:WORD_1
	v_ashrrev_i32_e32 v117, s29, v117
	v_lshlrev_b32_e32 v119, 2, v119
	v_or_b32_sdwa v121, v121, v123 dst_sel:DWORD dst_unused:UNUSED_PAD src0_sel:BYTE_0 src1_sel:DWORD
	v_or_b32_sdwa v116, v118, v116 dst_sel:WORD_1 dst_unused:UNUSED_PAD src0_sel:BYTE_0 src1_sel:DWORD
	v_and_b32_e32 v118, 0x3030303, v117
	v_bfe_u32 v117, v117, 24, 2
	v_and_b32_e32 v119, 0x4040404, v119
	v_or_b32_sdwa v116, v121, v116 dst_sel:DWORD dst_unused:UNUSED_PAD src0_sel:WORD_0 src1_sel:DWORD
	v_sub_u16_e32 v120, v118, v119
	v_sub_u16_sdwa v121, v118, v119 dst_sel:BYTE_1 dst_unused:UNUSED_PAD src0_sel:BYTE_1 src1_sel:BYTE_1
	v_sub_u16_sdwa v117, v117, v119 dst_sel:BYTE_1 dst_unused:UNUSED_PAD src0_sel:DWORD src1_sel:BYTE_3
	v_sub_u16_sdwa v118, v118, v119 dst_sel:DWORD dst_unused:UNUSED_PAD src0_sel:WORD_1 src1_sel:WORD_1
	v_or_b32_sdwa v120, v120, v121 dst_sel:DWORD dst_unused:UNUSED_PAD src0_sel:BYTE_0 src1_sel:DWORD
	v_or_b32_sdwa v117, v118, v117 dst_sel:WORD_1 dst_unused:UNUSED_PAD src0_sel:BYTE_0 src1_sel:DWORD
	v_add_u32_e32 v118, 0x1090, v113
	v_or_b32_sdwa v117, v120, v117 dst_sel:DWORD dst_unused:UNUSED_PAD src0_sel:WORD_0 src1_sel:DWORD
	ds_read2_b32 v[118:119], v118 offset1:1
	ds_read2_b32 v[120:121], v122 offset0:4 offset1:5
	v_dot4_i32_i8 v114, v116, v7, v114
	v_dot4_i32_i8 v114, v117, v8, v114
	s_waitcnt lgkmcnt(1)
	v_ashrrev_i32_e32 v118, s29, v118
	s_waitcnt lgkmcnt(0)
	v_ashrrev_i32_e32 v120, s3, v120
	v_lshlrev_b32_e32 v120, 2, v120
	v_and_b32_e32 v123, 0x3030303, v118
	v_bfe_u32 v118, v118, 24, 2
	v_and_b32_e32 v120, 0x4040404, v120
	v_ashrrev_i32_e32 v121, s3, v121
	;; [unrolled: 33-line block ×3, first 2 shown]
	v_sub_u16_e32 v125, v124, v122
	v_sub_u16_sdwa v126, v124, v122 dst_sel:BYTE_1 dst_unused:UNUSED_PAD src0_sel:BYTE_1 src1_sel:BYTE_1
	v_sub_u16_sdwa v120, v120, v122 dst_sel:BYTE_1 dst_unused:UNUSED_PAD src0_sel:DWORD src1_sel:BYTE_3
	v_sub_u16_sdwa v122, v124, v122 dst_sel:DWORD dst_unused:UNUSED_PAD src0_sel:WORD_1 src1_sel:WORD_1
	v_ashrrev_i32_e32 v121, s29, v121
	v_lshlrev_b32_e32 v123, 2, v123
	v_or_b32_sdwa v125, v125, v126 dst_sel:DWORD dst_unused:UNUSED_PAD src0_sel:BYTE_0 src1_sel:DWORD
	v_or_b32_sdwa v120, v122, v120 dst_sel:WORD_1 dst_unused:UNUSED_PAD src0_sel:BYTE_0 src1_sel:DWORD
	v_and_b32_e32 v122, 0x3030303, v121
	v_bfe_u32 v121, v121, 24, 2
	v_and_b32_e32 v123, 0x4040404, v123
	v_or_b32_sdwa v120, v125, v120 dst_sel:DWORD dst_unused:UNUSED_PAD src0_sel:WORD_0 src1_sel:DWORD
	v_sub_u16_e32 v124, v122, v123
	v_sub_u16_sdwa v125, v122, v123 dst_sel:BYTE_1 dst_unused:UNUSED_PAD src0_sel:BYTE_1 src1_sel:BYTE_1
	v_sub_u16_sdwa v121, v121, v123 dst_sel:BYTE_1 dst_unused:UNUSED_PAD src0_sel:DWORD src1_sel:BYTE_3
	v_sub_u16_sdwa v122, v122, v123 dst_sel:DWORD dst_unused:UNUSED_PAD src0_sel:WORD_1 src1_sel:WORD_1
	v_or_b32_sdwa v121, v122, v121 dst_sel:WORD_1 dst_unused:UNUSED_PAD src0_sel:BYTE_0 src1_sel:DWORD
	v_add_u32_e32 v122, s28, v76
	v_add3_u32 v123, s17, v96, v97
	ds_read_b32 v123, v123
	ds_read_u16 v116, v122 offset:26354
	v_or_b32_sdwa v124, v124, v125 dst_sel:DWORD dst_unused:UNUSED_PAD src0_sel:BYTE_0 src1_sel:DWORD
	v_or_b32_sdwa v121, v124, v121 dst_sel:DWORD dst_unused:UNUSED_PAD src0_sel:WORD_0 src1_sel:DWORD
	v_dot4_i32_i8 v115, v120, v3, v115
	v_dot4_i32_i8 v115, v121, v4, v115
	s_waitcnt lgkmcnt(0)
	v_lshrrev_b16_e32 v117, 8, v116
	v_bfe_i32 v116, v116, 0, 8
	v_mul_lo_u32 v114, v114, v116
	v_bfe_i32 v117, v117, 0, 8
	v_add3_u32 v122, s30, v98, v99
	v_mad_u64_u32 v[114:115], s[34:35], v115, v117, v[114:115]
	v_mul_f32_e32 v115, v112, v123
	ds_read2_b32 v[116:117], v122 offset1:1
	v_cvt_f32_i32_e32 v114, v114
	v_fmac_f32_e32 v68, v115, v114
	v_add_u32_e32 v114, 0x2100, v113
	ds_read2_b32 v[114:115], v114 offset1:1
	s_waitcnt lgkmcnt(1)
	v_ashrrev_i32_e32 v116, s3, v116
	v_lshlrev_b32_e32 v116, 2, v116
	v_and_b32_e32 v116, 0x4040404, v116
	v_ashrrev_i32_e32 v117, s3, v117
	s_waitcnt lgkmcnt(0)
	v_ashrrev_i32_e32 v114, s29, v114
	v_and_b32_e32 v118, 0x3030303, v114
	v_bfe_u32 v114, v114, 24, 2
	v_sub_u16_e32 v119, v118, v116
	v_sub_u16_sdwa v120, v118, v116 dst_sel:BYTE_1 dst_unused:UNUSED_PAD src0_sel:BYTE_1 src1_sel:BYTE_1
	v_sub_u16_sdwa v114, v114, v116 dst_sel:BYTE_1 dst_unused:UNUSED_PAD src0_sel:DWORD src1_sel:BYTE_3
	v_sub_u16_sdwa v116, v118, v116 dst_sel:DWORD dst_unused:UNUSED_PAD src0_sel:WORD_1 src1_sel:WORD_1
	v_ashrrev_i32_e32 v115, s29, v115
	v_lshlrev_b32_e32 v117, 2, v117
	v_or_b32_sdwa v119, v119, v120 dst_sel:DWORD dst_unused:UNUSED_PAD src0_sel:BYTE_0 src1_sel:DWORD
	v_or_b32_sdwa v114, v116, v114 dst_sel:WORD_1 dst_unused:UNUSED_PAD src0_sel:BYTE_0 src1_sel:DWORD
	v_and_b32_e32 v116, 0x3030303, v115
	v_bfe_u32 v115, v115, 24, 2
	v_and_b32_e32 v117, 0x4040404, v117
	v_or_b32_sdwa v114, v119, v114 dst_sel:DWORD dst_unused:UNUSED_PAD src0_sel:WORD_0 src1_sel:DWORD
	v_sub_u16_e32 v118, v116, v117
	v_sub_u16_sdwa v119, v116, v117 dst_sel:BYTE_1 dst_unused:UNUSED_PAD src0_sel:BYTE_1 src1_sel:BYTE_1
	v_sub_u16_sdwa v115, v115, v117 dst_sel:BYTE_1 dst_unused:UNUSED_PAD src0_sel:DWORD src1_sel:BYTE_3
	v_sub_u16_sdwa v116, v116, v117 dst_sel:DWORD dst_unused:UNUSED_PAD src0_sel:WORD_1 src1_sel:WORD_1
	v_or_b32_sdwa v118, v118, v119 dst_sel:DWORD dst_unused:UNUSED_PAD src0_sel:BYTE_0 src1_sel:DWORD
	v_or_b32_sdwa v115, v116, v115 dst_sel:WORD_1 dst_unused:UNUSED_PAD src0_sel:BYTE_0 src1_sel:DWORD
	v_add_u32_e32 v116, 0x2108, v113
	v_or_b32_sdwa v115, v118, v115 dst_sel:DWORD dst_unused:UNUSED_PAD src0_sel:WORD_0 src1_sel:DWORD
	ds_read2_b32 v[116:117], v116 offset1:1
	ds_read2_b32 v[118:119], v122 offset0:2 offset1:3
	v_dot4_i32_i8 v114, v114, v5, 0
	v_dot4_i32_i8 v114, v115, v6, v114
	s_waitcnt lgkmcnt(1)
	v_ashrrev_i32_e32 v116, s29, v116
	s_waitcnt lgkmcnt(0)
	v_ashrrev_i32_e32 v118, s3, v118
	v_lshlrev_b32_e32 v118, 2, v118
	v_and_b32_e32 v120, 0x3030303, v116
	v_bfe_u32 v116, v116, 24, 2
	v_and_b32_e32 v118, 0x4040404, v118
	v_ashrrev_i32_e32 v119, s3, v119
	v_sub_u16_e32 v121, v120, v118
	v_sub_u16_sdwa v123, v120, v118 dst_sel:BYTE_1 dst_unused:UNUSED_PAD src0_sel:BYTE_1 src1_sel:BYTE_1
	v_sub_u16_sdwa v116, v116, v118 dst_sel:BYTE_1 dst_unused:UNUSED_PAD src0_sel:DWORD src1_sel:BYTE_3
	v_sub_u16_sdwa v118, v120, v118 dst_sel:DWORD dst_unused:UNUSED_PAD src0_sel:WORD_1 src1_sel:WORD_1
	v_ashrrev_i32_e32 v117, s29, v117
	v_lshlrev_b32_e32 v119, 2, v119
	v_or_b32_sdwa v121, v121, v123 dst_sel:DWORD dst_unused:UNUSED_PAD src0_sel:BYTE_0 src1_sel:DWORD
	v_or_b32_sdwa v116, v118, v116 dst_sel:WORD_1 dst_unused:UNUSED_PAD src0_sel:BYTE_0 src1_sel:DWORD
	v_and_b32_e32 v118, 0x3030303, v117
	v_bfe_u32 v117, v117, 24, 2
	v_and_b32_e32 v119, 0x4040404, v119
	v_or_b32_sdwa v116, v121, v116 dst_sel:DWORD dst_unused:UNUSED_PAD src0_sel:WORD_0 src1_sel:DWORD
	v_sub_u16_e32 v120, v118, v119
	v_sub_u16_sdwa v121, v118, v119 dst_sel:BYTE_1 dst_unused:UNUSED_PAD src0_sel:BYTE_1 src1_sel:BYTE_1
	v_sub_u16_sdwa v117, v117, v119 dst_sel:BYTE_1 dst_unused:UNUSED_PAD src0_sel:DWORD src1_sel:BYTE_3
	v_sub_u16_sdwa v118, v118, v119 dst_sel:DWORD dst_unused:UNUSED_PAD src0_sel:WORD_1 src1_sel:WORD_1
	v_or_b32_sdwa v120, v120, v121 dst_sel:DWORD dst_unused:UNUSED_PAD src0_sel:BYTE_0 src1_sel:DWORD
	v_or_b32_sdwa v117, v118, v117 dst_sel:WORD_1 dst_unused:UNUSED_PAD src0_sel:BYTE_0 src1_sel:DWORD
	v_add_u32_e32 v118, 0x2110, v113
	v_or_b32_sdwa v117, v120, v117 dst_sel:DWORD dst_unused:UNUSED_PAD src0_sel:WORD_0 src1_sel:DWORD
	ds_read2_b32 v[118:119], v118 offset1:1
	ds_read2_b32 v[120:121], v122 offset0:4 offset1:5
	v_dot4_i32_i8 v114, v116, v7, v114
	v_dot4_i32_i8 v114, v117, v8, v114
	s_waitcnt lgkmcnt(1)
	v_ashrrev_i32_e32 v118, s29, v118
	s_waitcnt lgkmcnt(0)
	v_ashrrev_i32_e32 v120, s3, v120
	v_lshlrev_b32_e32 v120, 2, v120
	v_and_b32_e32 v123, 0x3030303, v118
	v_bfe_u32 v118, v118, 24, 2
	v_and_b32_e32 v120, 0x4040404, v120
	v_ashrrev_i32_e32 v121, s3, v121
	v_sub_u16_e32 v124, v123, v120
	v_sub_u16_sdwa v125, v123, v120 dst_sel:BYTE_1 dst_unused:UNUSED_PAD src0_sel:BYTE_1 src1_sel:BYTE_1
	v_sub_u16_sdwa v118, v118, v120 dst_sel:BYTE_1 dst_unused:UNUSED_PAD src0_sel:DWORD src1_sel:BYTE_3
	v_sub_u16_sdwa v120, v123, v120 dst_sel:DWORD dst_unused:UNUSED_PAD src0_sel:WORD_1 src1_sel:WORD_1
	v_ashrrev_i32_e32 v119, s29, v119
	v_lshlrev_b32_e32 v121, 2, v121
	v_or_b32_sdwa v124, v124, v125 dst_sel:DWORD dst_unused:UNUSED_PAD src0_sel:BYTE_0 src1_sel:DWORD
	v_or_b32_sdwa v118, v120, v118 dst_sel:WORD_1 dst_unused:UNUSED_PAD src0_sel:BYTE_0 src1_sel:DWORD
	v_and_b32_e32 v120, 0x3030303, v119
	v_bfe_u32 v119, v119, 24, 2
	v_and_b32_e32 v121, 0x4040404, v121
	v_or_b32_sdwa v118, v124, v118 dst_sel:DWORD dst_unused:UNUSED_PAD src0_sel:WORD_0 src1_sel:DWORD
	v_sub_u16_e32 v123, v120, v121
	v_sub_u16_sdwa v124, v120, v121 dst_sel:BYTE_1 dst_unused:UNUSED_PAD src0_sel:BYTE_1 src1_sel:BYTE_1
	v_sub_u16_sdwa v119, v119, v121 dst_sel:BYTE_1 dst_unused:UNUSED_PAD src0_sel:DWORD src1_sel:BYTE_3
	v_sub_u16_sdwa v120, v120, v121 dst_sel:DWORD dst_unused:UNUSED_PAD src0_sel:WORD_1 src1_sel:WORD_1
	v_or_b32_sdwa v123, v123, v124 dst_sel:DWORD dst_unused:UNUSED_PAD src0_sel:BYTE_0 src1_sel:DWORD
	v_or_b32_sdwa v119, v120, v119 dst_sel:WORD_1 dst_unused:UNUSED_PAD src0_sel:BYTE_0 src1_sel:DWORD
	v_add_u32_e32 v120, 0x2118, v113
	v_or_b32_sdwa v119, v123, v119 dst_sel:DWORD dst_unused:UNUSED_PAD src0_sel:WORD_0 src1_sel:DWORD
	ds_read2_b32 v[120:121], v120 offset1:1
	ds_read2_b32 v[122:123], v122 offset0:6 offset1:7
	v_dot4_i32_i8 v115, v118, v1, 0
	v_dot4_i32_i8 v115, v119, v2, v115
	s_waitcnt lgkmcnt(1)
	v_ashrrev_i32_e32 v120, s29, v120
	s_waitcnt lgkmcnt(0)
	v_ashrrev_i32_e32 v122, s3, v122
	v_lshlrev_b32_e32 v122, 2, v122
	v_and_b32_e32 v124, 0x3030303, v120
	v_bfe_u32 v120, v120, 24, 2
	v_and_b32_e32 v122, 0x4040404, v122
	v_ashrrev_i32_e32 v123, s3, v123
	v_sub_u16_e32 v125, v124, v122
	v_sub_u16_sdwa v126, v124, v122 dst_sel:BYTE_1 dst_unused:UNUSED_PAD src0_sel:BYTE_1 src1_sel:BYTE_1
	v_sub_u16_sdwa v120, v120, v122 dst_sel:BYTE_1 dst_unused:UNUSED_PAD src0_sel:DWORD src1_sel:BYTE_3
	v_sub_u16_sdwa v122, v124, v122 dst_sel:DWORD dst_unused:UNUSED_PAD src0_sel:WORD_1 src1_sel:WORD_1
	v_ashrrev_i32_e32 v121, s29, v121
	v_lshlrev_b32_e32 v123, 2, v123
	v_or_b32_sdwa v125, v125, v126 dst_sel:DWORD dst_unused:UNUSED_PAD src0_sel:BYTE_0 src1_sel:DWORD
	v_or_b32_sdwa v120, v122, v120 dst_sel:WORD_1 dst_unused:UNUSED_PAD src0_sel:BYTE_0 src1_sel:DWORD
	v_and_b32_e32 v122, 0x3030303, v121
	v_bfe_u32 v121, v121, 24, 2
	v_and_b32_e32 v123, 0x4040404, v123
	v_or_b32_sdwa v120, v125, v120 dst_sel:DWORD dst_unused:UNUSED_PAD src0_sel:WORD_0 src1_sel:DWORD
	v_sub_u16_e32 v124, v122, v123
	v_sub_u16_sdwa v125, v122, v123 dst_sel:BYTE_1 dst_unused:UNUSED_PAD src0_sel:BYTE_1 src1_sel:BYTE_1
	v_sub_u16_sdwa v121, v121, v123 dst_sel:BYTE_1 dst_unused:UNUSED_PAD src0_sel:DWORD src1_sel:BYTE_3
	v_sub_u16_sdwa v122, v122, v123 dst_sel:DWORD dst_unused:UNUSED_PAD src0_sel:WORD_1 src1_sel:WORD_1
	v_or_b32_sdwa v121, v122, v121 dst_sel:WORD_1 dst_unused:UNUSED_PAD src0_sel:BYTE_0 src1_sel:DWORD
	v_add_u32_e32 v122, s28, v74
	v_add3_u32 v123, s17, v100, v101
	ds_read_b32 v123, v123
	ds_read_u16 v116, v122 offset:27378
	v_or_b32_sdwa v124, v124, v125 dst_sel:DWORD dst_unused:UNUSED_PAD src0_sel:BYTE_0 src1_sel:DWORD
	v_or_b32_sdwa v121, v124, v121 dst_sel:DWORD dst_unused:UNUSED_PAD src0_sel:WORD_0 src1_sel:DWORD
	v_dot4_i32_i8 v115, v120, v3, v115
	v_dot4_i32_i8 v115, v121, v4, v115
	s_waitcnt lgkmcnt(0)
	v_lshrrev_b16_e32 v117, 8, v116
	v_bfe_i32 v116, v116, 0, 8
	v_mul_lo_u32 v114, v114, v116
	v_bfe_i32 v117, v117, 0, 8
	v_add3_u32 v122, s30, v102, v103
	v_mad_u64_u32 v[114:115], s[34:35], v115, v117, v[114:115]
	v_mul_f32_e32 v115, v112, v123
	ds_read2_b32 v[116:117], v122 offset1:1
	v_cvt_f32_i32_e32 v114, v114
	v_fmac_f32_e32 v64, v115, v114
	v_add_u32_e32 v114, 0x3180, v113
	ds_read2_b32 v[114:115], v114 offset1:1
	s_waitcnt lgkmcnt(1)
	v_ashrrev_i32_e32 v116, s3, v116
	v_lshlrev_b32_e32 v116, 2, v116
	v_and_b32_e32 v116, 0x4040404, v116
	v_ashrrev_i32_e32 v117, s3, v117
	s_waitcnt lgkmcnt(0)
	v_ashrrev_i32_e32 v114, s29, v114
	v_and_b32_e32 v118, 0x3030303, v114
	v_bfe_u32 v114, v114, 24, 2
	v_sub_u16_e32 v119, v118, v116
	v_sub_u16_sdwa v120, v118, v116 dst_sel:BYTE_1 dst_unused:UNUSED_PAD src0_sel:BYTE_1 src1_sel:BYTE_1
	v_sub_u16_sdwa v114, v114, v116 dst_sel:BYTE_1 dst_unused:UNUSED_PAD src0_sel:DWORD src1_sel:BYTE_3
	v_sub_u16_sdwa v116, v118, v116 dst_sel:DWORD dst_unused:UNUSED_PAD src0_sel:WORD_1 src1_sel:WORD_1
	v_ashrrev_i32_e32 v115, s29, v115
	v_lshlrev_b32_e32 v117, 2, v117
	v_or_b32_sdwa v119, v119, v120 dst_sel:DWORD dst_unused:UNUSED_PAD src0_sel:BYTE_0 src1_sel:DWORD
	v_or_b32_sdwa v114, v116, v114 dst_sel:WORD_1 dst_unused:UNUSED_PAD src0_sel:BYTE_0 src1_sel:DWORD
	v_and_b32_e32 v116, 0x3030303, v115
	v_bfe_u32 v115, v115, 24, 2
	v_and_b32_e32 v117, 0x4040404, v117
	v_or_b32_sdwa v114, v119, v114 dst_sel:DWORD dst_unused:UNUSED_PAD src0_sel:WORD_0 src1_sel:DWORD
	v_sub_u16_e32 v118, v116, v117
	v_sub_u16_sdwa v119, v116, v117 dst_sel:BYTE_1 dst_unused:UNUSED_PAD src0_sel:BYTE_1 src1_sel:BYTE_1
	v_sub_u16_sdwa v115, v115, v117 dst_sel:BYTE_1 dst_unused:UNUSED_PAD src0_sel:DWORD src1_sel:BYTE_3
	v_sub_u16_sdwa v116, v116, v117 dst_sel:DWORD dst_unused:UNUSED_PAD src0_sel:WORD_1 src1_sel:WORD_1
	v_or_b32_sdwa v118, v118, v119 dst_sel:DWORD dst_unused:UNUSED_PAD src0_sel:BYTE_0 src1_sel:DWORD
	v_or_b32_sdwa v115, v116, v115 dst_sel:WORD_1 dst_unused:UNUSED_PAD src0_sel:BYTE_0 src1_sel:DWORD
	v_add_u32_e32 v116, 0x3188, v113
	v_or_b32_sdwa v115, v118, v115 dst_sel:DWORD dst_unused:UNUSED_PAD src0_sel:WORD_0 src1_sel:DWORD
	ds_read2_b32 v[116:117], v116 offset1:1
	ds_read2_b32 v[118:119], v122 offset0:2 offset1:3
	v_dot4_i32_i8 v5, v114, v5, 0
	v_dot4_i32_i8 v5, v115, v6, v5
	s_waitcnt lgkmcnt(1)
	v_ashrrev_i32_e32 v116, s29, v116
	s_waitcnt lgkmcnt(0)
	v_ashrrev_i32_e32 v118, s3, v118
	v_lshlrev_b32_e32 v118, 2, v118
	v_and_b32_e32 v120, 0x3030303, v116
	v_bfe_u32 v116, v116, 24, 2
	v_and_b32_e32 v118, 0x4040404, v118
	v_ashrrev_i32_e32 v119, s3, v119
	v_sub_u16_e32 v121, v120, v118
	v_sub_u16_sdwa v123, v120, v118 dst_sel:BYTE_1 dst_unused:UNUSED_PAD src0_sel:BYTE_1 src1_sel:BYTE_1
	v_sub_u16_sdwa v116, v116, v118 dst_sel:BYTE_1 dst_unused:UNUSED_PAD src0_sel:DWORD src1_sel:BYTE_3
	v_sub_u16_sdwa v118, v120, v118 dst_sel:DWORD dst_unused:UNUSED_PAD src0_sel:WORD_1 src1_sel:WORD_1
	v_ashrrev_i32_e32 v117, s29, v117
	v_lshlrev_b32_e32 v119, 2, v119
	v_or_b32_sdwa v121, v121, v123 dst_sel:DWORD dst_unused:UNUSED_PAD src0_sel:BYTE_0 src1_sel:DWORD
	v_or_b32_sdwa v116, v118, v116 dst_sel:WORD_1 dst_unused:UNUSED_PAD src0_sel:BYTE_0 src1_sel:DWORD
	v_and_b32_e32 v118, 0x3030303, v117
	v_bfe_u32 v117, v117, 24, 2
	v_and_b32_e32 v119, 0x4040404, v119
	v_or_b32_sdwa v116, v121, v116 dst_sel:DWORD dst_unused:UNUSED_PAD src0_sel:WORD_0 src1_sel:DWORD
	v_sub_u16_e32 v120, v118, v119
	v_sub_u16_sdwa v121, v118, v119 dst_sel:BYTE_1 dst_unused:UNUSED_PAD src0_sel:BYTE_1 src1_sel:BYTE_1
	v_sub_u16_sdwa v117, v117, v119 dst_sel:BYTE_1 dst_unused:UNUSED_PAD src0_sel:DWORD src1_sel:BYTE_3
	v_sub_u16_sdwa v118, v118, v119 dst_sel:DWORD dst_unused:UNUSED_PAD src0_sel:WORD_1 src1_sel:WORD_1
	v_or_b32_sdwa v120, v120, v121 dst_sel:DWORD dst_unused:UNUSED_PAD src0_sel:BYTE_0 src1_sel:DWORD
	v_or_b32_sdwa v117, v118, v117 dst_sel:WORD_1 dst_unused:UNUSED_PAD src0_sel:BYTE_0 src1_sel:DWORD
	v_add_u32_e32 v118, 0x3190, v113
	v_or_b32_sdwa v117, v120, v117 dst_sel:DWORD dst_unused:UNUSED_PAD src0_sel:WORD_0 src1_sel:DWORD
	ds_read2_b32 v[118:119], v118 offset1:1
	ds_read2_b32 v[120:121], v122 offset0:4 offset1:5
	v_add_u32_e32 v113, 0x3198, v113
	v_dot4_i32_i8 v5, v116, v7, v5
	v_dot4_i32_i8 v5, v117, v8, v5
	s_waitcnt lgkmcnt(1)
	v_ashrrev_i32_e32 v118, s29, v118
	s_waitcnt lgkmcnt(0)
	v_ashrrev_i32_e32 v120, s3, v120
	v_lshlrev_b32_e32 v120, 2, v120
	v_and_b32_e32 v123, 0x3030303, v118
	v_bfe_u32 v118, v118, 24, 2
	v_and_b32_e32 v120, 0x4040404, v120
	v_ashrrev_i32_e32 v121, s3, v121
	v_sub_u16_e32 v124, v123, v120
	v_sub_u16_sdwa v125, v123, v120 dst_sel:BYTE_1 dst_unused:UNUSED_PAD src0_sel:BYTE_1 src1_sel:BYTE_1
	v_sub_u16_sdwa v118, v118, v120 dst_sel:BYTE_1 dst_unused:UNUSED_PAD src0_sel:DWORD src1_sel:BYTE_3
	v_sub_u16_sdwa v120, v123, v120 dst_sel:DWORD dst_unused:UNUSED_PAD src0_sel:WORD_1 src1_sel:WORD_1
	v_ashrrev_i32_e32 v119, s29, v119
	v_lshlrev_b32_e32 v121, 2, v121
	v_or_b32_sdwa v124, v124, v125 dst_sel:DWORD dst_unused:UNUSED_PAD src0_sel:BYTE_0 src1_sel:DWORD
	v_or_b32_sdwa v118, v120, v118 dst_sel:WORD_1 dst_unused:UNUSED_PAD src0_sel:BYTE_0 src1_sel:DWORD
	v_and_b32_e32 v120, 0x3030303, v119
	v_bfe_u32 v119, v119, 24, 2
	v_and_b32_e32 v121, 0x4040404, v121
	v_or_b32_sdwa v118, v124, v118 dst_sel:DWORD dst_unused:UNUSED_PAD src0_sel:WORD_0 src1_sel:DWORD
	v_sub_u16_e32 v123, v120, v121
	v_sub_u16_sdwa v124, v120, v121 dst_sel:BYTE_1 dst_unused:UNUSED_PAD src0_sel:BYTE_1 src1_sel:BYTE_1
	v_sub_u16_sdwa v119, v119, v121 dst_sel:BYTE_1 dst_unused:UNUSED_PAD src0_sel:DWORD src1_sel:BYTE_3
	v_sub_u16_sdwa v120, v120, v121 dst_sel:DWORD dst_unused:UNUSED_PAD src0_sel:WORD_1 src1_sel:WORD_1
	v_or_b32_sdwa v123, v123, v124 dst_sel:DWORD dst_unused:UNUSED_PAD src0_sel:BYTE_0 src1_sel:DWORD
	v_or_b32_sdwa v119, v120, v119 dst_sel:WORD_1 dst_unused:UNUSED_PAD src0_sel:BYTE_0 src1_sel:DWORD
	v_or_b32_sdwa v119, v123, v119 dst_sel:DWORD dst_unused:UNUSED_PAD src0_sel:WORD_0 src1_sel:DWORD
	ds_read2_b32 v[120:121], v113 offset1:1
	ds_read2_b32 v[122:123], v122 offset0:6 offset1:7
	v_dot4_i32_i8 v1, v118, v1, 0
	v_dot4_i32_i8 v1, v119, v2, v1
	s_waitcnt lgkmcnt(1)
	v_ashrrev_i32_e32 v113, s29, v120
	s_waitcnt lgkmcnt(0)
	v_ashrrev_i32_e32 v122, s3, v122
	v_lshlrev_b32_e32 v122, 2, v122
	v_and_b32_e32 v120, 0x3030303, v113
	v_bfe_u32 v113, v113, 24, 2
	v_and_b32_e32 v122, 0x4040404, v122
	v_sub_u16_e32 v124, v120, v122
	v_sub_u16_sdwa v125, v120, v122 dst_sel:BYTE_1 dst_unused:UNUSED_PAD src0_sel:BYTE_1 src1_sel:BYTE_1
	v_sub_u16_sdwa v113, v113, v122 dst_sel:BYTE_1 dst_unused:UNUSED_PAD src0_sel:DWORD src1_sel:BYTE_3
	v_sub_u16_sdwa v120, v120, v122 dst_sel:DWORD dst_unused:UNUSED_PAD src0_sel:WORD_1 src1_sel:WORD_1
	v_ashrrev_i32_e32 v122, s3, v123
	v_or_b32_sdwa v113, v120, v113 dst_sel:WORD_1 dst_unused:UNUSED_PAD src0_sel:BYTE_0 src1_sel:DWORD
	v_ashrrev_i32_e32 v120, s29, v121
	v_lshlrev_b32_e32 v122, 2, v122
	v_or_b32_sdwa v124, v124, v125 dst_sel:DWORD dst_unused:UNUSED_PAD src0_sel:BYTE_0 src1_sel:DWORD
	v_and_b32_e32 v121, 0x3030303, v120
	v_bfe_u32 v120, v120, 24, 2
	v_and_b32_e32 v122, 0x4040404, v122
	v_or_b32_sdwa v113, v124, v113 dst_sel:DWORD dst_unused:UNUSED_PAD src0_sel:WORD_0 src1_sel:DWORD
	v_sub_u16_e32 v123, v121, v122
	v_sub_u16_sdwa v124, v121, v122 dst_sel:BYTE_1 dst_unused:UNUSED_PAD src0_sel:BYTE_1 src1_sel:BYTE_1
	v_sub_u16_sdwa v120, v120, v122 dst_sel:BYTE_1 dst_unused:UNUSED_PAD src0_sel:DWORD src1_sel:BYTE_3
	v_sub_u16_sdwa v121, v121, v122 dst_sel:DWORD dst_unused:UNUSED_PAD src0_sel:WORD_1 src1_sel:WORD_1
	v_or_b32_sdwa v123, v123, v124 dst_sel:DWORD dst_unused:UNUSED_PAD src0_sel:BYTE_0 src1_sel:DWORD
	v_or_b32_sdwa v120, v121, v120 dst_sel:WORD_1 dst_unused:UNUSED_PAD src0_sel:BYTE_0 src1_sel:DWORD
	v_or_b32_sdwa v120, v123, v120 dst_sel:DWORD dst_unused:UNUSED_PAD src0_sel:WORD_0 src1_sel:DWORD
	v_add_u32_e32 v122, s28, v72
	v_add3_u32 v121, s17, v104, v105
	v_dot4_i32_i8 v1, v113, v3, v1
	ds_read_b32 v121, v121
	v_dot4_i32_i8 v2, v120, v4, v1
	ds_read_u16 v1, v122 offset:28402
	s_add_i32 s3, s3, 1
	s_cmp_lt_u32 s16, 22
	s_mov_b32 s17, s16
	s_waitcnt lgkmcnt(0)
	v_lshrrev_b16_e32 v3, 8, v1
	v_bfe_i32 v1, v1, 0, 8
	v_mul_lo_u32 v1, v5, v1
	v_bfe_i32 v3, v3, 0, 8
	v_mad_u64_u32 v[1:2], s[28:29], v2, v3, v[1:2]
	v_mul_f32_e32 v2, v112, v121
	v_cvt_f32_i32_e32 v1, v1
	v_fmac_f32_e32 v9, v2, v1
	s_cbranch_scc1 .LBB209_27
; %bb.28:                               ;   in Loop: Header=BB209_5 Depth=1
	s_or_b32 s2, s26, 0x180
	s_cmp_ge_i32 s2, s15
	s_barrier
	s_cbranch_scc1 .LBB209_4
; %bb.29:                               ;   in Loop: Header=BB209_5 Depth=1
	v_add_u32_e32 v1, s27, v67
	v_cmp_gt_i32_e64 s[2:3], s9, v1
	s_and_b64 s[16:17], s[0:1], s[2:3]
	s_and_saveexec_b64 s[2:3], s[16:17]
	s_cbranch_execz .LBB209_31
; %bb.30:                               ;   in Loop: Header=BB209_5 Depth=1
	v_add_u32_e32 v1, v69, v1
	v_mad_i64_i32 v[1:2], s[16:17], v1, 36, v[10:11]
	global_load_dword v1, v[1:2], off offset:4
	s_waitcnt vmcnt(0)
	ds_write_b32 v61, v1
.LBB209_31:                             ;   in Loop: Header=BB209_5 Depth=1
	s_or_b64 exec, exec, s[2:3]
	s_and_saveexec_b64 s[16:17], vcc
	s_cbranch_execz .LBB209_34
; %bb.32:                               ;   in Loop: Header=BB209_5 Depth=1
	v_or_b32_e32 v1, 12, v109
	v_cmp_gt_i32_e64 s[2:3], s9, v1
	s_and_b64 s[2:3], s[0:1], s[2:3]
	s_and_b64 exec, exec, s[2:3]
	s_cbranch_execz .LBB209_34
; %bb.33:                               ;   in Loop: Header=BB209_5 Depth=1
	v_ashrrev_i32_e32 v1, 31, v109
	v_add_co_u32_e64 v2, s[2:3], v69, v109
	v_addc_co_u32_e64 v3, s[2:3], v71, v1, s[2:3]
	v_mad_u64_u32 v[1:2], s[2:3], v2, 36, s[6:7]
	v_mad_i32_i24 v2, v3, 36, v2
	global_load_dword v1, v[1:2], off offset:432
	s_waitcnt vmcnt(0)
	v_cvt_f32_f16_e32 v1, v1
	ds_write_b32 v63, v1
.LBB209_34:                             ;   in Loop: Header=BB209_5 Depth=1
	s_or_b64 exec, exec, s[16:17]
	s_mov_b32 s2, 24
	s_mov_b32 s17, 22
	s_mov_b32 s3, 4
	v_mov_b32_e32 v109, v60
	v_mov_b32_e32 v110, v62
	s_waitcnt lgkmcnt(0)
	s_barrier
.LBB209_35:                             ;   Parent Loop BB209_5 Depth=1
                                        ; =>  This Inner Loop Header: Depth=2
	s_add_i32 s16, s17, 2
	s_lshr_b32 s29, s16, 4
	s_and_b32 s28, s16, 0x3ffffff8
	v_lshl_add_u32 v112, s28, 2, v70
	s_lshl_b32 s28, s29, 5
	s_addk_i32 s28, 0x4200
	v_add3_u32 v121, s28, v106, v93
	ds_read_b32 v111, v110
	ds_read_b128 v[5:8], v109
	ds_read_b128 v[1:4], v109 offset:16
	ds_read2_b32 v[113:114], v112 offset1:1
	ds_read2_b32 v[115:116], v121 offset1:1
	s_sub_i32 s27, s17, 22
	s_and_b32 s26, s2, -16
	s_add_i32 s26, s17, s26
	s_waitcnt lgkmcnt(1)
	v_ashrrev_i32_e32 v113, s27, v113
	s_waitcnt lgkmcnt(0)
	v_ashrrev_i32_e32 v115, s3, v115
	v_lshlrev_b32_e32 v115, 2, v115
	v_and_b32_e32 v117, 0x3030303, v113
	v_bfe_u32 v113, v113, 24, 2
	v_and_b32_e32 v115, 0x4040404, v115
	v_ashrrev_i32_e32 v116, s3, v116
	v_sub_u16_e32 v118, v117, v115
	v_sub_u16_sdwa v119, v117, v115 dst_sel:BYTE_1 dst_unused:UNUSED_PAD src0_sel:BYTE_1 src1_sel:BYTE_1
	v_sub_u16_sdwa v113, v113, v115 dst_sel:BYTE_1 dst_unused:UNUSED_PAD src0_sel:DWORD src1_sel:BYTE_3
	v_sub_u16_sdwa v115, v117, v115 dst_sel:DWORD dst_unused:UNUSED_PAD src0_sel:WORD_1 src1_sel:WORD_1
	v_ashrrev_i32_e32 v114, s27, v114
	v_lshlrev_b32_e32 v116, 2, v116
	v_or_b32_sdwa v118, v118, v119 dst_sel:DWORD dst_unused:UNUSED_PAD src0_sel:BYTE_0 src1_sel:DWORD
	v_or_b32_sdwa v113, v115, v113 dst_sel:WORD_1 dst_unused:UNUSED_PAD src0_sel:BYTE_0 src1_sel:DWORD
	v_and_b32_e32 v115, 0x3030303, v114
	v_bfe_u32 v114, v114, 24, 2
	v_and_b32_e32 v116, 0x4040404, v116
	v_or_b32_sdwa v113, v118, v113 dst_sel:DWORD dst_unused:UNUSED_PAD src0_sel:WORD_0 src1_sel:DWORD
	v_sub_u16_e32 v117, v115, v116
	v_sub_u16_sdwa v118, v115, v116 dst_sel:BYTE_1 dst_unused:UNUSED_PAD src0_sel:BYTE_1 src1_sel:BYTE_1
	v_sub_u16_sdwa v114, v114, v116 dst_sel:BYTE_1 dst_unused:UNUSED_PAD src0_sel:DWORD src1_sel:BYTE_3
	v_sub_u16_sdwa v115, v115, v116 dst_sel:DWORD dst_unused:UNUSED_PAD src0_sel:WORD_1 src1_sel:WORD_1
	v_or_b32_sdwa v117, v117, v118 dst_sel:DWORD dst_unused:UNUSED_PAD src0_sel:BYTE_0 src1_sel:DWORD
	v_or_b32_sdwa v114, v115, v114 dst_sel:WORD_1 dst_unused:UNUSED_PAD src0_sel:BYTE_0 src1_sel:DWORD
	v_or_b32_sdwa v114, v117, v114 dst_sel:DWORD dst_unused:UNUSED_PAD src0_sel:WORD_0 src1_sel:DWORD
	ds_read2_b32 v[115:116], v112 offset0:2 offset1:3
	ds_read2_b32 v[117:118], v121 offset0:2 offset1:3
	s_lshl_b32 s17, s29, 2
	s_addk_i32 s17, 0x7380
	v_dot4_i32_i8 v113, v113, v5, 0
	s_waitcnt lgkmcnt(1)
	v_ashrrev_i32_e32 v115, s27, v115
	s_waitcnt lgkmcnt(0)
	v_ashrrev_i32_e32 v117, s3, v117
	v_lshlrev_b32_e32 v117, 2, v117
	v_and_b32_e32 v119, 0x3030303, v115
	v_bfe_u32 v115, v115, 24, 2
	v_and_b32_e32 v117, 0x4040404, v117
	v_ashrrev_i32_e32 v118, s3, v118
	v_sub_u16_e32 v120, v119, v117
	v_sub_u16_sdwa v122, v119, v117 dst_sel:BYTE_1 dst_unused:UNUSED_PAD src0_sel:BYTE_1 src1_sel:BYTE_1
	v_sub_u16_sdwa v115, v115, v117 dst_sel:BYTE_1 dst_unused:UNUSED_PAD src0_sel:DWORD src1_sel:BYTE_3
	v_sub_u16_sdwa v117, v119, v117 dst_sel:DWORD dst_unused:UNUSED_PAD src0_sel:WORD_1 src1_sel:WORD_1
	v_ashrrev_i32_e32 v116, s27, v116
	v_lshlrev_b32_e32 v118, 2, v118
	v_or_b32_sdwa v120, v120, v122 dst_sel:DWORD dst_unused:UNUSED_PAD src0_sel:BYTE_0 src1_sel:DWORD
	v_or_b32_sdwa v115, v117, v115 dst_sel:WORD_1 dst_unused:UNUSED_PAD src0_sel:BYTE_0 src1_sel:DWORD
	v_and_b32_e32 v117, 0x3030303, v116
	v_bfe_u32 v116, v116, 24, 2
	v_and_b32_e32 v118, 0x4040404, v118
	v_or_b32_sdwa v115, v120, v115 dst_sel:DWORD dst_unused:UNUSED_PAD src0_sel:WORD_0 src1_sel:DWORD
	v_sub_u16_e32 v119, v117, v118
	v_sub_u16_sdwa v120, v117, v118 dst_sel:BYTE_1 dst_unused:UNUSED_PAD src0_sel:BYTE_1 src1_sel:BYTE_1
	v_sub_u16_sdwa v116, v116, v118 dst_sel:BYTE_1 dst_unused:UNUSED_PAD src0_sel:DWORD src1_sel:BYTE_3
	v_sub_u16_sdwa v117, v117, v118 dst_sel:DWORD dst_unused:UNUSED_PAD src0_sel:WORD_1 src1_sel:WORD_1
	v_or_b32_sdwa v119, v119, v120 dst_sel:DWORD dst_unused:UNUSED_PAD src0_sel:BYTE_0 src1_sel:DWORD
	v_or_b32_sdwa v116, v117, v116 dst_sel:WORD_1 dst_unused:UNUSED_PAD src0_sel:BYTE_0 src1_sel:DWORD
	v_or_b32_sdwa v116, v119, v116 dst_sel:DWORD dst_unused:UNUSED_PAD src0_sel:WORD_0 src1_sel:DWORD
	ds_read2_b32 v[117:118], v112 offset0:4 offset1:5
	ds_read2_b32 v[119:120], v121 offset0:4 offset1:5
	v_dot4_i32_i8 v113, v114, v6, v113
	v_dot4_i32_i8 v113, v115, v7, v113
	;; [unrolled: 1-line block ×3, first 2 shown]
	s_waitcnt lgkmcnt(1)
	v_ashrrev_i32_e32 v117, s27, v117
	s_waitcnt lgkmcnt(0)
	v_ashrrev_i32_e32 v119, s3, v119
	v_lshlrev_b32_e32 v119, 2, v119
	v_and_b32_e32 v122, 0x3030303, v117
	v_bfe_u32 v117, v117, 24, 2
	v_and_b32_e32 v119, 0x4040404, v119
	v_ashrrev_i32_e32 v120, s3, v120
	v_sub_u16_e32 v123, v122, v119
	v_sub_u16_sdwa v124, v122, v119 dst_sel:BYTE_1 dst_unused:UNUSED_PAD src0_sel:BYTE_1 src1_sel:BYTE_1
	v_sub_u16_sdwa v117, v117, v119 dst_sel:BYTE_1 dst_unused:UNUSED_PAD src0_sel:DWORD src1_sel:BYTE_3
	v_sub_u16_sdwa v119, v122, v119 dst_sel:DWORD dst_unused:UNUSED_PAD src0_sel:WORD_1 src1_sel:WORD_1
	v_ashrrev_i32_e32 v118, s27, v118
	v_lshlrev_b32_e32 v120, 2, v120
	v_or_b32_sdwa v123, v123, v124 dst_sel:DWORD dst_unused:UNUSED_PAD src0_sel:BYTE_0 src1_sel:DWORD
	v_or_b32_sdwa v117, v119, v117 dst_sel:WORD_1 dst_unused:UNUSED_PAD src0_sel:BYTE_0 src1_sel:DWORD
	v_and_b32_e32 v119, 0x3030303, v118
	v_bfe_u32 v118, v118, 24, 2
	v_and_b32_e32 v120, 0x4040404, v120
	v_or_b32_sdwa v117, v123, v117 dst_sel:DWORD dst_unused:UNUSED_PAD src0_sel:WORD_0 src1_sel:DWORD
	v_sub_u16_e32 v122, v119, v120
	v_sub_u16_sdwa v123, v119, v120 dst_sel:BYTE_1 dst_unused:UNUSED_PAD src0_sel:BYTE_1 src1_sel:BYTE_1
	v_sub_u16_sdwa v118, v118, v120 dst_sel:BYTE_1 dst_unused:UNUSED_PAD src0_sel:DWORD src1_sel:BYTE_3
	v_sub_u16_sdwa v119, v119, v120 dst_sel:DWORD dst_unused:UNUSED_PAD src0_sel:WORD_1 src1_sel:WORD_1
	v_or_b32_sdwa v122, v122, v123 dst_sel:DWORD dst_unused:UNUSED_PAD src0_sel:BYTE_0 src1_sel:DWORD
	v_or_b32_sdwa v118, v119, v118 dst_sel:WORD_1 dst_unused:UNUSED_PAD src0_sel:BYTE_0 src1_sel:DWORD
	v_or_b32_sdwa v118, v122, v118 dst_sel:DWORD dst_unused:UNUSED_PAD src0_sel:WORD_0 src1_sel:DWORD
	ds_read2_b32 v[119:120], v112 offset0:6 offset1:7
	ds_read2_b32 v[121:122], v121 offset0:6 offset1:7
	v_dot4_i32_i8 v114, v117, v1, 0
	v_dot4_i32_i8 v114, v118, v2, v114
	s_add_i32 s2, s2, 2
	s_waitcnt lgkmcnt(1)
	v_ashrrev_i32_e32 v119, s27, v119
	s_waitcnt lgkmcnt(0)
	v_ashrrev_i32_e32 v121, s3, v121
	v_lshlrev_b32_e32 v121, 2, v121
	v_and_b32_e32 v123, 0x3030303, v119
	v_bfe_u32 v119, v119, 24, 2
	v_and_b32_e32 v121, 0x4040404, v121
	v_ashrrev_i32_e32 v122, s3, v122
	v_sub_u16_e32 v124, v123, v121
	v_sub_u16_sdwa v125, v123, v121 dst_sel:BYTE_1 dst_unused:UNUSED_PAD src0_sel:BYTE_1 src1_sel:BYTE_1
	v_sub_u16_sdwa v119, v119, v121 dst_sel:BYTE_1 dst_unused:UNUSED_PAD src0_sel:DWORD src1_sel:BYTE_3
	v_sub_u16_sdwa v121, v123, v121 dst_sel:DWORD dst_unused:UNUSED_PAD src0_sel:WORD_1 src1_sel:WORD_1
	v_ashrrev_i32_e32 v120, s27, v120
	v_lshlrev_b32_e32 v122, 2, v122
	v_or_b32_sdwa v124, v124, v125 dst_sel:DWORD dst_unused:UNUSED_PAD src0_sel:BYTE_0 src1_sel:DWORD
	v_or_b32_sdwa v119, v121, v119 dst_sel:WORD_1 dst_unused:UNUSED_PAD src0_sel:BYTE_0 src1_sel:DWORD
	v_and_b32_e32 v121, 0x3030303, v120
	v_bfe_u32 v120, v120, 24, 2
	v_and_b32_e32 v122, 0x4040404, v122
	v_or_b32_sdwa v119, v124, v119 dst_sel:DWORD dst_unused:UNUSED_PAD src0_sel:WORD_0 src1_sel:DWORD
	v_sub_u16_e32 v123, v121, v122
	v_sub_u16_sdwa v124, v121, v122 dst_sel:BYTE_1 dst_unused:UNUSED_PAD src0_sel:BYTE_1 src1_sel:BYTE_1
	v_sub_u16_sdwa v120, v120, v122 dst_sel:BYTE_1 dst_unused:UNUSED_PAD src0_sel:DWORD src1_sel:BYTE_3
	v_sub_u16_sdwa v121, v121, v122 dst_sel:DWORD dst_unused:UNUSED_PAD src0_sel:WORD_1 src1_sel:WORD_1
	v_or_b32_sdwa v120, v121, v120 dst_sel:WORD_1 dst_unused:UNUSED_PAD src0_sel:BYTE_0 src1_sel:DWORD
	v_add_u32_e32 v121, s26, v78
	v_add3_u32 v122, s17, v107, v108
	ds_read_b32 v122, v122
	ds_read_u16 v115, v121 offset:25330
	v_or_b32_sdwa v123, v123, v124 dst_sel:DWORD dst_unused:UNUSED_PAD src0_sel:BYTE_0 src1_sel:DWORD
	v_or_b32_sdwa v120, v123, v120 dst_sel:DWORD dst_unused:UNUSED_PAD src0_sel:WORD_0 src1_sel:DWORD
	v_dot4_i32_i8 v114, v119, v3, v114
	v_dot4_i32_i8 v114, v120, v4, v114
	s_waitcnt lgkmcnt(0)
	v_lshrrev_b16_e32 v116, 8, v115
	v_bfe_i32 v115, v115, 0, 8
	v_mul_lo_u32 v113, v113, v115
	v_bfe_i32 v116, v116, 0, 8
	v_add3_u32 v121, s28, v94, v95
	v_add_u32_e32 v110, 4, v110
	v_mad_u64_u32 v[113:114], s[30:31], v114, v116, v[113:114]
	v_mul_f32_e32 v114, v111, v122
	ds_read2_b32 v[115:116], v121 offset1:1
	v_cvt_f32_i32_e32 v113, v113
	v_add_u32_e32 v109, 32, v109
	v_fmac_f32_e32 v13, v114, v113
	v_add_u32_e32 v113, 0x1080, v112
	ds_read2_b32 v[113:114], v113 offset1:1
	s_waitcnt lgkmcnt(1)
	v_ashrrev_i32_e32 v115, s3, v115
	v_lshlrev_b32_e32 v115, 2, v115
	v_and_b32_e32 v115, 0x4040404, v115
	v_ashrrev_i32_e32 v116, s3, v116
	s_waitcnt lgkmcnt(0)
	v_ashrrev_i32_e32 v113, s27, v113
	v_and_b32_e32 v117, 0x3030303, v113
	v_bfe_u32 v113, v113, 24, 2
	v_sub_u16_e32 v118, v117, v115
	v_sub_u16_sdwa v119, v117, v115 dst_sel:BYTE_1 dst_unused:UNUSED_PAD src0_sel:BYTE_1 src1_sel:BYTE_1
	v_sub_u16_sdwa v113, v113, v115 dst_sel:BYTE_1 dst_unused:UNUSED_PAD src0_sel:DWORD src1_sel:BYTE_3
	v_sub_u16_sdwa v115, v117, v115 dst_sel:DWORD dst_unused:UNUSED_PAD src0_sel:WORD_1 src1_sel:WORD_1
	v_ashrrev_i32_e32 v114, s27, v114
	v_lshlrev_b32_e32 v116, 2, v116
	v_or_b32_sdwa v118, v118, v119 dst_sel:DWORD dst_unused:UNUSED_PAD src0_sel:BYTE_0 src1_sel:DWORD
	v_or_b32_sdwa v113, v115, v113 dst_sel:WORD_1 dst_unused:UNUSED_PAD src0_sel:BYTE_0 src1_sel:DWORD
	v_and_b32_e32 v115, 0x3030303, v114
	v_bfe_u32 v114, v114, 24, 2
	v_and_b32_e32 v116, 0x4040404, v116
	v_or_b32_sdwa v113, v118, v113 dst_sel:DWORD dst_unused:UNUSED_PAD src0_sel:WORD_0 src1_sel:DWORD
	v_sub_u16_e32 v117, v115, v116
	v_sub_u16_sdwa v118, v115, v116 dst_sel:BYTE_1 dst_unused:UNUSED_PAD src0_sel:BYTE_1 src1_sel:BYTE_1
	v_sub_u16_sdwa v114, v114, v116 dst_sel:BYTE_1 dst_unused:UNUSED_PAD src0_sel:DWORD src1_sel:BYTE_3
	v_sub_u16_sdwa v115, v115, v116 dst_sel:DWORD dst_unused:UNUSED_PAD src0_sel:WORD_1 src1_sel:WORD_1
	v_or_b32_sdwa v117, v117, v118 dst_sel:DWORD dst_unused:UNUSED_PAD src0_sel:BYTE_0 src1_sel:DWORD
	v_or_b32_sdwa v114, v115, v114 dst_sel:WORD_1 dst_unused:UNUSED_PAD src0_sel:BYTE_0 src1_sel:DWORD
	v_add_u32_e32 v115, 0x1088, v112
	v_or_b32_sdwa v114, v117, v114 dst_sel:DWORD dst_unused:UNUSED_PAD src0_sel:WORD_0 src1_sel:DWORD
	ds_read2_b32 v[115:116], v115 offset1:1
	ds_read2_b32 v[117:118], v121 offset0:2 offset1:3
	v_dot4_i32_i8 v113, v113, v5, 0
	v_dot4_i32_i8 v113, v114, v6, v113
	s_waitcnt lgkmcnt(1)
	v_ashrrev_i32_e32 v115, s27, v115
	s_waitcnt lgkmcnt(0)
	v_ashrrev_i32_e32 v117, s3, v117
	v_lshlrev_b32_e32 v117, 2, v117
	v_and_b32_e32 v119, 0x3030303, v115
	v_bfe_u32 v115, v115, 24, 2
	v_and_b32_e32 v117, 0x4040404, v117
	v_ashrrev_i32_e32 v118, s3, v118
	v_sub_u16_e32 v120, v119, v117
	v_sub_u16_sdwa v122, v119, v117 dst_sel:BYTE_1 dst_unused:UNUSED_PAD src0_sel:BYTE_1 src1_sel:BYTE_1
	v_sub_u16_sdwa v115, v115, v117 dst_sel:BYTE_1 dst_unused:UNUSED_PAD src0_sel:DWORD src1_sel:BYTE_3
	v_sub_u16_sdwa v117, v119, v117 dst_sel:DWORD dst_unused:UNUSED_PAD src0_sel:WORD_1 src1_sel:WORD_1
	v_ashrrev_i32_e32 v116, s27, v116
	v_lshlrev_b32_e32 v118, 2, v118
	v_or_b32_sdwa v120, v120, v122 dst_sel:DWORD dst_unused:UNUSED_PAD src0_sel:BYTE_0 src1_sel:DWORD
	v_or_b32_sdwa v115, v117, v115 dst_sel:WORD_1 dst_unused:UNUSED_PAD src0_sel:BYTE_0 src1_sel:DWORD
	v_and_b32_e32 v117, 0x3030303, v116
	v_bfe_u32 v116, v116, 24, 2
	v_and_b32_e32 v118, 0x4040404, v118
	v_or_b32_sdwa v115, v120, v115 dst_sel:DWORD dst_unused:UNUSED_PAD src0_sel:WORD_0 src1_sel:DWORD
	v_sub_u16_e32 v119, v117, v118
	v_sub_u16_sdwa v120, v117, v118 dst_sel:BYTE_1 dst_unused:UNUSED_PAD src0_sel:BYTE_1 src1_sel:BYTE_1
	v_sub_u16_sdwa v116, v116, v118 dst_sel:BYTE_1 dst_unused:UNUSED_PAD src0_sel:DWORD src1_sel:BYTE_3
	v_sub_u16_sdwa v117, v117, v118 dst_sel:DWORD dst_unused:UNUSED_PAD src0_sel:WORD_1 src1_sel:WORD_1
	v_or_b32_sdwa v119, v119, v120 dst_sel:DWORD dst_unused:UNUSED_PAD src0_sel:BYTE_0 src1_sel:DWORD
	v_or_b32_sdwa v116, v117, v116 dst_sel:WORD_1 dst_unused:UNUSED_PAD src0_sel:BYTE_0 src1_sel:DWORD
	v_add_u32_e32 v117, 0x1090, v112
	v_or_b32_sdwa v116, v119, v116 dst_sel:DWORD dst_unused:UNUSED_PAD src0_sel:WORD_0 src1_sel:DWORD
	ds_read2_b32 v[117:118], v117 offset1:1
	ds_read2_b32 v[119:120], v121 offset0:4 offset1:5
	v_dot4_i32_i8 v113, v115, v7, v113
	v_dot4_i32_i8 v113, v116, v8, v113
	s_waitcnt lgkmcnt(1)
	v_ashrrev_i32_e32 v117, s27, v117
	s_waitcnt lgkmcnt(0)
	v_ashrrev_i32_e32 v119, s3, v119
	v_lshlrev_b32_e32 v119, 2, v119
	v_and_b32_e32 v122, 0x3030303, v117
	v_bfe_u32 v117, v117, 24, 2
	v_and_b32_e32 v119, 0x4040404, v119
	v_ashrrev_i32_e32 v120, s3, v120
	;; [unrolled: 33-line block ×3, first 2 shown]
	v_sub_u16_e32 v124, v123, v121
	v_sub_u16_sdwa v125, v123, v121 dst_sel:BYTE_1 dst_unused:UNUSED_PAD src0_sel:BYTE_1 src1_sel:BYTE_1
	v_sub_u16_sdwa v119, v119, v121 dst_sel:BYTE_1 dst_unused:UNUSED_PAD src0_sel:DWORD src1_sel:BYTE_3
	v_sub_u16_sdwa v121, v123, v121 dst_sel:DWORD dst_unused:UNUSED_PAD src0_sel:WORD_1 src1_sel:WORD_1
	v_ashrrev_i32_e32 v120, s27, v120
	v_lshlrev_b32_e32 v122, 2, v122
	v_or_b32_sdwa v124, v124, v125 dst_sel:DWORD dst_unused:UNUSED_PAD src0_sel:BYTE_0 src1_sel:DWORD
	v_or_b32_sdwa v119, v121, v119 dst_sel:WORD_1 dst_unused:UNUSED_PAD src0_sel:BYTE_0 src1_sel:DWORD
	v_and_b32_e32 v121, 0x3030303, v120
	v_bfe_u32 v120, v120, 24, 2
	v_and_b32_e32 v122, 0x4040404, v122
	v_or_b32_sdwa v119, v124, v119 dst_sel:DWORD dst_unused:UNUSED_PAD src0_sel:WORD_0 src1_sel:DWORD
	v_sub_u16_e32 v123, v121, v122
	v_sub_u16_sdwa v124, v121, v122 dst_sel:BYTE_1 dst_unused:UNUSED_PAD src0_sel:BYTE_1 src1_sel:BYTE_1
	v_sub_u16_sdwa v120, v120, v122 dst_sel:BYTE_1 dst_unused:UNUSED_PAD src0_sel:DWORD src1_sel:BYTE_3
	v_sub_u16_sdwa v121, v121, v122 dst_sel:DWORD dst_unused:UNUSED_PAD src0_sel:WORD_1 src1_sel:WORD_1
	v_or_b32_sdwa v120, v121, v120 dst_sel:WORD_1 dst_unused:UNUSED_PAD src0_sel:BYTE_0 src1_sel:DWORD
	v_add_u32_e32 v121, s26, v76
	v_add3_u32 v122, s17, v96, v97
	ds_read_b32 v122, v122
	ds_read_u16 v115, v121 offset:26354
	v_or_b32_sdwa v123, v123, v124 dst_sel:DWORD dst_unused:UNUSED_PAD src0_sel:BYTE_0 src1_sel:DWORD
	v_or_b32_sdwa v120, v123, v120 dst_sel:DWORD dst_unused:UNUSED_PAD src0_sel:WORD_0 src1_sel:DWORD
	v_dot4_i32_i8 v114, v119, v3, v114
	v_dot4_i32_i8 v114, v120, v4, v114
	s_waitcnt lgkmcnt(0)
	v_lshrrev_b16_e32 v116, 8, v115
	v_bfe_i32 v115, v115, 0, 8
	v_mul_lo_u32 v113, v113, v115
	v_bfe_i32 v116, v116, 0, 8
	v_add3_u32 v121, s28, v98, v99
	v_mad_u64_u32 v[113:114], s[30:31], v114, v116, v[113:114]
	v_mul_f32_e32 v114, v111, v122
	ds_read2_b32 v[115:116], v121 offset1:1
	v_cvt_f32_i32_e32 v113, v113
	v_fmac_f32_e32 v68, v114, v113
	v_add_u32_e32 v113, 0x2100, v112
	ds_read2_b32 v[113:114], v113 offset1:1
	s_waitcnt lgkmcnt(1)
	v_ashrrev_i32_e32 v115, s3, v115
	v_lshlrev_b32_e32 v115, 2, v115
	v_and_b32_e32 v115, 0x4040404, v115
	v_ashrrev_i32_e32 v116, s3, v116
	s_waitcnt lgkmcnt(0)
	v_ashrrev_i32_e32 v113, s27, v113
	v_and_b32_e32 v117, 0x3030303, v113
	v_bfe_u32 v113, v113, 24, 2
	v_sub_u16_e32 v118, v117, v115
	v_sub_u16_sdwa v119, v117, v115 dst_sel:BYTE_1 dst_unused:UNUSED_PAD src0_sel:BYTE_1 src1_sel:BYTE_1
	v_sub_u16_sdwa v113, v113, v115 dst_sel:BYTE_1 dst_unused:UNUSED_PAD src0_sel:DWORD src1_sel:BYTE_3
	v_sub_u16_sdwa v115, v117, v115 dst_sel:DWORD dst_unused:UNUSED_PAD src0_sel:WORD_1 src1_sel:WORD_1
	v_ashrrev_i32_e32 v114, s27, v114
	v_lshlrev_b32_e32 v116, 2, v116
	v_or_b32_sdwa v118, v118, v119 dst_sel:DWORD dst_unused:UNUSED_PAD src0_sel:BYTE_0 src1_sel:DWORD
	v_or_b32_sdwa v113, v115, v113 dst_sel:WORD_1 dst_unused:UNUSED_PAD src0_sel:BYTE_0 src1_sel:DWORD
	v_and_b32_e32 v115, 0x3030303, v114
	v_bfe_u32 v114, v114, 24, 2
	v_and_b32_e32 v116, 0x4040404, v116
	v_or_b32_sdwa v113, v118, v113 dst_sel:DWORD dst_unused:UNUSED_PAD src0_sel:WORD_0 src1_sel:DWORD
	v_sub_u16_e32 v117, v115, v116
	v_sub_u16_sdwa v118, v115, v116 dst_sel:BYTE_1 dst_unused:UNUSED_PAD src0_sel:BYTE_1 src1_sel:BYTE_1
	v_sub_u16_sdwa v114, v114, v116 dst_sel:BYTE_1 dst_unused:UNUSED_PAD src0_sel:DWORD src1_sel:BYTE_3
	v_sub_u16_sdwa v115, v115, v116 dst_sel:DWORD dst_unused:UNUSED_PAD src0_sel:WORD_1 src1_sel:WORD_1
	v_or_b32_sdwa v117, v117, v118 dst_sel:DWORD dst_unused:UNUSED_PAD src0_sel:BYTE_0 src1_sel:DWORD
	v_or_b32_sdwa v114, v115, v114 dst_sel:WORD_1 dst_unused:UNUSED_PAD src0_sel:BYTE_0 src1_sel:DWORD
	v_add_u32_e32 v115, 0x2108, v112
	v_or_b32_sdwa v114, v117, v114 dst_sel:DWORD dst_unused:UNUSED_PAD src0_sel:WORD_0 src1_sel:DWORD
	ds_read2_b32 v[115:116], v115 offset1:1
	ds_read2_b32 v[117:118], v121 offset0:2 offset1:3
	v_dot4_i32_i8 v113, v113, v5, 0
	v_dot4_i32_i8 v113, v114, v6, v113
	s_waitcnt lgkmcnt(1)
	v_ashrrev_i32_e32 v115, s27, v115
	s_waitcnt lgkmcnt(0)
	v_ashrrev_i32_e32 v117, s3, v117
	v_lshlrev_b32_e32 v117, 2, v117
	v_and_b32_e32 v119, 0x3030303, v115
	v_bfe_u32 v115, v115, 24, 2
	v_and_b32_e32 v117, 0x4040404, v117
	v_ashrrev_i32_e32 v118, s3, v118
	v_sub_u16_e32 v120, v119, v117
	v_sub_u16_sdwa v122, v119, v117 dst_sel:BYTE_1 dst_unused:UNUSED_PAD src0_sel:BYTE_1 src1_sel:BYTE_1
	v_sub_u16_sdwa v115, v115, v117 dst_sel:BYTE_1 dst_unused:UNUSED_PAD src0_sel:DWORD src1_sel:BYTE_3
	v_sub_u16_sdwa v117, v119, v117 dst_sel:DWORD dst_unused:UNUSED_PAD src0_sel:WORD_1 src1_sel:WORD_1
	v_ashrrev_i32_e32 v116, s27, v116
	v_lshlrev_b32_e32 v118, 2, v118
	v_or_b32_sdwa v120, v120, v122 dst_sel:DWORD dst_unused:UNUSED_PAD src0_sel:BYTE_0 src1_sel:DWORD
	v_or_b32_sdwa v115, v117, v115 dst_sel:WORD_1 dst_unused:UNUSED_PAD src0_sel:BYTE_0 src1_sel:DWORD
	v_and_b32_e32 v117, 0x3030303, v116
	v_bfe_u32 v116, v116, 24, 2
	v_and_b32_e32 v118, 0x4040404, v118
	v_or_b32_sdwa v115, v120, v115 dst_sel:DWORD dst_unused:UNUSED_PAD src0_sel:WORD_0 src1_sel:DWORD
	v_sub_u16_e32 v119, v117, v118
	v_sub_u16_sdwa v120, v117, v118 dst_sel:BYTE_1 dst_unused:UNUSED_PAD src0_sel:BYTE_1 src1_sel:BYTE_1
	v_sub_u16_sdwa v116, v116, v118 dst_sel:BYTE_1 dst_unused:UNUSED_PAD src0_sel:DWORD src1_sel:BYTE_3
	v_sub_u16_sdwa v117, v117, v118 dst_sel:DWORD dst_unused:UNUSED_PAD src0_sel:WORD_1 src1_sel:WORD_1
	v_or_b32_sdwa v119, v119, v120 dst_sel:DWORD dst_unused:UNUSED_PAD src0_sel:BYTE_0 src1_sel:DWORD
	v_or_b32_sdwa v116, v117, v116 dst_sel:WORD_1 dst_unused:UNUSED_PAD src0_sel:BYTE_0 src1_sel:DWORD
	v_add_u32_e32 v117, 0x2110, v112
	v_or_b32_sdwa v116, v119, v116 dst_sel:DWORD dst_unused:UNUSED_PAD src0_sel:WORD_0 src1_sel:DWORD
	ds_read2_b32 v[117:118], v117 offset1:1
	ds_read2_b32 v[119:120], v121 offset0:4 offset1:5
	v_dot4_i32_i8 v113, v115, v7, v113
	v_dot4_i32_i8 v113, v116, v8, v113
	s_waitcnt lgkmcnt(1)
	v_ashrrev_i32_e32 v117, s27, v117
	s_waitcnt lgkmcnt(0)
	v_ashrrev_i32_e32 v119, s3, v119
	v_lshlrev_b32_e32 v119, 2, v119
	v_and_b32_e32 v122, 0x3030303, v117
	v_bfe_u32 v117, v117, 24, 2
	v_and_b32_e32 v119, 0x4040404, v119
	v_ashrrev_i32_e32 v120, s3, v120
	;; [unrolled: 33-line block ×3, first 2 shown]
	v_sub_u16_e32 v124, v123, v121
	v_sub_u16_sdwa v125, v123, v121 dst_sel:BYTE_1 dst_unused:UNUSED_PAD src0_sel:BYTE_1 src1_sel:BYTE_1
	v_sub_u16_sdwa v119, v119, v121 dst_sel:BYTE_1 dst_unused:UNUSED_PAD src0_sel:DWORD src1_sel:BYTE_3
	v_sub_u16_sdwa v121, v123, v121 dst_sel:DWORD dst_unused:UNUSED_PAD src0_sel:WORD_1 src1_sel:WORD_1
	v_ashrrev_i32_e32 v120, s27, v120
	v_lshlrev_b32_e32 v122, 2, v122
	v_or_b32_sdwa v124, v124, v125 dst_sel:DWORD dst_unused:UNUSED_PAD src0_sel:BYTE_0 src1_sel:DWORD
	v_or_b32_sdwa v119, v121, v119 dst_sel:WORD_1 dst_unused:UNUSED_PAD src0_sel:BYTE_0 src1_sel:DWORD
	v_and_b32_e32 v121, 0x3030303, v120
	v_bfe_u32 v120, v120, 24, 2
	v_and_b32_e32 v122, 0x4040404, v122
	v_or_b32_sdwa v119, v124, v119 dst_sel:DWORD dst_unused:UNUSED_PAD src0_sel:WORD_0 src1_sel:DWORD
	v_sub_u16_e32 v123, v121, v122
	v_sub_u16_sdwa v124, v121, v122 dst_sel:BYTE_1 dst_unused:UNUSED_PAD src0_sel:BYTE_1 src1_sel:BYTE_1
	v_sub_u16_sdwa v120, v120, v122 dst_sel:BYTE_1 dst_unused:UNUSED_PAD src0_sel:DWORD src1_sel:BYTE_3
	v_sub_u16_sdwa v121, v121, v122 dst_sel:DWORD dst_unused:UNUSED_PAD src0_sel:WORD_1 src1_sel:WORD_1
	v_or_b32_sdwa v120, v121, v120 dst_sel:WORD_1 dst_unused:UNUSED_PAD src0_sel:BYTE_0 src1_sel:DWORD
	v_add_u32_e32 v121, s26, v74
	v_add3_u32 v122, s17, v100, v101
	ds_read_b32 v122, v122
	ds_read_u16 v115, v121 offset:27378
	v_or_b32_sdwa v123, v123, v124 dst_sel:DWORD dst_unused:UNUSED_PAD src0_sel:BYTE_0 src1_sel:DWORD
	v_or_b32_sdwa v120, v123, v120 dst_sel:DWORD dst_unused:UNUSED_PAD src0_sel:WORD_0 src1_sel:DWORD
	v_dot4_i32_i8 v114, v119, v3, v114
	v_dot4_i32_i8 v114, v120, v4, v114
	s_waitcnt lgkmcnt(0)
	v_lshrrev_b16_e32 v116, 8, v115
	v_bfe_i32 v115, v115, 0, 8
	v_mul_lo_u32 v113, v113, v115
	v_bfe_i32 v116, v116, 0, 8
	v_add3_u32 v121, s28, v102, v103
	v_mad_u64_u32 v[113:114], s[30:31], v114, v116, v[113:114]
	v_mul_f32_e32 v114, v111, v122
	ds_read2_b32 v[115:116], v121 offset1:1
	v_cvt_f32_i32_e32 v113, v113
	v_fmac_f32_e32 v64, v114, v113
	v_add_u32_e32 v113, 0x3180, v112
	ds_read2_b32 v[113:114], v113 offset1:1
	s_waitcnt lgkmcnt(1)
	v_ashrrev_i32_e32 v115, s3, v115
	v_lshlrev_b32_e32 v115, 2, v115
	v_and_b32_e32 v115, 0x4040404, v115
	v_ashrrev_i32_e32 v116, s3, v116
	s_waitcnt lgkmcnt(0)
	v_ashrrev_i32_e32 v113, s27, v113
	v_and_b32_e32 v117, 0x3030303, v113
	v_bfe_u32 v113, v113, 24, 2
	v_sub_u16_e32 v118, v117, v115
	v_sub_u16_sdwa v119, v117, v115 dst_sel:BYTE_1 dst_unused:UNUSED_PAD src0_sel:BYTE_1 src1_sel:BYTE_1
	v_sub_u16_sdwa v113, v113, v115 dst_sel:BYTE_1 dst_unused:UNUSED_PAD src0_sel:DWORD src1_sel:BYTE_3
	v_sub_u16_sdwa v115, v117, v115 dst_sel:DWORD dst_unused:UNUSED_PAD src0_sel:WORD_1 src1_sel:WORD_1
	v_ashrrev_i32_e32 v114, s27, v114
	v_lshlrev_b32_e32 v116, 2, v116
	v_or_b32_sdwa v118, v118, v119 dst_sel:DWORD dst_unused:UNUSED_PAD src0_sel:BYTE_0 src1_sel:DWORD
	v_or_b32_sdwa v113, v115, v113 dst_sel:WORD_1 dst_unused:UNUSED_PAD src0_sel:BYTE_0 src1_sel:DWORD
	v_and_b32_e32 v115, 0x3030303, v114
	v_bfe_u32 v114, v114, 24, 2
	v_and_b32_e32 v116, 0x4040404, v116
	v_or_b32_sdwa v113, v118, v113 dst_sel:DWORD dst_unused:UNUSED_PAD src0_sel:WORD_0 src1_sel:DWORD
	v_sub_u16_e32 v117, v115, v116
	v_sub_u16_sdwa v118, v115, v116 dst_sel:BYTE_1 dst_unused:UNUSED_PAD src0_sel:BYTE_1 src1_sel:BYTE_1
	v_sub_u16_sdwa v114, v114, v116 dst_sel:BYTE_1 dst_unused:UNUSED_PAD src0_sel:DWORD src1_sel:BYTE_3
	v_sub_u16_sdwa v115, v115, v116 dst_sel:DWORD dst_unused:UNUSED_PAD src0_sel:WORD_1 src1_sel:WORD_1
	v_or_b32_sdwa v117, v117, v118 dst_sel:DWORD dst_unused:UNUSED_PAD src0_sel:BYTE_0 src1_sel:DWORD
	v_or_b32_sdwa v114, v115, v114 dst_sel:WORD_1 dst_unused:UNUSED_PAD src0_sel:BYTE_0 src1_sel:DWORD
	v_add_u32_e32 v115, 0x3188, v112
	v_or_b32_sdwa v114, v117, v114 dst_sel:DWORD dst_unused:UNUSED_PAD src0_sel:WORD_0 src1_sel:DWORD
	ds_read2_b32 v[115:116], v115 offset1:1
	ds_read2_b32 v[117:118], v121 offset0:2 offset1:3
	v_dot4_i32_i8 v5, v113, v5, 0
	v_dot4_i32_i8 v5, v114, v6, v5
	s_waitcnt lgkmcnt(1)
	v_ashrrev_i32_e32 v115, s27, v115
	s_waitcnt lgkmcnt(0)
	v_ashrrev_i32_e32 v117, s3, v117
	v_lshlrev_b32_e32 v117, 2, v117
	v_and_b32_e32 v119, 0x3030303, v115
	v_bfe_u32 v115, v115, 24, 2
	v_and_b32_e32 v117, 0x4040404, v117
	v_ashrrev_i32_e32 v118, s3, v118
	v_sub_u16_e32 v120, v119, v117
	v_sub_u16_sdwa v122, v119, v117 dst_sel:BYTE_1 dst_unused:UNUSED_PAD src0_sel:BYTE_1 src1_sel:BYTE_1
	v_sub_u16_sdwa v115, v115, v117 dst_sel:BYTE_1 dst_unused:UNUSED_PAD src0_sel:DWORD src1_sel:BYTE_3
	v_sub_u16_sdwa v117, v119, v117 dst_sel:DWORD dst_unused:UNUSED_PAD src0_sel:WORD_1 src1_sel:WORD_1
	v_ashrrev_i32_e32 v116, s27, v116
	v_lshlrev_b32_e32 v118, 2, v118
	v_or_b32_sdwa v120, v120, v122 dst_sel:DWORD dst_unused:UNUSED_PAD src0_sel:BYTE_0 src1_sel:DWORD
	v_or_b32_sdwa v115, v117, v115 dst_sel:WORD_1 dst_unused:UNUSED_PAD src0_sel:BYTE_0 src1_sel:DWORD
	v_and_b32_e32 v117, 0x3030303, v116
	v_bfe_u32 v116, v116, 24, 2
	v_and_b32_e32 v118, 0x4040404, v118
	v_or_b32_sdwa v115, v120, v115 dst_sel:DWORD dst_unused:UNUSED_PAD src0_sel:WORD_0 src1_sel:DWORD
	v_sub_u16_e32 v119, v117, v118
	v_sub_u16_sdwa v120, v117, v118 dst_sel:BYTE_1 dst_unused:UNUSED_PAD src0_sel:BYTE_1 src1_sel:BYTE_1
	v_sub_u16_sdwa v116, v116, v118 dst_sel:BYTE_1 dst_unused:UNUSED_PAD src0_sel:DWORD src1_sel:BYTE_3
	v_sub_u16_sdwa v117, v117, v118 dst_sel:DWORD dst_unused:UNUSED_PAD src0_sel:WORD_1 src1_sel:WORD_1
	v_or_b32_sdwa v119, v119, v120 dst_sel:DWORD dst_unused:UNUSED_PAD src0_sel:BYTE_0 src1_sel:DWORD
	v_or_b32_sdwa v116, v117, v116 dst_sel:WORD_1 dst_unused:UNUSED_PAD src0_sel:BYTE_0 src1_sel:DWORD
	v_add_u32_e32 v117, 0x3190, v112
	v_or_b32_sdwa v116, v119, v116 dst_sel:DWORD dst_unused:UNUSED_PAD src0_sel:WORD_0 src1_sel:DWORD
	ds_read2_b32 v[117:118], v117 offset1:1
	ds_read2_b32 v[119:120], v121 offset0:4 offset1:5
	v_add_u32_e32 v112, 0x3198, v112
	v_dot4_i32_i8 v5, v115, v7, v5
	v_dot4_i32_i8 v5, v116, v8, v5
	s_waitcnt lgkmcnt(1)
	v_ashrrev_i32_e32 v117, s27, v117
	s_waitcnt lgkmcnt(0)
	v_ashrrev_i32_e32 v119, s3, v119
	v_lshlrev_b32_e32 v119, 2, v119
	v_and_b32_e32 v122, 0x3030303, v117
	v_bfe_u32 v117, v117, 24, 2
	v_and_b32_e32 v119, 0x4040404, v119
	v_ashrrev_i32_e32 v120, s3, v120
	v_sub_u16_e32 v123, v122, v119
	v_sub_u16_sdwa v124, v122, v119 dst_sel:BYTE_1 dst_unused:UNUSED_PAD src0_sel:BYTE_1 src1_sel:BYTE_1
	v_sub_u16_sdwa v117, v117, v119 dst_sel:BYTE_1 dst_unused:UNUSED_PAD src0_sel:DWORD src1_sel:BYTE_3
	v_sub_u16_sdwa v119, v122, v119 dst_sel:DWORD dst_unused:UNUSED_PAD src0_sel:WORD_1 src1_sel:WORD_1
	v_ashrrev_i32_e32 v118, s27, v118
	v_lshlrev_b32_e32 v120, 2, v120
	v_or_b32_sdwa v123, v123, v124 dst_sel:DWORD dst_unused:UNUSED_PAD src0_sel:BYTE_0 src1_sel:DWORD
	v_or_b32_sdwa v117, v119, v117 dst_sel:WORD_1 dst_unused:UNUSED_PAD src0_sel:BYTE_0 src1_sel:DWORD
	v_and_b32_e32 v119, 0x3030303, v118
	v_bfe_u32 v118, v118, 24, 2
	v_and_b32_e32 v120, 0x4040404, v120
	v_or_b32_sdwa v117, v123, v117 dst_sel:DWORD dst_unused:UNUSED_PAD src0_sel:WORD_0 src1_sel:DWORD
	v_sub_u16_e32 v122, v119, v120
	v_sub_u16_sdwa v123, v119, v120 dst_sel:BYTE_1 dst_unused:UNUSED_PAD src0_sel:BYTE_1 src1_sel:BYTE_1
	v_sub_u16_sdwa v118, v118, v120 dst_sel:BYTE_1 dst_unused:UNUSED_PAD src0_sel:DWORD src1_sel:BYTE_3
	v_sub_u16_sdwa v119, v119, v120 dst_sel:DWORD dst_unused:UNUSED_PAD src0_sel:WORD_1 src1_sel:WORD_1
	v_or_b32_sdwa v122, v122, v123 dst_sel:DWORD dst_unused:UNUSED_PAD src0_sel:BYTE_0 src1_sel:DWORD
	v_or_b32_sdwa v118, v119, v118 dst_sel:WORD_1 dst_unused:UNUSED_PAD src0_sel:BYTE_0 src1_sel:DWORD
	v_or_b32_sdwa v118, v122, v118 dst_sel:DWORD dst_unused:UNUSED_PAD src0_sel:WORD_0 src1_sel:DWORD
	ds_read2_b32 v[119:120], v112 offset1:1
	ds_read2_b32 v[121:122], v121 offset0:6 offset1:7
	v_dot4_i32_i8 v1, v117, v1, 0
	v_dot4_i32_i8 v1, v118, v2, v1
	s_waitcnt lgkmcnt(1)
	v_ashrrev_i32_e32 v112, s27, v119
	s_waitcnt lgkmcnt(0)
	v_ashrrev_i32_e32 v121, s3, v121
	v_lshlrev_b32_e32 v121, 2, v121
	v_and_b32_e32 v119, 0x3030303, v112
	v_bfe_u32 v112, v112, 24, 2
	v_and_b32_e32 v121, 0x4040404, v121
	v_sub_u16_e32 v123, v119, v121
	v_sub_u16_sdwa v124, v119, v121 dst_sel:BYTE_1 dst_unused:UNUSED_PAD src0_sel:BYTE_1 src1_sel:BYTE_1
	v_sub_u16_sdwa v112, v112, v121 dst_sel:BYTE_1 dst_unused:UNUSED_PAD src0_sel:DWORD src1_sel:BYTE_3
	v_sub_u16_sdwa v119, v119, v121 dst_sel:DWORD dst_unused:UNUSED_PAD src0_sel:WORD_1 src1_sel:WORD_1
	v_ashrrev_i32_e32 v121, s3, v122
	v_or_b32_sdwa v112, v119, v112 dst_sel:WORD_1 dst_unused:UNUSED_PAD src0_sel:BYTE_0 src1_sel:DWORD
	v_ashrrev_i32_e32 v119, s27, v120
	v_lshlrev_b32_e32 v121, 2, v121
	v_or_b32_sdwa v123, v123, v124 dst_sel:DWORD dst_unused:UNUSED_PAD src0_sel:BYTE_0 src1_sel:DWORD
	v_and_b32_e32 v120, 0x3030303, v119
	v_bfe_u32 v119, v119, 24, 2
	v_and_b32_e32 v121, 0x4040404, v121
	v_or_b32_sdwa v112, v123, v112 dst_sel:DWORD dst_unused:UNUSED_PAD src0_sel:WORD_0 src1_sel:DWORD
	v_sub_u16_e32 v122, v120, v121
	v_sub_u16_sdwa v123, v120, v121 dst_sel:BYTE_1 dst_unused:UNUSED_PAD src0_sel:BYTE_1 src1_sel:BYTE_1
	v_sub_u16_sdwa v119, v119, v121 dst_sel:BYTE_1 dst_unused:UNUSED_PAD src0_sel:DWORD src1_sel:BYTE_3
	v_sub_u16_sdwa v120, v120, v121 dst_sel:DWORD dst_unused:UNUSED_PAD src0_sel:WORD_1 src1_sel:WORD_1
	v_or_b32_sdwa v122, v122, v123 dst_sel:DWORD dst_unused:UNUSED_PAD src0_sel:BYTE_0 src1_sel:DWORD
	v_or_b32_sdwa v119, v120, v119 dst_sel:WORD_1 dst_unused:UNUSED_PAD src0_sel:BYTE_0 src1_sel:DWORD
	v_or_b32_sdwa v119, v122, v119 dst_sel:DWORD dst_unused:UNUSED_PAD src0_sel:WORD_0 src1_sel:DWORD
	v_add_u32_e32 v121, s26, v72
	v_add3_u32 v120, s17, v104, v105
	v_dot4_i32_i8 v1, v112, v3, v1
	ds_read_b32 v120, v120
	v_dot4_i32_i8 v2, v119, v4, v1
	ds_read_u16 v1, v121 offset:28402
	s_add_i32 s3, s3, 1
	s_cmp_lt_u32 s16, 30
	s_mov_b32 s17, s16
	s_waitcnt lgkmcnt(0)
	v_lshrrev_b16_e32 v3, 8, v1
	v_bfe_i32 v1, v1, 0, 8
	v_mul_lo_u32 v1, v5, v1
	v_bfe_i32 v3, v3, 0, 8
	v_mad_u64_u32 v[1:2], s[26:27], v2, v3, v[1:2]
	v_mul_f32_e32 v2, v111, v120
	v_cvt_f32_i32_e32 v1, v1
	v_fmac_f32_e32 v9, v2, v1
	s_cbranch_scc1 .LBB209_35
; %bb.36:                               ;   in Loop: Header=BB209_5 Depth=1
	s_barrier
	s_branch .LBB209_4
.LBB209_37:
	s_mul_i32 s0, s11, s8
	s_waitcnt vmcnt(0)
	v_cmp_gt_i32_e32 vcc, s0, v12
	s_and_saveexec_b64 s[0:1], vcc
	s_cbranch_execz .LBB209_46
; %bb.38:
	v_mul_lo_u32 v1, v12, s10
	v_add_u32_e32 v0, s18, v0
	v_cmp_gt_u32_e32 vcc, s10, v0
	s_and_saveexec_b64 s[0:1], vcc
	s_cbranch_execz .LBB209_40
; %bb.39:
	v_add_u32_e32 v2, v1, v0
	v_mov_b32_e32 v3, 0
	v_lshlrev_b64 v[2:3], 1, v[2:3]
	v_cvt_f16_f32_e32 v5, v13
	v_mov_b32_e32 v4, s13
	v_add_co_u32_e32 v2, vcc, s12, v2
	v_addc_co_u32_e32 v3, vcc, v4, v3, vcc
	global_store_short v[2:3], v5, off
.LBB209_40:
	s_or_b64 exec, exec, s[0:1]
	v_add_u32_e32 v2, 32, v0
	v_cmp_gt_u32_e32 vcc, s10, v2
	s_and_saveexec_b64 s[0:1], vcc
	s_cbranch_execz .LBB209_42
; %bb.41:
	v_add_u32_e32 v2, v1, v2
	v_mov_b32_e32 v3, 0
	v_lshlrev_b64 v[2:3], 1, v[2:3]
	v_cvt_f16_f32_e32 v5, v68
	v_mov_b32_e32 v4, s13
	v_add_co_u32_e32 v2, vcc, s12, v2
	v_addc_co_u32_e32 v3, vcc, v4, v3, vcc
	global_store_short v[2:3], v5, off
.LBB209_42:
	s_or_b64 exec, exec, s[0:1]
	;; [unrolled: 15-line block ×3, first 2 shown]
	v_add_u32_e32 v0, 0x60, v0
	v_cmp_gt_u32_e32 vcc, s10, v0
	s_and_b64 exec, exec, vcc
	s_cbranch_execz .LBB209_46
; %bb.45:
	v_add_u32_e32 v0, v1, v0
	v_mov_b32_e32 v1, 0
	v_lshlrev_b64 v[0:1], 1, v[0:1]
	v_cvt_f16_f32_e32 v3, v9
	v_mov_b32_e32 v2, s13
	v_add_co_u32_e32 v0, vcc, s12, v0
	v_addc_co_u32_e32 v1, vcc, v2, v1, vcc
	global_store_short v[0:1], v3, off
.LBB209_46:
	s_endpgm
	.section	.rodata,"a",@progbits
	.p2align	6, 0x0
	.amdhsa_kernel _ZL8moe_q3_KIN3c104HalfELb0EEvPKvS3_PT_PKiS7_S7_iiiiiii
		.amdhsa_group_segment_fixed_size 31776
		.amdhsa_private_segment_fixed_size 0
		.amdhsa_kernarg_size 76
		.amdhsa_user_sgpr_count 6
		.amdhsa_user_sgpr_private_segment_buffer 1
		.amdhsa_user_sgpr_dispatch_ptr 0
		.amdhsa_user_sgpr_queue_ptr 0
		.amdhsa_user_sgpr_kernarg_segment_ptr 1
		.amdhsa_user_sgpr_dispatch_id 0
		.amdhsa_user_sgpr_flat_scratch_init 0
		.amdhsa_user_sgpr_private_segment_size 0
		.amdhsa_uses_dynamic_stack 0
		.amdhsa_system_sgpr_private_segment_wavefront_offset 0
		.amdhsa_system_sgpr_workgroup_id_x 1
		.amdhsa_system_sgpr_workgroup_id_y 1
		.amdhsa_system_sgpr_workgroup_id_z 0
		.amdhsa_system_sgpr_workgroup_info 0
		.amdhsa_system_vgpr_workitem_id 1
		.amdhsa_next_free_vgpr 127
		.amdhsa_next_free_sgpr 98
		.amdhsa_reserve_vcc 1
		.amdhsa_reserve_flat_scratch 0
		.amdhsa_float_round_mode_32 0
		.amdhsa_float_round_mode_16_64 0
		.amdhsa_float_denorm_mode_32 3
		.amdhsa_float_denorm_mode_16_64 3
		.amdhsa_dx10_clamp 1
		.amdhsa_ieee_mode 1
		.amdhsa_fp16_overflow 0
		.amdhsa_exception_fp_ieee_invalid_op 0
		.amdhsa_exception_fp_denorm_src 0
		.amdhsa_exception_fp_ieee_div_zero 0
		.amdhsa_exception_fp_ieee_overflow 0
		.amdhsa_exception_fp_ieee_underflow 0
		.amdhsa_exception_fp_ieee_inexact 0
		.amdhsa_exception_int_div_zero 0
	.end_amdhsa_kernel
	.section	.text._ZL8moe_q3_KIN3c104HalfELb0EEvPKvS3_PT_PKiS7_S7_iiiiiii,"axG",@progbits,_ZL8moe_q3_KIN3c104HalfELb0EEvPKvS3_PT_PKiS7_S7_iiiiiii,comdat
.Lfunc_end209:
	.size	_ZL8moe_q3_KIN3c104HalfELb0EEvPKvS3_PT_PKiS7_S7_iiiiiii, .Lfunc_end209-_ZL8moe_q3_KIN3c104HalfELb0EEvPKvS3_PT_PKiS7_S7_iiiiiii
                                        ; -- End function
	.set _ZL8moe_q3_KIN3c104HalfELb0EEvPKvS3_PT_PKiS7_S7_iiiiiii.num_vgpr, 127
	.set _ZL8moe_q3_KIN3c104HalfELb0EEvPKvS3_PT_PKiS7_S7_iiiiiii.num_agpr, 0
	.set _ZL8moe_q3_KIN3c104HalfELb0EEvPKvS3_PT_PKiS7_S7_iiiiiii.numbered_sgpr, 36
	.set _ZL8moe_q3_KIN3c104HalfELb0EEvPKvS3_PT_PKiS7_S7_iiiiiii.num_named_barrier, 0
	.set _ZL8moe_q3_KIN3c104HalfELb0EEvPKvS3_PT_PKiS7_S7_iiiiiii.private_seg_size, 0
	.set _ZL8moe_q3_KIN3c104HalfELb0EEvPKvS3_PT_PKiS7_S7_iiiiiii.uses_vcc, 1
	.set _ZL8moe_q3_KIN3c104HalfELb0EEvPKvS3_PT_PKiS7_S7_iiiiiii.uses_flat_scratch, 0
	.set _ZL8moe_q3_KIN3c104HalfELb0EEvPKvS3_PT_PKiS7_S7_iiiiiii.has_dyn_sized_stack, 0
	.set _ZL8moe_q3_KIN3c104HalfELb0EEvPKvS3_PT_PKiS7_S7_iiiiiii.has_recursion, 0
	.set _ZL8moe_q3_KIN3c104HalfELb0EEvPKvS3_PT_PKiS7_S7_iiiiiii.has_indirect_call, 0
	.section	.AMDGPU.csdata,"",@progbits
; Kernel info:
; codeLenInByte = 20464
; TotalNumSgprs: 40
; NumVgprs: 127
; ScratchSize: 0
; MemoryBound: 0
; FloatMode: 240
; IeeeMode: 1
; LDSByteSize: 31776 bytes/workgroup (compile time only)
; SGPRBlocks: 12
; VGPRBlocks: 31
; NumSGPRsForWavesPerEU: 102
; NumVGPRsForWavesPerEU: 127
; Occupancy: 2
; WaveLimiterHint : 1
; COMPUTE_PGM_RSRC2:SCRATCH_EN: 0
; COMPUTE_PGM_RSRC2:USER_SGPR: 6
; COMPUTE_PGM_RSRC2:TRAP_HANDLER: 0
; COMPUTE_PGM_RSRC2:TGID_X_EN: 1
; COMPUTE_PGM_RSRC2:TGID_Y_EN: 1
; COMPUTE_PGM_RSRC2:TGID_Z_EN: 0
; COMPUTE_PGM_RSRC2:TIDIG_COMP_CNT: 1
	.section	.text._ZL8moe_q3_KIN3c104HalfELb1EEvPKvS3_PT_PKiS7_S7_iiiiiii,"axG",@progbits,_ZL8moe_q3_KIN3c104HalfELb1EEvPKvS3_PT_PKiS7_S7_iiiiiii,comdat
	.globl	_ZL8moe_q3_KIN3c104HalfELb1EEvPKvS3_PT_PKiS7_S7_iiiiiii ; -- Begin function _ZL8moe_q3_KIN3c104HalfELb1EEvPKvS3_PT_PKiS7_S7_iiiiiii
	.p2align	8
	.type	_ZL8moe_q3_KIN3c104HalfELb1EEvPKvS3_PT_PKiS7_S7_iiiiiii,@function
_ZL8moe_q3_KIN3c104HalfELb1EEvPKvS3_PT_PKiS7_S7_iiiiiii: ; @_ZL8moe_q3_KIN3c104HalfELb1EEvPKvS3_PT_PKiS7_S7_iiiiiii
; %bb.0:
	s_mov_b64 s[38:39], s[2:3]
	s_mov_b64 s[36:37], s[0:1]
	s_load_dwordx4 s[0:3], s[4:5], 0x18
	s_add_u32 s36, s36, s8
	s_mov_b32 s8, s7
	s_mov_b32 s9, 0
	s_addc_u32 s37, s37, 0
	s_lshl_b64 s[10:11], s[8:9], 2
	s_waitcnt lgkmcnt(0)
	s_add_u32 s2, s2, s10
	s_addc_u32 s3, s3, s11
	s_load_dword s2, s[2:3], 0x0
	s_waitcnt lgkmcnt(0)
	s_cmpk_gt_u32 s2, 0xff
	s_cbranch_scc1 .LBB210_47
; %bb.1:
	s_load_dwordx2 s[10:11], s[4:5], 0x28
	s_lshl_b32 s3, s8, 3
	s_waitcnt lgkmcnt(0)
	s_load_dword s7, s[10:11], 0x0
	s_waitcnt lgkmcnt(0)
	s_cmp_gt_u32 s3, s7
	s_cbranch_scc1 .LBB210_47
; %bb.2:
	v_add_u32_e32 v24, s3, v1
	v_mov_b32_e32 v25, 0
	v_lshlrev_b64 v[2:3], 2, v[24:25]
	v_mov_b32_e32 v4, s1
	v_add_co_u32_e32 v2, vcc, s0, v2
	v_addc_co_u32_e32 v3, vcc, v4, v3, vcc
	global_load_dword v81, v[2:3], off
	s_load_dwordx8 s[8:15], s[4:5], 0x30
	s_load_dwordx2 s[16:17], s[4:5], 0x10
	s_waitcnt lgkmcnt(0)
	s_lshl_b32 s15, s6, 7
	v_mov_b32_e32 v75, v25
	v_mov_b32_e32 v76, v25
	s_cmpk_lt_i32 s9, 0x100
	v_mov_b32_e32 v29, v25
	s_cbranch_scc1 .LBB210_38
; %bb.3:
	s_ashr_i32 s0, s9, 31
	s_lshr_b32 s0, s0, 24
	s_load_dwordx4 s[4:7], s[4:5], 0x0
	s_add_i32 s0, s9, s0
	s_ashr_i32 s20, s0, 8
	s_ashr_i32 s0, s12, 31
	s_lshr_b32 s0, s0, 27
	s_add_i32 s0, s12, s0
	s_mul_i32 s2, s2, s8
	s_ashr_i32 s12, s0, 5
	s_ashr_i32 s0, s2, 31
	s_waitcnt lgkmcnt(0)
	s_add_u32 s1, s4, s2
	s_mul_i32 s2, s20, s15
	s_addc_u32 s0, s5, s0
	s_mul_hi_i32 s3, s2, 0x6e
	s_mulk_i32 s2, 0x6e
	s_add_u32 s21, s1, s2
	s_addc_u32 s22, s0, s3
	s_not_b32 s0, s15
	s_add_i32 s0, s10, s0
	v_and_b32_e32 v3, 15, v0
	v_min_i32_e32 v4, s0, v1
	v_lshlrev_b32_e32 v2, 2, v0
	s_movk_i32 s1, 0x84
	v_mul_lo_u32 v32, v4, s20
	v_mad_u64_u32 v[9:10], s[2:3], v4, s1, v[2:3]
	v_add_u32_e32 v4, 8, v1
	v_min_i32_e32 v4, s0, v4
	v_mul_lo_u32 v33, v4, s20
	v_mad_u64_u32 v[10:11], s[2:3], v4, s1, v[2:3]
	v_add_u32_e32 v4, 16, v1
	v_min_i32_e32 v4, s0, v4
	;; [unrolled: 4-line block ×15, first 2 shown]
	v_mul_lo_u32 v47, v4, s20
	v_mad_u64_u32 v[24:25], s[2:3], v4, s1, v[2:3]
	v_lshlrev_b32_e32 v4, 4, v1
	v_lshrrev_b32_e32 v49, 1, v0
	v_add_u32_e32 v5, v49, v4
	v_and_b32_e32 v5, 0x7f, v5
	v_min_i32_e32 v5, s0, v5
	v_ashrrev_i32_e32 v6, 31, v5
	v_lshrrev_b32_e32 v6, 28, v6
	v_add_u32_e32 v6, v5, v6
	v_and_b32_e32 v48, 1, v0
	v_ashrrev_i32_e32 v6, 4, v6
	v_lshrrev_b32_e32 v30, 4, v0
	v_lshlrev_b32_e32 v6, 2, v6
	v_lshlrev_b32_e32 v7, 2, v48
	s_movk_i32 s1, 0x7380
	v_add3_u32 v6, v6, v7, s1
	v_lshl_add_u32 v7, v1, 1, v30
	v_add_u32_e32 v28, 32, v7
	v_min_i32_e32 v28, s0, v28
	v_lshrrev_b32_e32 v56, 31, v28
	v_add_lshl_u32 v56, v28, v56, 1
	v_lshlrev_b32_e32 v31, 2, v3
	s_movk_i32 s1, 0x4200
	v_and_b32_e32 v56, -4, v56
	v_add3_u32 v75, v56, v31, s1
	v_add_u32_e32 v56, 48, v7
	v_min_i32_e32 v57, s0, v56
	v_lshrrev_b32_e32 v58, 31, v57
	v_add_lshl_u32 v58, v57, v58, 1
	v_mul_lo_u32 v56, v57, s20
	v_and_b32_e32 v58, -4, v58
	v_lshlrev_b32_e32 v85, 6, v57
	v_add_u32_e32 v57, 64, v7
	v_add3_u32 v76, v58, v31, s1
	v_min_i32_e32 v58, s0, v57
	v_lshrrev_b32_e32 v59, 31, v58
	v_add_lshl_u32 v59, v58, v59, 1
	v_mul_lo_u32 v57, v58, s20
	v_and_b32_e32 v59, -4, v59
	v_lshlrev_b32_e32 v87, 6, v58
	v_add_u32_e32 v58, 0x50, v7
	v_add3_u32 v86, v59, v31, s1
	;; [unrolled: 8-line block ×3, first 2 shown]
	v_min_i32_e32 v60, s0, v59
	v_lshrrev_b32_e32 v61, 31, v60
	v_min_i32_e32 v8, s0, v7
	v_add_u32_e32 v26, 16, v7
	v_add_lshl_u32 v61, v60, v61, 1
	v_add_u32_e32 v7, 0x70, v7
	v_and_b32_e32 v61, -4, v61
	v_min_i32_e32 v7, s0, v7
	v_add3_u32 v93, v61, v31, s1
	v_lshrrev_b32_e32 v61, 31, v7
	v_cmp_lt_u32_e32 vcc, 7, v3
	v_and_b32_e32 v3, 7, v0
	v_add_lshl_u32 v61, v7, v61, 1
	v_cndmask_b32_e64 v51, 0, 1, vcc
	v_lshlrev_b32_e32 v52, 2, v3
	v_and_b32_e32 v61, -4, v61
	v_cmp_lt_u32_e32 vcc, 3, v3
	v_and_b32_e32 v3, 3, v0
	v_add3_u32 v95, v61, v31, s1
	v_lshrrev_b32_e32 v61, 3, v0
	v_cndmask_b32_e64 v62, 0, 1, vcc
	v_add_u16_e32 v63, -2, v3
	v_cmp_gt_u32_e32 vcc, 2, v3
	v_lshl_add_u32 v70, v1, 2, v61
	v_cndmask_b32_e32 v65, v63, v3, vcc
	v_mov_b32_e32 v66, 2
	v_min_i32_e32 v26, s0, v26
	v_lshlrev_b32_sdwa v65, v66, v65 dst_sel:DWORD dst_unused:UNUSED_PAD src0_sel:DWORD src1_sel:BYTE_0
	v_lshlrev_b32_e32 v66, 1, v3
	v_min_i32_e32 v3, s0, v70
	v_lshrrev_b32_e32 v25, 31, v8
	v_lshrrev_b32_e32 v27, 31, v26
	v_ashrrev_i32_e32 v68, 31, v3
	v_add_lshl_u32 v25, v8, v25, 1
	v_add_lshl_u32 v27, v26, v27, 1
	v_lshrrev_b32_e32 v68, 30, v68
	v_and_b32_e32 v25, -4, v25
	v_and_b32_e32 v27, -4, v27
	v_add_u32_e32 v68, v3, v68
	v_add3_u32 v25, v25, v31, s1
	v_add3_u32 v27, v27, v31, s1
	v_and_b32_e32 v68, -4, v68
	s_movk_i32 s1, 0x6300
	v_add3_u32 v96, v68, v52, s1
	v_add_u32_e32 v68, 32, v70
	v_min_i32_e32 v69, s0, v68
	v_ashrrev_i32_e32 v71, 31, v69
	v_lshrrev_b32_e32 v71, 30, v71
	v_add_u32_e32 v71, v69, v71
	v_mul_lo_u32 v68, v69, s20
	v_and_b32_e32 v71, -4, v71
	v_lshlrev_b32_e32 v98, 5, v69
	v_add_u32_e32 v69, 64, v70
	v_add3_u32 v97, v71, v52, s1
	v_min_i32_e32 v71, s0, v69
	v_ashrrev_i32_e32 v72, 31, v71
	v_lshrrev_b32_e32 v72, 30, v72
	v_add_u32_e32 v72, v71, v72
	v_add_u32_e32 v70, 0x60, v70
	s_abs_i32 s2, s14
	v_mul_lo_u32 v69, v71, s20
	v_and_b32_e32 v72, -4, v72
	v_lshlrev_b32_e32 v100, 5, v71
	v_min_i32_e32 v71, s0, v70
	v_cvt_f32_u32_e32 v73, s2
	v_add3_u32 v99, v72, v52, s1
	v_ashrrev_i32_e32 v72, 31, v71
	v_lshrrev_b32_e32 v72, 30, v72
	v_mul_lo_u32 v70, v71, s20
	v_add_u32_e32 v72, v71, v72
	v_lshlrev_b32_e32 v102, 5, v71
	v_mov_b32_e32 v71, 0x77a0
	v_lshl_add_u32 v71, v1, 7, v71
	v_rcp_iflag_f32_e32 v1, v73
	s_sub_i32 s0, 0, s2
	s_waitcnt vmcnt(0)
	v_sub_u32_e32 v79, 0, v81
	v_max_i32_e32 v79, v81, v79
	v_mul_f32_e32 v1, 0x4f7ffffe, v1
	v_cvt_u32_f32_e32 v1, v1
	v_and_b32_e32 v72, -4, v72
	v_add3_u32 v101, v72, v52, s1
	buffer_store_dword v81, off, s[36:39], 0 offset:16 ; 4-byte Folded Spill
	v_mul_lo_u32 v78, s0, v1
	v_xor_b32_e32 v81, s14, v81
	v_and_b32_e32 v77, 28, v2
	v_ashrrev_i32_e32 v81, 31, v81
	v_mul_hi_u32 v78, v1, v78
	v_mul_lo_u32 v55, v28, s20
	v_lshlrev_b32_e32 v28, 6, v28
	v_add_u32_e32 v90, 32, v0
	v_add_u32_e32 v1, v1, v78
	v_mul_hi_u32 v1, v79, v1
	v_mul_lo_u32 v50, v5, s20
	v_mul_lo_u32 v53, v8, s20
	;; [unrolled: 1-line block ×5, first 2 shown]
	v_lshlrev_b32_e32 v94, 6, v60
	v_mul_lo_u32 v60, v7, s20
	v_sub_u32_e32 v78, v79, v78
	v_add_u32_e32 v79, 1, v1
	v_cmp_le_u32_e64 s[0:1], s2, v78
	v_cndmask_b32_e64 v1, v1, v79, s[0:1]
	v_subrev_u32_e32 v79, s2, v78
	v_cndmask_b32_e64 v78, v78, v79, s[0:1]
	v_add_u32_e32 v79, 1, v1
	v_cmp_le_u32_e64 s[0:1], s2, v78
	v_cndmask_b32_e64 v1, v1, v79, s[0:1]
	v_xor_b32_e32 v1, v1, v81
	v_mov_b32_e32 v78, s7
	v_add_co_u32_e64 v77, s[0:1], s6, v77
	v_sub_u32_e32 v1, v1, v81
	v_addc_co_u32_e64 v78, s[0:1], 0, v78, s[0:1]
	v_mul_lo_u32 v67, v3, s20
	v_lshlrev_b32_e32 v103, 4, v90
	v_lshrrev_b32_e32 v104, 1, v90
	v_lshlrev_b32_e32 v105, 1, v90
	v_lshrrev_b32_e32 v106, 4, v90
	v_add_u32_e32 v91, 64, v0
	v_add_u32_e32 v92, 0x60, v0
	buffer_store_dword v77, off, s[36:39], 0 ; 4-byte Folded Spill
	s_nop 0
	buffer_store_dword v78, off, s[36:39], 0 offset:4 ; 4-byte Folded Spill
	v_and_b32_e32 v79, 0x1fc, v90
	v_add_u32_e32 v84, v75, v28
	v_lshrrev_b32_e32 v28, 3, v90
	v_mul_lo_u32 v90, v1, s12
	v_lshlrev_b32_e32 v5, 3, v5
	v_lshlrev_b32_e32 v8, 6, v8
	;; [unrolled: 1-line block ×3, first 2 shown]
	v_add_u32_e32 v73, 0x7ba0, v4
	v_lshlrev_b32_e32 v80, 5, v0
	v_and_b32_e32 v77, 0x1fc, v92
	v_and_b32_e32 v78, 0x1fc, v91
	;; [unrolled: 1-line block ×3, first 2 shown]
	v_lshlrev_b32_e32 v7, 6, v7
	v_lshlrev_b32_e32 v63, 1, v0
	;; [unrolled: 1-line block ×3, first 2 shown]
	v_and_b32_e32 v72, 31, v0
	v_cmp_gt_u32_e32 vcc, 4, v0
	v_add_u32_e32 v74, v73, v2
	v_mul_u32_u24_e32 v2, 33, v0
	v_lshlrev_b32_e32 v4, 4, v0
	v_lshlrev_b32_e32 v107, 4, v91
	v_add_u32_e32 v77, v80, v77
	v_add_u32_e32 v78, v80, v78
	;; [unrolled: 1-line block ×4, first 2 shown]
	v_lshrrev_b32_e32 v108, 1, v91
	v_add_u32_e32 v81, v6, v5
	v_lshlrev_b32_e32 v5, 1, v91
	v_add_u32_e32 v82, v25, v8
	v_lshrrev_b32_e32 v6, 4, v91
	v_add_u32_e32 v83, v27, v26
	v_lshlrev_b32_e32 v8, 4, v92
	v_lshrrev_b32_e32 v25, 1, v92
	v_lshlrev_b32_e32 v26, 1, v92
	v_lshrrev_b32_e32 v27, 4, v92
	v_lshrrev_b32_e32 v61, 3, v91
	v_cmp_gt_i32_e64 s[0:1], s11, v1
	s_movk_i32 s8, 0x6e
	s_mov_b32 s10, 0
	v_mov_b32_e32 v29, 0
	v_and_b32_e32 v64, 4, v63
	v_lshl_add_u32 v72, v72, 2, v71
	v_add_u32_e32 v85, v76, v85
	v_add_u32_e32 v86, v86, v87
	buffer_store_dword v61, off, s[36:39], 0 offset:8 ; 4-byte Folded Spill
	v_lshrrev_b32_e32 v61, 3, v92
	s_and_b64 s[4:5], vcc, s[0:1]
	v_lshlrev_b32_e32 v91, 2, v2
	v_add_u32_e32 v92, v88, v89
	v_add_u32_e32 v94, v93, v94
	;; [unrolled: 1-line block ×5, first 2 shown]
	s_mov_b32 s23, 0x30303030
	s_movk_i32 s24, 0x3f00
	s_movk_i32 s25, 0xe000
	v_add_u32_e32 v98, v99, v100
	v_add_u32_e32 v99, v101, v102
	v_mov_b32_e32 v100, 8
	v_lshlrev_b32_e32 v101, 2, v4
	v_lshlrev_b32_e32 v102, 2, v104
	;; [unrolled: 1-line block ×13, first 2 shown]
	v_mov_b32_e32 v76, 0
	v_mov_b32_e32 v75, 0
	;; [unrolled: 1-line block ×3, first 2 shown]
	buffer_store_dword v61, off, s[36:39], 0 offset:12 ; 4-byte Folded Spill
	s_branch .LBB210_5
.LBB210_4:                              ;   in Loop: Header=BB210_5 Depth=1
	s_add_i32 s10, s10, 2
	s_cmp_ge_i32 s10, s20
	s_cbranch_scc1 .LBB210_37
.LBB210_5:                              ; =>This Loop Header: Depth=1
                                        ;     Child Loop BB210_11 Depth 2
                                        ;     Child Loop BB210_19 Depth 2
	;; [unrolled: 1-line block ×4, first 2 shown]
	s_mul_i32 s2, s10, 0x6e
	s_mul_hi_u32 s3, s10, 0x6e
	s_add_u32 s2, s21, s2
	s_addc_u32 s3, s22, s3
	v_mov_b32_e32 v1, s2
	v_mov_b32_e32 v2, s3
	v_mad_u64_u32 v[3:4], s[2:3], v30, s8, v[1:2]
	s_lshl_b32 s26, s10, 8
	s_cmp_lt_i32 s26, s9
	v_mad_i64_i32 v[5:6], s[2:3], v32, s8, v[3:4]
	v_add_co_u32_e64 v5, s[2:3], v5, v31
	v_addc_co_u32_e64 v6, s[2:3], 0, v6, s[2:3]
	global_load_dword v5, v[5:6], off offset:32
	s_waitcnt vmcnt(0)
	ds_write_b32 v9, v5
	v_mad_i64_i32 v[5:6], s[2:3], v33, s8, v[3:4]
	v_add_co_u32_e64 v5, s[2:3], v5, v31
	v_addc_co_u32_e64 v6, s[2:3], 0, v6, s[2:3]
	global_load_dword v5, v[5:6], off offset:32
	s_waitcnt vmcnt(0)
	ds_write_b32 v10, v5
	;; [unrolled: 6-line block ×14, first 2 shown]
	v_mad_i64_i32 v[5:6], s[2:3], v46, s8, v[3:4]
	v_add_co_u32_e64 v5, s[2:3], v5, v31
	v_addc_co_u32_e64 v6, s[2:3], 0, v6, s[2:3]
	v_mad_i64_i32 v[3:4], s[2:3], v47, s8, v[3:4]
	global_load_dword v5, v[5:6], off offset:32
	v_add_co_u32_e64 v3, s[2:3], v3, v31
	v_addc_co_u32_e64 v4, s[2:3], 0, v4, s[2:3]
	global_load_dword v3, v[3:4], off offset:32
	s_waitcnt vmcnt(1)
	ds_write_b32 v23, v5
	s_waitcnt vmcnt(0)
	ds_write_b32 v24, v3
	v_mad_i64_i32 v[3:4], s[2:3], v50, s8, v[1:2]
	v_mad_u64_u32 v[3:4], s[2:3], v48, s8, v[3:4]
	global_load_ushort v3, v[3:4], off offset:108
	s_waitcnt vmcnt(0)
	v_cvt_f32_f16_e32 v3, v3
	ds_write_b32 v81, v3
	v_mad_u64_u32 v[3:4], s[2:3], v51, s8, v[1:2]
	v_add_co_u32_e64 v3, s[2:3], v3, v52
	v_addc_co_u32_e64 v4, s[2:3], 0, v4, s[2:3]
	v_mad_i64_i32 v[5:6], s[2:3], v53, s8, v[3:4]
	v_mad_u64_u32 v[1:2], s[2:3], v62, s8, v[1:2]
	global_load_dword v5, v[5:6], off
	s_waitcnt vmcnt(0)
	v_not_b32_e32 v5, v5
	ds_write_b32 v82, v5
	v_mad_i64_i32 v[5:6], s[2:3], v54, s8, v[3:4]
	global_load_dword v5, v[5:6], off
	s_waitcnt vmcnt(0)
	v_not_b32_e32 v5, v5
	ds_write_b32 v83, v5
	v_mad_i64_i32 v[5:6], s[2:3], v55, s8, v[3:4]
	;; [unrolled: 5-line block ×6, first 2 shown]
	v_mad_i64_i32 v[3:4], s[2:3], v60, s8, v[3:4]
	global_load_dword v5, v[5:6], off
	s_nop 0
	global_load_dword v3, v[3:4], off
	s_waitcnt vmcnt(1)
	v_not_b32_e32 v5, v5
	ds_write_b32 v94, v5
	s_waitcnt vmcnt(0)
	v_not_b32_e32 v3, v3
	ds_write_b32 v95, v3
	v_mad_i64_i32 v[3:4], s[2:3], v67, s8, v[1:2]
	v_add_co_u32_e64 v5, s[2:3], v3, v65
	v_addc_co_u32_e64 v6, s[2:3], 0, v4, s[2:3]
	global_load_dword v5, v[5:6], off offset:96
	s_nop 0
	global_load_dword v3, v[3:4], off offset:104
	s_waitcnt vmcnt(1)
	v_ashrrev_i32_e32 v5, v64, v5
	v_and_b32_e32 v5, 0xf0f0f0f, v5
	s_waitcnt vmcnt(0)
	v_ashrrev_i32_e32 v3, v66, v3
	v_lshlrev_b32_e32 v3, 4, v3
	v_and_or_b32 v3, v3, s23, v5
	v_lshlrev_b16_e32 v5, 8, v3
	v_and_b32_e32 v4, 0x3f00, v3
	v_add_u16_e32 v5, 0xe000, v5
	v_or_b32_sdwa v4, v4, v5 dst_sel:DWORD dst_unused:UNUSED_PAD src0_sel:DWORD src1_sel:BYTE_1
	v_and_b32_sdwa v5, v3, s24 dst_sel:DWORD dst_unused:UNUSED_PAD src0_sel:WORD_1 src1_sel:DWORD
	v_lshlrev_b16_sdwa v3, v100, v3 dst_sel:DWORD dst_unused:UNUSED_PAD src0_sel:DWORD src1_sel:WORD_1
	v_add_u16_e32 v3, 0xe000, v3
	v_or_b32_sdwa v3, v5, v3 dst_sel:DWORD dst_unused:UNUSED_PAD src0_sel:DWORD src1_sel:BYTE_1
	v_add_u16_e32 v4, 0xe000, v4
	v_add_u16_sdwa v3, v3, s25 dst_sel:WORD_1 dst_unused:UNUSED_PAD src0_sel:DWORD src1_sel:DWORD
	v_or_b32_e32 v3, v4, v3
	ds_write_b32 v96, v3
	v_mad_i64_i32 v[3:4], s[2:3], v68, s8, v[1:2]
	v_add_co_u32_e64 v5, s[2:3], v3, v65
	v_addc_co_u32_e64 v6, s[2:3], 0, v4, s[2:3]
	global_load_dword v5, v[5:6], off offset:96
	s_nop 0
	global_load_dword v3, v[3:4], off offset:104
	s_waitcnt vmcnt(1)
	v_ashrrev_i32_e32 v5, v64, v5
	v_and_b32_e32 v5, 0xf0f0f0f, v5
	s_waitcnt vmcnt(0)
	v_ashrrev_i32_e32 v3, v66, v3
	v_lshlrev_b32_e32 v3, 4, v3
	v_and_or_b32 v3, v3, s23, v5
	v_lshlrev_b16_e32 v5, 8, v3
	v_and_b32_e32 v4, 0x3f00, v3
	v_add_u16_e32 v5, 0xe000, v5
	v_or_b32_sdwa v4, v4, v5 dst_sel:DWORD dst_unused:UNUSED_PAD src0_sel:DWORD src1_sel:BYTE_1
	v_and_b32_sdwa v5, v3, s24 dst_sel:DWORD dst_unused:UNUSED_PAD src0_sel:WORD_1 src1_sel:DWORD
	v_lshlrev_b16_sdwa v3, v100, v3 dst_sel:DWORD dst_unused:UNUSED_PAD src0_sel:DWORD src1_sel:WORD_1
	v_add_u16_e32 v3, 0xe000, v3
	v_or_b32_sdwa v3, v5, v3 dst_sel:DWORD dst_unused:UNUSED_PAD src0_sel:DWORD src1_sel:BYTE_1
	v_add_u16_e32 v4, 0xe000, v4
	v_add_u16_sdwa v3, v3, s25 dst_sel:WORD_1 dst_unused:UNUSED_PAD src0_sel:DWORD src1_sel:DWORD
	v_or_b32_e32 v3, v4, v3
	;; [unrolled: 25-line block ×4, first 2 shown]
	ds_write_b32 v99, v1
	s_cbranch_scc0 .LBB210_4
; %bb.6:                                ;   in Loop: Header=BB210_5 Depth=1
	s_lshl_b32 s27, s10, 3
	v_lshrrev_b32_e32 v1, 3, v0
	v_add_u32_e32 v1, s27, v1
	v_cmp_gt_i32_e64 s[2:3], s12, v1
	s_and_b64 s[18:19], s[0:1], s[2:3]
	s_and_saveexec_b64 s[2:3], s[18:19]
	s_cbranch_execz .LBB210_8
; %bb.7:                                ;   in Loop: Header=BB210_5 Depth=1
	buffer_load_dword v2, off, s[36:39], 0  ; 4-byte Folded Reload
	buffer_load_dword v3, off, s[36:39], 0 offset:4 ; 4-byte Folded Reload
	v_add_u32_e32 v1, v90, v1
	s_waitcnt vmcnt(0)
	v_mad_i64_i32 v[1:2], s[18:19], v1, 36, v[2:3]
	global_load_dword v1, v[1:2], off offset:4
	s_waitcnt vmcnt(0)
	ds_write_b32 v72, v1
.LBB210_8:                              ;   in Loop: Header=BB210_5 Depth=1
	s_or_b64 exec, exec, s[2:3]
	v_add_u32_e32 v117, s27, v0
	v_cmp_gt_i32_e64 s[2:3], s12, v117
	s_and_b64 s[18:19], s[4:5], s[2:3]
	s_and_saveexec_b64 s[2:3], s[18:19]
	s_cbranch_execz .LBB210_10
; %bb.9:                                ;   in Loop: Header=BB210_5 Depth=1
	v_add_u32_e32 v1, v90, v117
	v_mad_i64_i32 v[1:2], s[18:19], v1, 36, s[6:7]
	global_load_dword v1, v[1:2], off
	s_waitcnt vmcnt(0)
	v_cvt_f32_f16_e32 v1, v1
	ds_write_b32 v74, v1
.LBB210_10:                             ;   in Loop: Header=BB210_5 Depth=1
	s_or_b64 exec, exec, s[2:3]
	s_mov_b32 s19, -2
	s_mov_b32 s2, 0
	v_mov_b32_e32 v118, v73
	v_mov_b32_e32 v119, v71
	s_mov_b32 s3, 0
	s_waitcnt lgkmcnt(0)
	s_barrier
.LBB210_11:                             ;   Parent Loop BB210_5 Depth=1
                                        ; =>  This Inner Loop Header: Depth=2
	s_add_i32 s18, s19, 2
	s_lshr_b32 s30, s18, 4
	s_and_b32 s29, s18, 0x3ffffff8
	v_lshl_add_u32 v121, s29, 2, v91
	s_lshl_b32 s29, s30, 5
	s_addk_i32 s29, 0x4200
	v_lshlrev_b32_e32 v114, 2, v49
	v_add3_u32 v87, s29, v114, v101
	ds_read_b32 v120, v118
	ds_read_b128 v[5:8], v119
	ds_read_b128 v[1:4], v119 offset:16
	ds_read2_b32 v[88:89], v121 offset1:1
	ds_read2_b32 v[115:116], v87 offset1:1
	ds_read2_b32 v[122:123], v87 offset0:2 offset1:3
	ds_read2_b32 v[124:125], v87 offset0:4 offset1:5
	;; [unrolled: 1-line block ×3, first 2 shown]
	s_waitcnt lgkmcnt(4)
	v_ashrrev_i32_e32 v26, s18, v88
	s_waitcnt lgkmcnt(3)
	v_ashrrev_i32_e32 v88, s2, v115
	v_lshlrev_b32_e32 v88, 2, v88
	v_and_b32_e32 v27, 0x3030303, v26
	v_bfe_u32 v26, v26, 24, 2
	v_and_b32_e32 v88, 0x4040404, v88
	v_sub_u16_e32 v93, v27, v88
	v_sub_u16_sdwa v115, v27, v88 dst_sel:BYTE_1 dst_unused:UNUSED_PAD src0_sel:BYTE_1 src1_sel:BYTE_1
	v_sub_u16_sdwa v26, v26, v88 dst_sel:BYTE_1 dst_unused:UNUSED_PAD src0_sel:DWORD src1_sel:BYTE_3
	v_sub_u16_sdwa v27, v27, v88 dst_sel:DWORD dst_unused:UNUSED_PAD src0_sel:WORD_1 src1_sel:WORD_1
	v_or_b32_sdwa v93, v93, v115 dst_sel:DWORD dst_unused:UNUSED_PAD src0_sel:BYTE_0 src1_sel:DWORD
	v_or_b32_sdwa v26, v27, v26 dst_sel:WORD_1 dst_unused:UNUSED_PAD src0_sel:BYTE_0 src1_sel:DWORD
	v_ashrrev_i32_e32 v88, s2, v116
	v_or_b32_sdwa v93, v93, v26 dst_sel:DWORD dst_unused:UNUSED_PAD src0_sel:WORD_0 src1_sel:DWORD
	v_ashrrev_i32_e32 v26, s18, v89
	v_lshlrev_b32_e32 v88, 2, v88
	v_and_b32_e32 v27, 0x3030303, v26
	v_and_b32_e32 v88, 0x4040404, v88
	v_sub_u16_e32 v89, v27, v88
	v_sub_u16_sdwa v115, v27, v88 dst_sel:BYTE_1 dst_unused:UNUSED_PAD src0_sel:BYTE_1 src1_sel:BYTE_1
	v_or_b32_sdwa v89, v89, v115 dst_sel:DWORD dst_unused:UNUSED_PAD src0_sel:BYTE_0 src1_sel:DWORD
	ds_read2_b32 v[115:116], v121 offset0:2 offset1:3
	v_bfe_u32 v26, v26, 24, 2
	v_sub_u16_sdwa v26, v26, v88 dst_sel:BYTE_1 dst_unused:UNUSED_PAD src0_sel:DWORD src1_sel:BYTE_3
	v_sub_u16_sdwa v27, v27, v88 dst_sel:DWORD dst_unused:UNUSED_PAD src0_sel:WORD_1 src1_sel:WORD_1
	v_or_b32_sdwa v26, v27, v26 dst_sel:WORD_1 dst_unused:UNUSED_PAD src0_sel:BYTE_0 src1_sel:DWORD
	s_waitcnt lgkmcnt(3)
	v_ashrrev_i32_e32 v88, s2, v122
	v_or_b32_sdwa v89, v89, v26 dst_sel:DWORD dst_unused:UNUSED_PAD src0_sel:WORD_0 src1_sel:DWORD
	s_waitcnt lgkmcnt(0)
	v_ashrrev_i32_e32 v26, s18, v115
	v_lshlrev_b32_e32 v88, 2, v88
	v_and_b32_e32 v27, 0x3030303, v26
	v_bfe_u32 v26, v26, 24, 2
	v_and_b32_e32 v88, 0x4040404, v88
	v_sub_u16_e32 v115, v27, v88
	v_sub_u16_sdwa v122, v27, v88 dst_sel:BYTE_1 dst_unused:UNUSED_PAD src0_sel:BYTE_1 src1_sel:BYTE_1
	v_sub_u16_sdwa v26, v26, v88 dst_sel:BYTE_1 dst_unused:UNUSED_PAD src0_sel:DWORD src1_sel:BYTE_3
	v_sub_u16_sdwa v27, v27, v88 dst_sel:DWORD dst_unused:UNUSED_PAD src0_sel:WORD_1 src1_sel:WORD_1
	v_or_b32_sdwa v115, v115, v122 dst_sel:DWORD dst_unused:UNUSED_PAD src0_sel:BYTE_0 src1_sel:DWORD
	v_or_b32_sdwa v26, v27, v26 dst_sel:WORD_1 dst_unused:UNUSED_PAD src0_sel:BYTE_0 src1_sel:DWORD
	v_ashrrev_i32_e32 v88, s2, v123
	v_or_b32_sdwa v122, v115, v26 dst_sel:DWORD dst_unused:UNUSED_PAD src0_sel:WORD_0 src1_sel:DWORD
	v_ashrrev_i32_e32 v26, s18, v116
	v_lshlrev_b32_e32 v88, 2, v88
	v_and_b32_e32 v27, 0x3030303, v26
	v_bfe_u32 v26, v26, 24, 2
	v_and_b32_e32 v88, 0x4040404, v88
	v_sub_u16_e32 v115, v27, v88
	v_sub_u16_sdwa v116, v27, v88 dst_sel:BYTE_1 dst_unused:UNUSED_PAD src0_sel:BYTE_1 src1_sel:BYTE_1
	v_sub_u16_sdwa v26, v26, v88 dst_sel:BYTE_1 dst_unused:UNUSED_PAD src0_sel:DWORD src1_sel:BYTE_3
	v_sub_u16_sdwa v27, v27, v88 dst_sel:DWORD dst_unused:UNUSED_PAD src0_sel:WORD_1 src1_sel:WORD_1
	v_or_b32_sdwa v115, v115, v116 dst_sel:DWORD dst_unused:UNUSED_PAD src0_sel:BYTE_0 src1_sel:DWORD
	v_or_b32_sdwa v26, v27, v26 dst_sel:WORD_1 dst_unused:UNUSED_PAD src0_sel:BYTE_0 src1_sel:DWORD
	v_or_b32_sdwa v123, v115, v26 dst_sel:DWORD dst_unused:UNUSED_PAD src0_sel:WORD_0 src1_sel:DWORD
	ds_read2_b32 v[115:116], v121 offset0:4 offset1:5
	v_ashrrev_i32_e32 v88, s2, v124
	v_lshlrev_b32_e32 v88, 2, v88
	v_and_b32_e32 v88, 0x4040404, v88
	v_ashrrev_i32_e32 v87, s2, v126
	s_waitcnt lgkmcnt(0)
	v_ashrrev_i32_e32 v26, s18, v115
	v_and_b32_e32 v27, 0x3030303, v26
	v_bfe_u32 v26, v26, 24, 2
	v_sub_u16_e32 v115, v27, v88
	v_sub_u16_sdwa v124, v27, v88 dst_sel:BYTE_1 dst_unused:UNUSED_PAD src0_sel:BYTE_1 src1_sel:BYTE_1
	v_sub_u16_sdwa v26, v26, v88 dst_sel:BYTE_1 dst_unused:UNUSED_PAD src0_sel:DWORD src1_sel:BYTE_3
	v_sub_u16_sdwa v27, v27, v88 dst_sel:DWORD dst_unused:UNUSED_PAD src0_sel:WORD_1 src1_sel:WORD_1
	v_or_b32_sdwa v115, v115, v124 dst_sel:DWORD dst_unused:UNUSED_PAD src0_sel:BYTE_0 src1_sel:DWORD
	v_or_b32_sdwa v26, v27, v26 dst_sel:WORD_1 dst_unused:UNUSED_PAD src0_sel:BYTE_0 src1_sel:DWORD
	v_ashrrev_i32_e32 v88, s2, v125
	v_or_b32_sdwa v124, v115, v26 dst_sel:DWORD dst_unused:UNUSED_PAD src0_sel:WORD_0 src1_sel:DWORD
	v_ashrrev_i32_e32 v26, s18, v116
	v_lshlrev_b32_e32 v88, 2, v88
	v_and_b32_e32 v27, 0x3030303, v26
	v_bfe_u32 v26, v26, 24, 2
	v_and_b32_e32 v88, 0x4040404, v88
	v_sub_u16_e32 v115, v27, v88
	v_sub_u16_sdwa v116, v27, v88 dst_sel:BYTE_1 dst_unused:UNUSED_PAD src0_sel:BYTE_1 src1_sel:BYTE_1
	v_sub_u16_sdwa v26, v26, v88 dst_sel:BYTE_1 dst_unused:UNUSED_PAD src0_sel:DWORD src1_sel:BYTE_3
	v_sub_u16_sdwa v27, v27, v88 dst_sel:DWORD dst_unused:UNUSED_PAD src0_sel:WORD_1 src1_sel:WORD_1
	v_or_b32_sdwa v115, v115, v116 dst_sel:DWORD dst_unused:UNUSED_PAD src0_sel:BYTE_0 src1_sel:DWORD
	v_or_b32_sdwa v26, v27, v26 dst_sel:WORD_1 dst_unused:UNUSED_PAD src0_sel:BYTE_0 src1_sel:DWORD
	v_or_b32_sdwa v125, v115, v26 dst_sel:DWORD dst_unused:UNUSED_PAD src0_sel:WORD_0 src1_sel:DWORD
	ds_read2_b32 v[115:116], v121 offset0:6 offset1:7
	v_lshlrev_b32_e32 v87, 2, v87
	v_and_b32_e32 v87, 0x4040404, v87
	s_and_b32 s28, s3, -16
	s_add_i32 s28, s19, s28
	s_waitcnt lgkmcnt(0)
	v_ashrrev_i32_e32 v26, s18, v115
	v_and_b32_e32 v27, 0x3030303, v26
	v_bfe_u32 v26, v26, 24, 2
	v_sub_u16_e32 v88, v27, v87
	v_sub_u16_sdwa v115, v27, v87 dst_sel:BYTE_1 dst_unused:UNUSED_PAD src0_sel:BYTE_1 src1_sel:BYTE_1
	v_sub_u16_sdwa v26, v26, v87 dst_sel:BYTE_1 dst_unused:UNUSED_PAD src0_sel:DWORD src1_sel:BYTE_3
	v_sub_u16_sdwa v27, v27, v87 dst_sel:DWORD dst_unused:UNUSED_PAD src0_sel:WORD_1 src1_sel:WORD_1
	v_or_b32_sdwa v88, v88, v115 dst_sel:DWORD dst_unused:UNUSED_PAD src0_sel:BYTE_0 src1_sel:DWORD
	v_or_b32_sdwa v26, v27, v26 dst_sel:WORD_1 dst_unused:UNUSED_PAD src0_sel:BYTE_0 src1_sel:DWORD
	v_ashrrev_i32_e32 v87, s2, v127
	v_or_b32_sdwa v126, v88, v26 dst_sel:DWORD dst_unused:UNUSED_PAD src0_sel:WORD_0 src1_sel:DWORD
	v_ashrrev_i32_e32 v26, s18, v116
	v_lshlrev_b32_e32 v87, 2, v87
	v_and_b32_e32 v27, 0x3030303, v26
	v_bfe_u32 v26, v26, 24, 2
	v_and_b32_e32 v87, 0x4040404, v87
	v_sub_u16_e32 v88, v27, v87
	v_sub_u16_sdwa v115, v27, v87 dst_sel:BYTE_1 dst_unused:UNUSED_PAD src0_sel:BYTE_1 src1_sel:BYTE_1
	v_sub_u16_sdwa v26, v26, v87 dst_sel:BYTE_1 dst_unused:UNUSED_PAD src0_sel:DWORD src1_sel:BYTE_3
	v_sub_u16_sdwa v27, v27, v87 dst_sel:DWORD dst_unused:UNUSED_PAD src0_sel:WORD_1 src1_sel:WORD_1
	v_or_b32_sdwa v88, v88, v115 dst_sel:DWORD dst_unused:UNUSED_PAD src0_sel:BYTE_0 src1_sel:DWORD
	v_or_b32_sdwa v26, v27, v26 dst_sel:WORD_1 dst_unused:UNUSED_PAD src0_sel:BYTE_0 src1_sel:DWORD
	v_or_b32_sdwa v127, v88, v26 dst_sel:DWORD dst_unused:UNUSED_PAD src0_sel:WORD_0 src1_sel:DWORD
	v_add_u32_e32 v26, 0x6300, v80
	v_add_u32_e32 v88, s28, v26
	ds_read_u16 v88, v88 offset:2
	v_dot4_i32_i8 v27, v93, v5, 0
	v_dot4_i32_i8 v27, v89, v6, v27
	v_dot4_i32_i8 v27, v122, v7, v27
	v_dot4_i32_i8 v27, v123, v8, v27
	s_waitcnt lgkmcnt(0)
	v_lshrrev_b16_e32 v89, 8, v88
	v_bfe_i32 v88, v88, 0, 8
	v_dot4_i32_i8 v87, v124, v1, 0
	v_mul_lo_u32 v88, v27, v88
	v_dot4_i32_i8 v87, v125, v2, v87
	v_dot4_i32_i8 v87, v126, v3, v87
	s_lshl_b32 s19, s30, 2
	v_dot4_i32_i8 v87, v127, v4, v87
	v_bfe_i32 v89, v89, 0, 8
	s_addk_i32 s19, 0x7380
	v_lshlrev_b32_e32 v115, 2, v30
	v_lshlrev_b32_e32 v116, 2, v63
	v_mad_u64_u32 v[88:89], s[30:31], v87, v89, v[88:89]
	v_add3_u32 v26, s19, v115, v116
	ds_read_b32 v26, v26
	v_cvt_f32_i32_e32 v27, v88
	v_add3_u32 v87, s29, v102, v103
	ds_read2_b32 v[122:123], v87 offset1:1
	s_add_i32 s3, s3, 2
	s_waitcnt lgkmcnt(1)
	v_mul_f32_e32 v26, v120, v26
	v_fmac_f32_e32 v29, v26, v27
	v_add_u32_e32 v26, 0x1080, v121
	ds_read2_b32 v[88:89], v26 offset1:1
	v_add_u32_e32 v119, 32, v119
	v_add_u32_e32 v118, 4, v118
	s_waitcnt lgkmcnt(0)
	v_ashrrev_i32_e32 v26, s18, v88
	v_ashrrev_i32_e32 v88, s2, v122
	v_lshlrev_b32_e32 v88, 2, v88
	v_and_b32_e32 v27, 0x3030303, v26
	v_bfe_u32 v26, v26, 24, 2
	v_and_b32_e32 v88, 0x4040404, v88
	v_sub_u16_e32 v93, v27, v88
	v_sub_u16_sdwa v122, v27, v88 dst_sel:BYTE_1 dst_unused:UNUSED_PAD src0_sel:BYTE_1 src1_sel:BYTE_1
	v_sub_u16_sdwa v26, v26, v88 dst_sel:BYTE_1 dst_unused:UNUSED_PAD src0_sel:DWORD src1_sel:BYTE_3
	v_sub_u16_sdwa v27, v27, v88 dst_sel:DWORD dst_unused:UNUSED_PAD src0_sel:WORD_1 src1_sel:WORD_1
	v_or_b32_sdwa v26, v27, v26 dst_sel:WORD_1 dst_unused:UNUSED_PAD src0_sel:BYTE_0 src1_sel:DWORD
	v_ashrrev_i32_e32 v27, s18, v89
	v_ashrrev_i32_e32 v89, s2, v123
	v_lshlrev_b32_e32 v89, 2, v89
	v_or_b32_sdwa v93, v93, v122 dst_sel:DWORD dst_unused:UNUSED_PAD src0_sel:BYTE_0 src1_sel:DWORD
	v_and_b32_e32 v88, 0x3030303, v27
	v_bfe_u32 v27, v27, 24, 2
	v_and_b32_e32 v89, 0x4040404, v89
	v_or_b32_sdwa v26, v93, v26 dst_sel:DWORD dst_unused:UNUSED_PAD src0_sel:WORD_0 src1_sel:DWORD
	v_sub_u16_e32 v93, v88, v89
	v_sub_u16_sdwa v122, v88, v89 dst_sel:BYTE_1 dst_unused:UNUSED_PAD src0_sel:BYTE_1 src1_sel:BYTE_1
	v_sub_u16_sdwa v27, v27, v89 dst_sel:BYTE_1 dst_unused:UNUSED_PAD src0_sel:DWORD src1_sel:BYTE_3
	v_sub_u16_sdwa v88, v88, v89 dst_sel:DWORD dst_unused:UNUSED_PAD src0_sel:WORD_1 src1_sel:WORD_1
	v_or_b32_sdwa v27, v88, v27 dst_sel:WORD_1 dst_unused:UNUSED_PAD src0_sel:BYTE_0 src1_sel:DWORD
	v_add_u32_e32 v88, 0x1088, v121
	v_or_b32_sdwa v93, v93, v122 dst_sel:DWORD dst_unused:UNUSED_PAD src0_sel:BYTE_0 src1_sel:DWORD
	ds_read2_b32 v[88:89], v88 offset1:1
	ds_read2_b32 v[122:123], v87 offset0:2 offset1:3
	v_or_b32_sdwa v27, v93, v27 dst_sel:DWORD dst_unused:UNUSED_PAD src0_sel:WORD_0 src1_sel:DWORD
	v_dot4_i32_i8 v26, v26, v5, 0
	v_dot4_i32_i8 v26, v27, v6, v26
	s_waitcnt lgkmcnt(1)
	v_ashrrev_i32_e32 v88, s18, v88
	s_waitcnt lgkmcnt(0)
	v_ashrrev_i32_e32 v122, s2, v122
	v_lshlrev_b32_e32 v122, 2, v122
	v_and_b32_e32 v93, 0x3030303, v88
	v_bfe_u32 v88, v88, 24, 2
	v_and_b32_e32 v122, 0x4040404, v122
	v_sub_u16_e32 v124, v93, v122
	v_sub_u16_sdwa v125, v93, v122 dst_sel:BYTE_1 dst_unused:UNUSED_PAD src0_sel:BYTE_1 src1_sel:BYTE_1
	v_sub_u16_sdwa v88, v88, v122 dst_sel:BYTE_1 dst_unused:UNUSED_PAD src0_sel:DWORD src1_sel:BYTE_3
	v_sub_u16_sdwa v93, v93, v122 dst_sel:DWORD dst_unused:UNUSED_PAD src0_sel:WORD_1 src1_sel:WORD_1
	v_or_b32_sdwa v124, v124, v125 dst_sel:DWORD dst_unused:UNUSED_PAD src0_sel:BYTE_0 src1_sel:DWORD
	v_or_b32_sdwa v88, v93, v88 dst_sel:WORD_1 dst_unused:UNUSED_PAD src0_sel:BYTE_0 src1_sel:DWORD
	v_ashrrev_i32_e32 v122, s2, v123
	v_or_b32_sdwa v93, v124, v88 dst_sel:DWORD dst_unused:UNUSED_PAD src0_sel:WORD_0 src1_sel:DWORD
	v_ashrrev_i32_e32 v88, s18, v89
	v_lshlrev_b32_e32 v122, 2, v122
	v_and_b32_e32 v89, 0x3030303, v88
	v_bfe_u32 v88, v88, 24, 2
	v_and_b32_e32 v122, 0x4040404, v122
	v_sub_u16_e32 v123, v89, v122
	v_sub_u16_sdwa v124, v89, v122 dst_sel:BYTE_1 dst_unused:UNUSED_PAD src0_sel:BYTE_1 src1_sel:BYTE_1
	v_sub_u16_sdwa v88, v88, v122 dst_sel:BYTE_1 dst_unused:UNUSED_PAD src0_sel:DWORD src1_sel:BYTE_3
	v_sub_u16_sdwa v89, v89, v122 dst_sel:DWORD dst_unused:UNUSED_PAD src0_sel:WORD_1 src1_sel:WORD_1
	v_or_b32_sdwa v123, v123, v124 dst_sel:DWORD dst_unused:UNUSED_PAD src0_sel:BYTE_0 src1_sel:DWORD
	v_or_b32_sdwa v88, v89, v88 dst_sel:WORD_1 dst_unused:UNUSED_PAD src0_sel:BYTE_0 src1_sel:DWORD
	v_or_b32_sdwa v124, v123, v88 dst_sel:DWORD dst_unused:UNUSED_PAD src0_sel:WORD_0 src1_sel:DWORD
	v_add_u32_e32 v88, 0x1090, v121
	ds_read2_b32 v[88:89], v88 offset1:1
	ds_read2_b32 v[122:123], v87 offset0:4 offset1:5
	v_dot4_i32_i8 v26, v93, v7, v26
	v_dot4_i32_i8 v26, v124, v8, v26
	s_waitcnt lgkmcnt(1)
	v_ashrrev_i32_e32 v88, s18, v88
	s_waitcnt lgkmcnt(0)
	v_ashrrev_i32_e32 v122, s2, v122
	v_lshlrev_b32_e32 v122, 2, v122
	v_and_b32_e32 v125, 0x3030303, v88
	v_bfe_u32 v88, v88, 24, 2
	v_and_b32_e32 v122, 0x4040404, v122
	v_sub_u16_e32 v126, v125, v122
	v_sub_u16_sdwa v127, v125, v122 dst_sel:BYTE_1 dst_unused:UNUSED_PAD src0_sel:BYTE_1 src1_sel:BYTE_1
	v_sub_u16_sdwa v88, v88, v122 dst_sel:BYTE_1 dst_unused:UNUSED_PAD src0_sel:DWORD src1_sel:BYTE_3
	v_sub_u16_sdwa v122, v125, v122 dst_sel:DWORD dst_unused:UNUSED_PAD src0_sel:WORD_1 src1_sel:WORD_1
	v_or_b32_sdwa v126, v126, v127 dst_sel:DWORD dst_unused:UNUSED_PAD src0_sel:BYTE_0 src1_sel:DWORD
	v_or_b32_sdwa v88, v122, v88 dst_sel:WORD_1 dst_unused:UNUSED_PAD src0_sel:BYTE_0 src1_sel:DWORD
	v_ashrrev_i32_e32 v122, s2, v123
	v_or_b32_sdwa v125, v126, v88 dst_sel:DWORD dst_unused:UNUSED_PAD src0_sel:WORD_0 src1_sel:DWORD
	v_ashrrev_i32_e32 v88, s18, v89
	v_lshlrev_b32_e32 v122, 2, v122
	v_and_b32_e32 v89, 0x3030303, v88
	v_bfe_u32 v88, v88, 24, 2
	v_and_b32_e32 v122, 0x4040404, v122
	v_sub_u16_e32 v123, v89, v122
	v_sub_u16_sdwa v126, v89, v122 dst_sel:BYTE_1 dst_unused:UNUSED_PAD src0_sel:BYTE_1 src1_sel:BYTE_1
	v_sub_u16_sdwa v88, v88, v122 dst_sel:BYTE_1 dst_unused:UNUSED_PAD src0_sel:DWORD src1_sel:BYTE_3
	v_sub_u16_sdwa v89, v89, v122 dst_sel:DWORD dst_unused:UNUSED_PAD src0_sel:WORD_1 src1_sel:WORD_1
	v_or_b32_sdwa v123, v123, v126 dst_sel:DWORD dst_unused:UNUSED_PAD src0_sel:BYTE_0 src1_sel:DWORD
	v_or_b32_sdwa v88, v89, v88 dst_sel:WORD_1 dst_unused:UNUSED_PAD src0_sel:BYTE_0 src1_sel:DWORD
	v_or_b32_sdwa v126, v123, v88 dst_sel:DWORD dst_unused:UNUSED_PAD src0_sel:WORD_0 src1_sel:DWORD
	v_add_u32_e32 v88, 0x1098, v121
	ds_read2_b32 v[88:89], v88 offset1:1
	ds_read2_b32 v[122:123], v87 offset0:6 offset1:7
	v_dot4_i32_i8 v27, v125, v1, 0
	v_dot4_i32_i8 v27, v126, v2, v27
	s_waitcnt lgkmcnt(1)
	v_ashrrev_i32_e32 v88, s18, v88
	s_waitcnt lgkmcnt(0)
	v_ashrrev_i32_e32 v87, s2, v122
	v_lshlrev_b32_e32 v87, 2, v87
	v_and_b32_e32 v127, 0x3030303, v88
	v_bfe_u32 v88, v88, 24, 2
	v_and_b32_e32 v87, 0x4040404, v87
	v_sub_u16_e32 v122, v127, v87
	v_sub_u16_sdwa v61, v127, v87 dst_sel:BYTE_1 dst_unused:UNUSED_PAD src0_sel:BYTE_1 src1_sel:BYTE_1
	v_sub_u16_sdwa v88, v88, v87 dst_sel:BYTE_1 dst_unused:UNUSED_PAD src0_sel:DWORD src1_sel:BYTE_3
	v_sub_u16_sdwa v87, v127, v87 dst_sel:DWORD dst_unused:UNUSED_PAD src0_sel:WORD_1 src1_sel:WORD_1
	v_or_b32_sdwa v61, v122, v61 dst_sel:DWORD dst_unused:UNUSED_PAD src0_sel:BYTE_0 src1_sel:DWORD
	v_or_b32_sdwa v87, v87, v88 dst_sel:WORD_1 dst_unused:UNUSED_PAD src0_sel:BYTE_0 src1_sel:DWORD
	v_or_b32_sdwa v61, v61, v87 dst_sel:DWORD dst_unused:UNUSED_PAD src0_sel:WORD_0 src1_sel:DWORD
	v_ashrrev_i32_e32 v87, s18, v89
	v_ashrrev_i32_e32 v89, s2, v123
	v_lshlrev_b32_e32 v89, 2, v89
	v_and_b32_e32 v88, 0x3030303, v87
	v_bfe_u32 v87, v87, 24, 2
	v_and_b32_e32 v89, 0x4040404, v89
	v_sub_u16_e32 v122, v88, v89
	v_sub_u16_sdwa v123, v88, v89 dst_sel:BYTE_1 dst_unused:UNUSED_PAD src0_sel:BYTE_1 src1_sel:BYTE_1
	v_sub_u16_sdwa v87, v87, v89 dst_sel:BYTE_1 dst_unused:UNUSED_PAD src0_sel:DWORD src1_sel:BYTE_3
	v_sub_u16_sdwa v88, v88, v89 dst_sel:DWORD dst_unused:UNUSED_PAD src0_sel:WORD_1 src1_sel:WORD_1
	v_or_b32_sdwa v87, v88, v87 dst_sel:WORD_1 dst_unused:UNUSED_PAD src0_sel:BYTE_0 src1_sel:DWORD
	v_add_u32_e32 v88, 0x6700, v79
	v_or_b32_sdwa v122, v122, v123 dst_sel:DWORD dst_unused:UNUSED_PAD src0_sel:BYTE_0 src1_sel:DWORD
	v_add_u32_e32 v88, s28, v88
	v_add3_u32 v89, s19, v104, v105
	v_or_b32_sdwa v87, v122, v87 dst_sel:DWORD dst_unused:UNUSED_PAD src0_sel:WORD_0 src1_sel:DWORD
	ds_read_b32 v122, v89
	v_dot4_i32_i8 v27, v61, v3, v27
	ds_read_u16 v61, v88 offset:2
	v_dot4_i32_i8 v27, v87, v4, v27
	s_waitcnt lgkmcnt(0)
	v_lshrrev_b16_e32 v87, 8, v61
	v_bfe_i32 v61, v61, 0, 8
	v_mul_lo_u32 v88, v26, v61
	v_bfe_i32 v87, v87, 0, 8
	v_mul_f32_e32 v26, v120, v122
	v_add3_u32 v61, s29, v106, v107
	v_mad_u64_u32 v[88:89], s[30:31], v27, v87, v[88:89]
	ds_read2_b32 v[124:125], v61 offset1:1
	ds_read2_b32 v[126:127], v61 offset0:4 offset1:5
	v_cvt_f32_i32_e32 v27, v88
	s_waitcnt lgkmcnt(1)
	v_ashrrev_i32_e32 v87, s2, v124
	v_fmac_f32_e32 v76, v26, v27
	v_add_u32_e32 v26, 0x2100, v121
	ds_read2_b32 v[122:123], v26 offset1:1
	v_lshlrev_b32_e32 v87, 2, v87
	v_and_b32_e32 v87, 0x4040404, v87
	s_waitcnt lgkmcnt(0)
	v_ashrrev_i32_e32 v26, s18, v122
	v_and_b32_e32 v27, 0x3030303, v26
	v_bfe_u32 v26, v26, 24, 2
	v_sub_u16_e32 v88, v27, v87
	v_sub_u16_sdwa v89, v27, v87 dst_sel:BYTE_1 dst_unused:UNUSED_PAD src0_sel:BYTE_1 src1_sel:BYTE_1
	v_sub_u16_sdwa v26, v26, v87 dst_sel:BYTE_1 dst_unused:UNUSED_PAD src0_sel:DWORD src1_sel:BYTE_3
	v_sub_u16_sdwa v27, v27, v87 dst_sel:DWORD dst_unused:UNUSED_PAD src0_sel:WORD_1 src1_sel:WORD_1
	v_or_b32_sdwa v88, v88, v89 dst_sel:DWORD dst_unused:UNUSED_PAD src0_sel:BYTE_0 src1_sel:DWORD
	v_or_b32_sdwa v26, v27, v26 dst_sel:WORD_1 dst_unused:UNUSED_PAD src0_sel:BYTE_0 src1_sel:DWORD
	v_ashrrev_i32_e32 v87, s2, v125
	v_or_b32_sdwa v89, v88, v26 dst_sel:DWORD dst_unused:UNUSED_PAD src0_sel:WORD_0 src1_sel:DWORD
	v_ashrrev_i32_e32 v26, s18, v123
	v_lshlrev_b32_e32 v87, 2, v87
	v_and_b32_e32 v27, 0x3030303, v26
	v_bfe_u32 v26, v26, 24, 2
	v_and_b32_e32 v87, 0x4040404, v87
	v_sub_u16_e32 v88, v27, v87
	v_sub_u16_sdwa v93, v27, v87 dst_sel:BYTE_1 dst_unused:UNUSED_PAD src0_sel:BYTE_1 src1_sel:BYTE_1
	v_sub_u16_sdwa v26, v26, v87 dst_sel:BYTE_1 dst_unused:UNUSED_PAD src0_sel:DWORD src1_sel:BYTE_3
	v_sub_u16_sdwa v27, v27, v87 dst_sel:DWORD dst_unused:UNUSED_PAD src0_sel:WORD_1 src1_sel:WORD_1
	v_or_b32_sdwa v88, v88, v93 dst_sel:DWORD dst_unused:UNUSED_PAD src0_sel:BYTE_0 src1_sel:DWORD
	v_or_b32_sdwa v26, v27, v26 dst_sel:WORD_1 dst_unused:UNUSED_PAD src0_sel:BYTE_0 src1_sel:DWORD
	v_or_b32_sdwa v93, v88, v26 dst_sel:DWORD dst_unused:UNUSED_PAD src0_sel:WORD_0 src1_sel:DWORD
	v_add_u32_e32 v26, 0x2108, v121
	ds_read2_b32 v[122:123], v26 offset1:1
	ds_read2_b32 v[124:125], v61 offset0:2 offset1:3
	s_waitcnt lgkmcnt(1)
	v_ashrrev_i32_e32 v26, s18, v122
	s_waitcnt lgkmcnt(0)
	v_ashrrev_i32_e32 v87, s2, v124
	v_lshlrev_b32_e32 v87, 2, v87
	v_and_b32_e32 v27, 0x3030303, v26
	v_bfe_u32 v26, v26, 24, 2
	v_and_b32_e32 v87, 0x4040404, v87
	v_sub_u16_e32 v88, v27, v87
	v_sub_u16_sdwa v122, v27, v87 dst_sel:BYTE_1 dst_unused:UNUSED_PAD src0_sel:BYTE_1 src1_sel:BYTE_1
	v_sub_u16_sdwa v26, v26, v87 dst_sel:BYTE_1 dst_unused:UNUSED_PAD src0_sel:DWORD src1_sel:BYTE_3
	v_sub_u16_sdwa v27, v27, v87 dst_sel:DWORD dst_unused:UNUSED_PAD src0_sel:WORD_1 src1_sel:WORD_1
	v_or_b32_sdwa v88, v88, v122 dst_sel:DWORD dst_unused:UNUSED_PAD src0_sel:BYTE_0 src1_sel:DWORD
	v_or_b32_sdwa v26, v27, v26 dst_sel:WORD_1 dst_unused:UNUSED_PAD src0_sel:BYTE_0 src1_sel:DWORD
	v_ashrrev_i32_e32 v87, s2, v125
	v_or_b32_sdwa v122, v88, v26 dst_sel:DWORD dst_unused:UNUSED_PAD src0_sel:WORD_0 src1_sel:DWORD
	v_ashrrev_i32_e32 v26, s18, v123
	v_lshlrev_b32_e32 v87, 2, v87
	v_and_b32_e32 v27, 0x3030303, v26
	v_bfe_u32 v26, v26, 24, 2
	v_and_b32_e32 v87, 0x4040404, v87
	v_sub_u16_e32 v88, v27, v87
	v_sub_u16_sdwa v123, v27, v87 dst_sel:BYTE_1 dst_unused:UNUSED_PAD src0_sel:BYTE_1 src1_sel:BYTE_1
	v_sub_u16_sdwa v26, v26, v87 dst_sel:BYTE_1 dst_unused:UNUSED_PAD src0_sel:DWORD src1_sel:BYTE_3
	v_sub_u16_sdwa v27, v27, v87 dst_sel:DWORD dst_unused:UNUSED_PAD src0_sel:WORD_1 src1_sel:WORD_1
	v_or_b32_sdwa v88, v88, v123 dst_sel:DWORD dst_unused:UNUSED_PAD src0_sel:BYTE_0 src1_sel:DWORD
	v_or_b32_sdwa v26, v27, v26 dst_sel:WORD_1 dst_unused:UNUSED_PAD src0_sel:BYTE_0 src1_sel:DWORD
	v_or_b32_sdwa v123, v88, v26 dst_sel:DWORD dst_unused:UNUSED_PAD src0_sel:WORD_0 src1_sel:DWORD
	v_add_u32_e32 v26, 0x2110, v121
	ds_read2_b32 v[124:125], v26 offset1:1
	v_ashrrev_i32_e32 v87, s2, v126
	v_lshlrev_b32_e32 v87, 2, v87
	v_and_b32_e32 v87, 0x4040404, v87
	s_waitcnt lgkmcnt(0)
	v_ashrrev_i32_e32 v26, s18, v124
	v_and_b32_e32 v27, 0x3030303, v26
	v_bfe_u32 v26, v26, 24, 2
	v_sub_u16_e32 v88, v27, v87
	v_sub_u16_sdwa v124, v27, v87 dst_sel:BYTE_1 dst_unused:UNUSED_PAD src0_sel:BYTE_1 src1_sel:BYTE_1
	v_sub_u16_sdwa v26, v26, v87 dst_sel:BYTE_1 dst_unused:UNUSED_PAD src0_sel:DWORD src1_sel:BYTE_3
	v_sub_u16_sdwa v27, v27, v87 dst_sel:DWORD dst_unused:UNUSED_PAD src0_sel:WORD_1 src1_sel:WORD_1
	v_or_b32_sdwa v88, v88, v124 dst_sel:DWORD dst_unused:UNUSED_PAD src0_sel:BYTE_0 src1_sel:DWORD
	v_or_b32_sdwa v26, v27, v26 dst_sel:WORD_1 dst_unused:UNUSED_PAD src0_sel:BYTE_0 src1_sel:DWORD
	v_ashrrev_i32_e32 v87, s2, v127
	v_or_b32_sdwa v124, v88, v26 dst_sel:DWORD dst_unused:UNUSED_PAD src0_sel:WORD_0 src1_sel:DWORD
	v_ashrrev_i32_e32 v26, s18, v125
	v_lshlrev_b32_e32 v87, 2, v87
	v_and_b32_e32 v27, 0x3030303, v26
	v_bfe_u32 v26, v26, 24, 2
	v_and_b32_e32 v87, 0x4040404, v87
	v_sub_u16_e32 v88, v27, v87
	v_sub_u16_sdwa v125, v27, v87 dst_sel:BYTE_1 dst_unused:UNUSED_PAD src0_sel:BYTE_1 src1_sel:BYTE_1
	v_sub_u16_sdwa v26, v26, v87 dst_sel:BYTE_1 dst_unused:UNUSED_PAD src0_sel:DWORD src1_sel:BYTE_3
	v_sub_u16_sdwa v27, v27, v87 dst_sel:DWORD dst_unused:UNUSED_PAD src0_sel:WORD_1 src1_sel:WORD_1
	v_or_b32_sdwa v88, v88, v125 dst_sel:DWORD dst_unused:UNUSED_PAD src0_sel:BYTE_0 src1_sel:DWORD
	v_or_b32_sdwa v26, v27, v26 dst_sel:WORD_1 dst_unused:UNUSED_PAD src0_sel:BYTE_0 src1_sel:DWORD
	v_or_b32_sdwa v125, v88, v26 dst_sel:DWORD dst_unused:UNUSED_PAD src0_sel:WORD_0 src1_sel:DWORD
	v_add_u32_e32 v26, 0x2118, v121
	ds_read2_b32 v[126:127], v26 offset1:1
	ds_read2_b32 v[87:88], v61 offset0:6 offset1:7
	s_waitcnt lgkmcnt(1)
	v_ashrrev_i32_e32 v26, s18, v126
	s_waitcnt lgkmcnt(0)
	v_ashrrev_i32_e32 v61, s2, v87
	v_lshlrev_b32_e32 v61, 2, v61
	v_and_b32_e32 v27, 0x3030303, v26
	v_bfe_u32 v26, v26, 24, 2
	v_and_b32_e32 v61, 0x4040404, v61
	v_sub_u16_e32 v87, v27, v61
	v_sub_u16_sdwa v126, v27, v61 dst_sel:BYTE_1 dst_unused:UNUSED_PAD src0_sel:BYTE_1 src1_sel:BYTE_1
	v_sub_u16_sdwa v26, v26, v61 dst_sel:BYTE_1 dst_unused:UNUSED_PAD src0_sel:DWORD src1_sel:BYTE_3
	v_sub_u16_sdwa v27, v27, v61 dst_sel:DWORD dst_unused:UNUSED_PAD src0_sel:WORD_1 src1_sel:WORD_1
	v_or_b32_sdwa v87, v87, v126 dst_sel:DWORD dst_unused:UNUSED_PAD src0_sel:BYTE_0 src1_sel:DWORD
	v_or_b32_sdwa v26, v27, v26 dst_sel:WORD_1 dst_unused:UNUSED_PAD src0_sel:BYTE_0 src1_sel:DWORD
	v_ashrrev_i32_e32 v61, s2, v88
	v_or_b32_sdwa v126, v87, v26 dst_sel:DWORD dst_unused:UNUSED_PAD src0_sel:WORD_0 src1_sel:DWORD
	v_ashrrev_i32_e32 v26, s18, v127
	v_lshlrev_b32_e32 v61, 2, v61
	v_and_b32_e32 v27, 0x3030303, v26
	v_bfe_u32 v26, v26, 24, 2
	v_and_b32_e32 v61, 0x4040404, v61
	v_sub_u16_e32 v87, v27, v61
	v_sub_u16_sdwa v88, v27, v61 dst_sel:BYTE_1 dst_unused:UNUSED_PAD src0_sel:BYTE_1 src1_sel:BYTE_1
	v_sub_u16_sdwa v26, v26, v61 dst_sel:BYTE_1 dst_unused:UNUSED_PAD src0_sel:DWORD src1_sel:BYTE_3
	v_sub_u16_sdwa v27, v27, v61 dst_sel:DWORD dst_unused:UNUSED_PAD src0_sel:WORD_1 src1_sel:WORD_1
	v_or_b32_sdwa v87, v87, v88 dst_sel:DWORD dst_unused:UNUSED_PAD src0_sel:BYTE_0 src1_sel:DWORD
	v_or_b32_sdwa v26, v27, v26 dst_sel:WORD_1 dst_unused:UNUSED_PAD src0_sel:BYTE_0 src1_sel:DWORD
	v_or_b32_sdwa v127, v87, v26 dst_sel:DWORD dst_unused:UNUSED_PAD src0_sel:WORD_0 src1_sel:DWORD
	v_add_u32_e32 v26, 0x6b00, v78
	v_add_u32_e32 v26, s28, v26
	v_add3_u32 v27, s19, v108, v109
	ds_read_b32 v27, v27
	ds_read_u16 v26, v26 offset:2
	v_dot4_i32_i8 v61, v89, v5, 0
	v_dot4_i32_i8 v87, v124, v1, 0
	;; [unrolled: 1-line block ×8, first 2 shown]
	s_waitcnt lgkmcnt(0)
	v_lshrrev_b16_e32 v87, 8, v26
	v_bfe_i32 v26, v26, 0, 8
	v_bfe_i32 v89, v87, 0, 8
	v_mul_lo_u32 v87, v61, v26
	v_mul_f32_e32 v26, v120, v27
	v_add3_u32 v61, s29, v110, v111
	ds_read2_b32 v[122:123], v61 offset1:1
	v_mad_u64_u32 v[87:88], s[30:31], v88, v89, v[87:88]
	ds_read2_b32 v[124:125], v61 offset0:2 offset1:3
	ds_read2_b32 v[126:127], v61 offset0:4 offset1:5
	v_cvt_f32_i32_e32 v27, v87
	v_fmac_f32_e32 v75, v26, v27
	v_add_u32_e32 v26, 0x3180, v121
	ds_read2_b32 v[87:88], v26 offset1:1
	s_waitcnt lgkmcnt(0)
	v_ashrrev_i32_e32 v26, s18, v87
	v_ashrrev_i32_e32 v87, s2, v122
	v_lshlrev_b32_e32 v87, 2, v87
	v_and_b32_e32 v27, 0x3030303, v26
	v_bfe_u32 v26, v26, 24, 2
	v_and_b32_e32 v87, 0x4040404, v87
	v_sub_u16_e32 v89, v27, v87
	v_sub_u16_sdwa v93, v27, v87 dst_sel:BYTE_1 dst_unused:UNUSED_PAD src0_sel:BYTE_1 src1_sel:BYTE_1
	v_sub_u16_sdwa v26, v26, v87 dst_sel:BYTE_1 dst_unused:UNUSED_PAD src0_sel:DWORD src1_sel:BYTE_3
	v_sub_u16_sdwa v27, v27, v87 dst_sel:DWORD dst_unused:UNUSED_PAD src0_sel:WORD_1 src1_sel:WORD_1
	v_or_b32_sdwa v89, v89, v93 dst_sel:DWORD dst_unused:UNUSED_PAD src0_sel:BYTE_0 src1_sel:DWORD
	v_or_b32_sdwa v26, v27, v26 dst_sel:WORD_1 dst_unused:UNUSED_PAD src0_sel:BYTE_0 src1_sel:DWORD
	v_ashrrev_i32_e32 v87, s2, v123
	v_or_b32_sdwa v122, v89, v26 dst_sel:DWORD dst_unused:UNUSED_PAD src0_sel:WORD_0 src1_sel:DWORD
	v_ashrrev_i32_e32 v26, s18, v88
	v_lshlrev_b32_e32 v87, 2, v87
	v_and_b32_e32 v27, 0x3030303, v26
	v_bfe_u32 v26, v26, 24, 2
	v_and_b32_e32 v87, 0x4040404, v87
	v_sub_u16_e32 v88, v27, v87
	v_sub_u16_sdwa v89, v27, v87 dst_sel:BYTE_1 dst_unused:UNUSED_PAD src0_sel:BYTE_1 src1_sel:BYTE_1
	v_sub_u16_sdwa v26, v26, v87 dst_sel:BYTE_1 dst_unused:UNUSED_PAD src0_sel:DWORD src1_sel:BYTE_3
	v_sub_u16_sdwa v27, v27, v87 dst_sel:DWORD dst_unused:UNUSED_PAD src0_sel:WORD_1 src1_sel:WORD_1
	v_or_b32_sdwa v88, v88, v89 dst_sel:DWORD dst_unused:UNUSED_PAD src0_sel:BYTE_0 src1_sel:DWORD
	v_or_b32_sdwa v26, v27, v26 dst_sel:WORD_1 dst_unused:UNUSED_PAD src0_sel:BYTE_0 src1_sel:DWORD
	v_or_b32_sdwa v123, v88, v26 dst_sel:DWORD dst_unused:UNUSED_PAD src0_sel:WORD_0 src1_sel:DWORD
	v_add_u32_e32 v26, 0x3188, v121
	ds_read2_b32 v[87:88], v26 offset1:1
	v_dot4_i32_i8 v5, v122, v5, 0
	v_dot4_i32_i8 v5, v123, v6, v5
	s_waitcnt lgkmcnt(0)
	v_ashrrev_i32_e32 v26, s18, v87
	v_ashrrev_i32_e32 v87, s2, v124
	v_lshlrev_b32_e32 v87, 2, v87
	v_and_b32_e32 v27, 0x3030303, v26
	v_bfe_u32 v26, v26, 24, 2
	v_and_b32_e32 v87, 0x4040404, v87
	v_sub_u16_e32 v89, v27, v87
	v_sub_u16_sdwa v93, v27, v87 dst_sel:BYTE_1 dst_unused:UNUSED_PAD src0_sel:BYTE_1 src1_sel:BYTE_1
	v_sub_u16_sdwa v26, v26, v87 dst_sel:BYTE_1 dst_unused:UNUSED_PAD src0_sel:DWORD src1_sel:BYTE_3
	v_sub_u16_sdwa v27, v27, v87 dst_sel:DWORD dst_unused:UNUSED_PAD src0_sel:WORD_1 src1_sel:WORD_1
	v_or_b32_sdwa v89, v89, v93 dst_sel:DWORD dst_unused:UNUSED_PAD src0_sel:BYTE_0 src1_sel:DWORD
	v_or_b32_sdwa v26, v27, v26 dst_sel:WORD_1 dst_unused:UNUSED_PAD src0_sel:BYTE_0 src1_sel:DWORD
	v_ashrrev_i32_e32 v87, s2, v125
	v_or_b32_sdwa v124, v89, v26 dst_sel:DWORD dst_unused:UNUSED_PAD src0_sel:WORD_0 src1_sel:DWORD
	v_ashrrev_i32_e32 v26, s18, v88
	v_lshlrev_b32_e32 v87, 2, v87
	v_and_b32_e32 v27, 0x3030303, v26
	v_bfe_u32 v26, v26, 24, 2
	v_and_b32_e32 v87, 0x4040404, v87
	v_sub_u16_e32 v88, v27, v87
	v_sub_u16_sdwa v89, v27, v87 dst_sel:BYTE_1 dst_unused:UNUSED_PAD src0_sel:BYTE_1 src1_sel:BYTE_1
	v_sub_u16_sdwa v26, v26, v87 dst_sel:BYTE_1 dst_unused:UNUSED_PAD src0_sel:DWORD src1_sel:BYTE_3
	v_sub_u16_sdwa v27, v27, v87 dst_sel:DWORD dst_unused:UNUSED_PAD src0_sel:WORD_1 src1_sel:WORD_1
	v_or_b32_sdwa v88, v88, v89 dst_sel:DWORD dst_unused:UNUSED_PAD src0_sel:BYTE_0 src1_sel:DWORD
	v_or_b32_sdwa v26, v27, v26 dst_sel:WORD_1 dst_unused:UNUSED_PAD src0_sel:BYTE_0 src1_sel:DWORD
	v_or_b32_sdwa v125, v88, v26 dst_sel:DWORD dst_unused:UNUSED_PAD src0_sel:WORD_0 src1_sel:DWORD
	v_add_u32_e32 v26, 0x3190, v121
	ds_read2_b32 v[87:88], v26 offset1:1
	v_dot4_i32_i8 v5, v124, v7, v5
	v_dot4_i32_i8 v5, v125, v8, v5
	;; [unrolled: 31-line block ×3, first 2 shown]
	s_waitcnt lgkmcnt(0)
	v_ashrrev_i32_e32 v26, s18, v87
	v_and_b32_e32 v87, 0x3030303, v26
	v_bfe_u32 v89, v26, 24, 2
	ds_read2_b32 v[26:27], v61 offset0:6 offset1:7
	s_waitcnt lgkmcnt(0)
	v_ashrrev_i32_e32 v26, s2, v26
	v_lshlrev_b32_e32 v26, 2, v26
	v_and_b32_e32 v26, 0x4040404, v26
	v_sub_u16_e32 v61, v87, v26
	v_sub_u16_sdwa v93, v87, v26 dst_sel:BYTE_1 dst_unused:UNUSED_PAD src0_sel:BYTE_1 src1_sel:BYTE_1
	v_sub_u16_sdwa v89, v89, v26 dst_sel:BYTE_1 dst_unused:UNUSED_PAD src0_sel:DWORD src1_sel:BYTE_3
	v_sub_u16_sdwa v26, v87, v26 dst_sel:DWORD dst_unused:UNUSED_PAD src0_sel:WORD_1 src1_sel:WORD_1
	v_or_b32_sdwa v61, v61, v93 dst_sel:DWORD dst_unused:UNUSED_PAD src0_sel:BYTE_0 src1_sel:DWORD
	v_or_b32_sdwa v26, v26, v89 dst_sel:WORD_1 dst_unused:UNUSED_PAD src0_sel:BYTE_0 src1_sel:DWORD
	v_ashrrev_i32_e32 v27, s2, v27
	v_or_b32_sdwa v121, v61, v26 dst_sel:DWORD dst_unused:UNUSED_PAD src0_sel:WORD_0 src1_sel:DWORD
	v_ashrrev_i32_e32 v26, s18, v88
	v_lshlrev_b32_e32 v27, 2, v27
	v_and_b32_e32 v61, 0x3030303, v26
	v_bfe_u32 v26, v26, 24, 2
	v_and_b32_e32 v27, 0x4040404, v27
	v_sub_u16_e32 v87, v61, v27
	v_sub_u16_sdwa v88, v61, v27 dst_sel:BYTE_1 dst_unused:UNUSED_PAD src0_sel:BYTE_1 src1_sel:BYTE_1
	v_sub_u16_sdwa v26, v26, v27 dst_sel:BYTE_1 dst_unused:UNUSED_PAD src0_sel:DWORD src1_sel:BYTE_3
	v_sub_u16_sdwa v27, v61, v27 dst_sel:DWORD dst_unused:UNUSED_PAD src0_sel:WORD_1 src1_sel:WORD_1
	v_or_b32_sdwa v87, v87, v88 dst_sel:DWORD dst_unused:UNUSED_PAD src0_sel:BYTE_0 src1_sel:DWORD
	v_or_b32_sdwa v26, v27, v26 dst_sel:WORD_1 dst_unused:UNUSED_PAD src0_sel:BYTE_0 src1_sel:DWORD
	v_add_u32_e32 v89, 0x6f00, v77
	v_or_b32_sdwa v93, v87, v26 dst_sel:DWORD dst_unused:UNUSED_PAD src0_sel:WORD_0 src1_sel:DWORD
	v_add_u32_e32 v88, s28, v89
	v_add3_u32 v26, s19, v112, v113
	v_dot4_i32_i8 v1, v121, v3, v1
	ds_read_b32 v89, v26
	v_dot4_i32_i8 v2, v93, v4, v1
	ds_read_u16 v1, v88 offset:2
	s_add_i32 s2, s2, 1
	s_cmp_lt_u32 s18, 6
	s_mov_b32 s19, s18
	s_waitcnt lgkmcnt(0)
	v_lshrrev_b16_e32 v3, 8, v1
	v_bfe_i32 v1, v1, 0, 8
	v_mul_lo_u32 v1, v5, v1
	v_bfe_i32 v3, v3, 0, 8
	v_mad_u64_u32 v[1:2], s[28:29], v2, v3, v[1:2]
	v_mul_f32_e32 v2, v120, v89
	v_cvt_f32_i32_e32 v1, v1
	v_fmac_f32_e32 v25, v2, v1
	s_cbranch_scc1 .LBB210_11
; %bb.12:                               ;   in Loop: Header=BB210_5 Depth=1
	s_or_b32 s2, s26, 0x80
	s_cmp_ge_i32 s2, s9
	s_barrier
	s_cbranch_scc1 .LBB210_4
; %bb.13:                               ;   in Loop: Header=BB210_5 Depth=1
	v_add_u32_e32 v1, s27, v28
	v_cmp_gt_i32_e64 s[2:3], s12, v1
	s_and_b64 s[18:19], s[0:1], s[2:3]
	s_and_saveexec_b64 s[2:3], s[18:19]
	s_cbranch_execz .LBB210_15
; %bb.14:                               ;   in Loop: Header=BB210_5 Depth=1
	buffer_load_dword v2, off, s[36:39], 0  ; 4-byte Folded Reload
	buffer_load_dword v3, off, s[36:39], 0 offset:4 ; 4-byte Folded Reload
	v_add_u32_e32 v1, v90, v1
	s_waitcnt vmcnt(0)
	v_mad_i64_i32 v[1:2], s[18:19], v1, 36, v[2:3]
	global_load_dword v1, v[1:2], off offset:4
	s_waitcnt vmcnt(0)
	ds_write_b32 v72, v1
.LBB210_15:                             ;   in Loop: Header=BB210_5 Depth=1
	s_or_b64 exec, exec, s[2:3]
	s_and_saveexec_b64 s[18:19], vcc
	s_cbranch_execz .LBB210_18
; %bb.16:                               ;   in Loop: Header=BB210_5 Depth=1
	v_or_b32_e32 v1, 4, v117
	v_cmp_gt_i32_e64 s[2:3], s12, v1
	s_and_b64 s[2:3], s[0:1], s[2:3]
	s_and_b64 exec, exec, s[2:3]
	s_cbranch_execz .LBB210_18
; %bb.17:                               ;   in Loop: Header=BB210_5 Depth=1
	v_ashrrev_i32_e32 v1, 31, v117
	v_add_co_u32_e64 v2, s[2:3], v90, v117
	v_ashrrev_i32_e32 v3, 31, v90
	v_addc_co_u32_e64 v3, s[2:3], v3, v1, s[2:3]
	v_mad_u64_u32 v[1:2], s[2:3], v2, 36, s[6:7]
	v_mad_i32_i24 v2, v3, 36, v2
	global_load_dword v1, v[1:2], off offset:144
	s_waitcnt vmcnt(0)
	v_cvt_f32_f16_e32 v1, v1
	ds_write_b32 v74, v1
.LBB210_18:                             ;   in Loop: Header=BB210_5 Depth=1
	s_or_b64 exec, exec, s[18:19]
	s_mov_b32 s2, 8
	s_mov_b32 s19, 6
	;; [unrolled: 1-line block ×3, first 2 shown]
	v_mov_b32_e32 v118, v71
	v_mov_b32_e32 v119, v73
	s_waitcnt lgkmcnt(0)
	s_barrier
.LBB210_19:                             ;   Parent Loop BB210_5 Depth=1
                                        ; =>  This Inner Loop Header: Depth=2
	s_add_i32 s18, s19, 2
	s_lshr_b32 s31, s18, 4
	s_and_b32 s30, s18, 0x3ffffff8
	v_lshl_add_u32 v121, s30, 2, v91
	s_lshl_b32 s30, s31, 5
	s_addk_i32 s30, 0x4200
	v_add3_u32 v126, s30, v114, v101
	ds_read_b32 v120, v119
	ds_read_b128 v[5:8], v118
	ds_read_b128 v[1:4], v118 offset:16
	ds_read2_b32 v[26:27], v121 offset1:1
	ds_read2_b32 v[87:88], v126 offset1:1
	s_add_i32 s29, s19, -6
	s_and_b32 s28, s2, -16
	s_add_i32 s28, s19, s28
	s_waitcnt lgkmcnt(1)
	v_ashrrev_i32_e32 v26, s29, v26
	s_waitcnt lgkmcnt(0)
	v_ashrrev_i32_e32 v87, s3, v87
	v_lshlrev_b32_e32 v87, 2, v87
	v_and_b32_e32 v61, 0x3030303, v26
	v_bfe_u32 v26, v26, 24, 2
	v_and_b32_e32 v87, 0x4040404, v87
	v_sub_u16_e32 v89, v61, v87
	v_sub_u16_sdwa v93, v61, v87 dst_sel:BYTE_1 dst_unused:UNUSED_PAD src0_sel:BYTE_1 src1_sel:BYTE_1
	v_sub_u16_sdwa v26, v26, v87 dst_sel:BYTE_1 dst_unused:UNUSED_PAD src0_sel:DWORD src1_sel:BYTE_3
	v_sub_u16_sdwa v61, v61, v87 dst_sel:DWORD dst_unused:UNUSED_PAD src0_sel:WORD_1 src1_sel:WORD_1
	v_or_b32_sdwa v89, v89, v93 dst_sel:DWORD dst_unused:UNUSED_PAD src0_sel:BYTE_0 src1_sel:DWORD
	v_or_b32_sdwa v26, v61, v26 dst_sel:WORD_1 dst_unused:UNUSED_PAD src0_sel:BYTE_0 src1_sel:DWORD
	v_ashrrev_i32_e32 v61, s3, v88
	v_or_b32_sdwa v93, v89, v26 dst_sel:DWORD dst_unused:UNUSED_PAD src0_sel:WORD_0 src1_sel:DWORD
	v_ashrrev_i32_e32 v26, s29, v27
	v_lshlrev_b32_e32 v61, 2, v61
	v_and_b32_e32 v27, 0x3030303, v26
	v_bfe_u32 v26, v26, 24, 2
	v_and_b32_e32 v61, 0x4040404, v61
	v_sub_u16_e32 v87, v27, v61
	v_sub_u16_sdwa v88, v27, v61 dst_sel:BYTE_1 dst_unused:UNUSED_PAD src0_sel:BYTE_1 src1_sel:BYTE_1
	v_sub_u16_sdwa v26, v26, v61 dst_sel:BYTE_1 dst_unused:UNUSED_PAD src0_sel:DWORD src1_sel:BYTE_3
	v_sub_u16_sdwa v27, v27, v61 dst_sel:DWORD dst_unused:UNUSED_PAD src0_sel:WORD_1 src1_sel:WORD_1
	v_or_b32_sdwa v87, v87, v88 dst_sel:DWORD dst_unused:UNUSED_PAD src0_sel:BYTE_0 src1_sel:DWORD
	v_or_b32_sdwa v26, v27, v26 dst_sel:WORD_1 dst_unused:UNUSED_PAD src0_sel:BYTE_0 src1_sel:DWORD
	v_or_b32_sdwa v122, v87, v26 dst_sel:DWORD dst_unused:UNUSED_PAD src0_sel:WORD_0 src1_sel:DWORD
	ds_read2_b32 v[26:27], v121 offset0:2 offset1:3
	ds_read2_b32 v[87:88], v126 offset0:2 offset1:3
	s_lshl_b32 s19, s31, 2
	s_addk_i32 s19, 0x7380
	s_add_i32 s2, s2, 2
	s_waitcnt lgkmcnt(1)
	v_ashrrev_i32_e32 v26, s29, v26
	s_waitcnt lgkmcnt(0)
	v_ashrrev_i32_e32 v87, s3, v87
	v_lshlrev_b32_e32 v87, 2, v87
	v_and_b32_e32 v61, 0x3030303, v26
	v_bfe_u32 v26, v26, 24, 2
	v_and_b32_e32 v87, 0x4040404, v87
	v_sub_u16_e32 v89, v61, v87
	v_sub_u16_sdwa v123, v61, v87 dst_sel:BYTE_1 dst_unused:UNUSED_PAD src0_sel:BYTE_1 src1_sel:BYTE_1
	v_sub_u16_sdwa v26, v26, v87 dst_sel:BYTE_1 dst_unused:UNUSED_PAD src0_sel:DWORD src1_sel:BYTE_3
	v_sub_u16_sdwa v61, v61, v87 dst_sel:DWORD dst_unused:UNUSED_PAD src0_sel:WORD_1 src1_sel:WORD_1
	v_or_b32_sdwa v89, v89, v123 dst_sel:DWORD dst_unused:UNUSED_PAD src0_sel:BYTE_0 src1_sel:DWORD
	v_or_b32_sdwa v26, v61, v26 dst_sel:WORD_1 dst_unused:UNUSED_PAD src0_sel:BYTE_0 src1_sel:DWORD
	v_ashrrev_i32_e32 v61, s3, v88
	v_or_b32_sdwa v123, v89, v26 dst_sel:DWORD dst_unused:UNUSED_PAD src0_sel:WORD_0 src1_sel:DWORD
	v_ashrrev_i32_e32 v26, s29, v27
	v_lshlrev_b32_e32 v61, 2, v61
	v_and_b32_e32 v27, 0x3030303, v26
	v_bfe_u32 v26, v26, 24, 2
	v_and_b32_e32 v61, 0x4040404, v61
	v_sub_u16_e32 v87, v27, v61
	v_sub_u16_sdwa v88, v27, v61 dst_sel:BYTE_1 dst_unused:UNUSED_PAD src0_sel:BYTE_1 src1_sel:BYTE_1
	v_sub_u16_sdwa v26, v26, v61 dst_sel:BYTE_1 dst_unused:UNUSED_PAD src0_sel:DWORD src1_sel:BYTE_3
	v_sub_u16_sdwa v27, v27, v61 dst_sel:DWORD dst_unused:UNUSED_PAD src0_sel:WORD_1 src1_sel:WORD_1
	v_or_b32_sdwa v87, v87, v88 dst_sel:DWORD dst_unused:UNUSED_PAD src0_sel:BYTE_0 src1_sel:DWORD
	v_or_b32_sdwa v26, v27, v26 dst_sel:WORD_1 dst_unused:UNUSED_PAD src0_sel:BYTE_0 src1_sel:DWORD
	v_or_b32_sdwa v89, v87, v26 dst_sel:DWORD dst_unused:UNUSED_PAD src0_sel:WORD_0 src1_sel:DWORD
	ds_read2_b32 v[26:27], v121 offset0:4 offset1:5
	ds_read2_b32 v[87:88], v126 offset0:4 offset1:5
	v_add_u32_e32 v119, 4, v119
	v_add_u32_e32 v118, 32, v118
	s_waitcnt lgkmcnt(1)
	v_ashrrev_i32_e32 v26, s29, v26
	s_waitcnt lgkmcnt(0)
	v_ashrrev_i32_e32 v87, s3, v87
	v_lshlrev_b32_e32 v87, 2, v87
	v_and_b32_e32 v61, 0x3030303, v26
	v_bfe_u32 v26, v26, 24, 2
	v_and_b32_e32 v87, 0x4040404, v87
	v_sub_u16_e32 v124, v61, v87
	v_sub_u16_sdwa v125, v61, v87 dst_sel:BYTE_1 dst_unused:UNUSED_PAD src0_sel:BYTE_1 src1_sel:BYTE_1
	v_sub_u16_sdwa v26, v26, v87 dst_sel:BYTE_1 dst_unused:UNUSED_PAD src0_sel:DWORD src1_sel:BYTE_3
	v_sub_u16_sdwa v61, v61, v87 dst_sel:DWORD dst_unused:UNUSED_PAD src0_sel:WORD_1 src1_sel:WORD_1
	v_or_b32_sdwa v124, v124, v125 dst_sel:DWORD dst_unused:UNUSED_PAD src0_sel:BYTE_0 src1_sel:DWORD
	v_or_b32_sdwa v26, v61, v26 dst_sel:WORD_1 dst_unused:UNUSED_PAD src0_sel:BYTE_0 src1_sel:DWORD
	v_ashrrev_i32_e32 v61, s3, v88
	v_or_b32_sdwa v124, v124, v26 dst_sel:DWORD dst_unused:UNUSED_PAD src0_sel:WORD_0 src1_sel:DWORD
	v_ashrrev_i32_e32 v26, s29, v27
	v_lshlrev_b32_e32 v61, 2, v61
	v_and_b32_e32 v27, 0x3030303, v26
	v_bfe_u32 v26, v26, 24, 2
	v_and_b32_e32 v61, 0x4040404, v61
	v_sub_u16_e32 v87, v27, v61
	v_sub_u16_sdwa v88, v27, v61 dst_sel:BYTE_1 dst_unused:UNUSED_PAD src0_sel:BYTE_1 src1_sel:BYTE_1
	v_sub_u16_sdwa v26, v26, v61 dst_sel:BYTE_1 dst_unused:UNUSED_PAD src0_sel:DWORD src1_sel:BYTE_3
	v_sub_u16_sdwa v27, v27, v61 dst_sel:DWORD dst_unused:UNUSED_PAD src0_sel:WORD_1 src1_sel:WORD_1
	v_or_b32_sdwa v87, v87, v88 dst_sel:DWORD dst_unused:UNUSED_PAD src0_sel:BYTE_0 src1_sel:DWORD
	v_or_b32_sdwa v26, v27, v26 dst_sel:WORD_1 dst_unused:UNUSED_PAD src0_sel:BYTE_0 src1_sel:DWORD
	v_or_b32_sdwa v125, v87, v26 dst_sel:DWORD dst_unused:UNUSED_PAD src0_sel:WORD_0 src1_sel:DWORD
	ds_read2_b32 v[26:27], v121 offset0:6 offset1:7
	ds_read2_b32 v[87:88], v126 offset0:6 offset1:7
	s_waitcnt lgkmcnt(1)
	v_ashrrev_i32_e32 v26, s29, v26
	s_waitcnt lgkmcnt(0)
	v_ashrrev_i32_e32 v87, s3, v87
	v_lshlrev_b32_e32 v87, 2, v87
	v_and_b32_e32 v61, 0x3030303, v26
	v_bfe_u32 v26, v26, 24, 2
	v_and_b32_e32 v87, 0x4040404, v87
	v_sub_u16_e32 v126, v61, v87
	v_sub_u16_sdwa v127, v61, v87 dst_sel:BYTE_1 dst_unused:UNUSED_PAD src0_sel:BYTE_1 src1_sel:BYTE_1
	v_sub_u16_sdwa v26, v26, v87 dst_sel:BYTE_1 dst_unused:UNUSED_PAD src0_sel:DWORD src1_sel:BYTE_3
	v_sub_u16_sdwa v61, v61, v87 dst_sel:DWORD dst_unused:UNUSED_PAD src0_sel:WORD_1 src1_sel:WORD_1
	v_or_b32_sdwa v126, v126, v127 dst_sel:DWORD dst_unused:UNUSED_PAD src0_sel:BYTE_0 src1_sel:DWORD
	v_or_b32_sdwa v26, v61, v26 dst_sel:WORD_1 dst_unused:UNUSED_PAD src0_sel:BYTE_0 src1_sel:DWORD
	v_ashrrev_i32_e32 v61, s3, v88
	v_or_b32_sdwa v126, v126, v26 dst_sel:DWORD dst_unused:UNUSED_PAD src0_sel:WORD_0 src1_sel:DWORD
	v_ashrrev_i32_e32 v26, s29, v27
	v_lshlrev_b32_e32 v61, 2, v61
	v_and_b32_e32 v27, 0x3030303, v26
	v_bfe_u32 v26, v26, 24, 2
	v_and_b32_e32 v61, 0x4040404, v61
	v_sub_u16_e32 v87, v27, v61
	v_sub_u16_sdwa v88, v27, v61 dst_sel:BYTE_1 dst_unused:UNUSED_PAD src0_sel:BYTE_1 src1_sel:BYTE_1
	v_sub_u16_sdwa v26, v26, v61 dst_sel:BYTE_1 dst_unused:UNUSED_PAD src0_sel:DWORD src1_sel:BYTE_3
	v_sub_u16_sdwa v27, v27, v61 dst_sel:DWORD dst_unused:UNUSED_PAD src0_sel:WORD_1 src1_sel:WORD_1
	v_or_b32_sdwa v87, v87, v88 dst_sel:DWORD dst_unused:UNUSED_PAD src0_sel:BYTE_0 src1_sel:DWORD
	v_or_b32_sdwa v26, v27, v26 dst_sel:WORD_1 dst_unused:UNUSED_PAD src0_sel:BYTE_0 src1_sel:DWORD
	v_or_b32_sdwa v127, v87, v26 dst_sel:DWORD dst_unused:UNUSED_PAD src0_sel:WORD_0 src1_sel:DWORD
	v_add_u32_e32 v26, s28, v80
	v_add3_u32 v27, s19, v115, v116
	ds_read_b32 v61, v27
	ds_read_u16 v26, v26 offset:25346
	v_dot4_i32_i8 v27, v93, v5, 0
	v_dot4_i32_i8 v27, v122, v6, v27
	;; [unrolled: 1-line block ×4, first 2 shown]
	s_waitcnt lgkmcnt(0)
	v_lshrrev_b16_e32 v88, 8, v26
	v_bfe_i32 v26, v26, 0, 8
	v_dot4_i32_i8 v87, v124, v1, 0
	v_mul_lo_u32 v26, v27, v26
	v_dot4_i32_i8 v87, v125, v2, v87
	v_dot4_i32_i8 v87, v126, v3, v87
	;; [unrolled: 1-line block ×3, first 2 shown]
	v_bfe_i32 v88, v88, 0, 8
                                        ; kill: def $vgpr27 killed $sgpr0 killed $exec
	v_add3_u32 v126, s30, v102, v103
	v_mad_u64_u32 v[26:27], s[34:35], v87, v88, v[26:27]
	v_mul_f32_e32 v27, v120, v61
	ds_read2_b32 v[87:88], v126 offset1:1
	v_cvt_f32_i32_e32 v26, v26
	v_fmac_f32_e32 v29, v27, v26
	v_add_u32_e32 v26, 0x1080, v121
	ds_read2_b32 v[26:27], v26 offset1:1
	s_waitcnt lgkmcnt(1)
	v_ashrrev_i32_e32 v87, s3, v87
	v_lshlrev_b32_e32 v87, 2, v87
	v_and_b32_e32 v87, 0x4040404, v87
	s_waitcnt lgkmcnt(0)
	v_ashrrev_i32_e32 v26, s29, v26
	v_and_b32_e32 v61, 0x3030303, v26
	v_bfe_u32 v26, v26, 24, 2
	v_sub_u16_e32 v89, v61, v87
	v_sub_u16_sdwa v93, v61, v87 dst_sel:BYTE_1 dst_unused:UNUSED_PAD src0_sel:BYTE_1 src1_sel:BYTE_1
	v_sub_u16_sdwa v26, v26, v87 dst_sel:BYTE_1 dst_unused:UNUSED_PAD src0_sel:DWORD src1_sel:BYTE_3
	v_sub_u16_sdwa v61, v61, v87 dst_sel:DWORD dst_unused:UNUSED_PAD src0_sel:WORD_1 src1_sel:WORD_1
	v_or_b32_sdwa v89, v89, v93 dst_sel:DWORD dst_unused:UNUSED_PAD src0_sel:BYTE_0 src1_sel:DWORD
	v_or_b32_sdwa v26, v61, v26 dst_sel:WORD_1 dst_unused:UNUSED_PAD src0_sel:BYTE_0 src1_sel:DWORD
	v_ashrrev_i32_e32 v61, s3, v88
	v_or_b32_sdwa v89, v89, v26 dst_sel:DWORD dst_unused:UNUSED_PAD src0_sel:WORD_0 src1_sel:DWORD
	v_ashrrev_i32_e32 v26, s29, v27
	v_lshlrev_b32_e32 v61, 2, v61
	v_and_b32_e32 v27, 0x3030303, v26
	v_bfe_u32 v26, v26, 24, 2
	v_and_b32_e32 v61, 0x4040404, v61
	v_sub_u16_e32 v87, v27, v61
	v_sub_u16_sdwa v88, v27, v61 dst_sel:BYTE_1 dst_unused:UNUSED_PAD src0_sel:BYTE_1 src1_sel:BYTE_1
	v_sub_u16_sdwa v26, v26, v61 dst_sel:BYTE_1 dst_unused:UNUSED_PAD src0_sel:DWORD src1_sel:BYTE_3
	v_sub_u16_sdwa v27, v27, v61 dst_sel:DWORD dst_unused:UNUSED_PAD src0_sel:WORD_1 src1_sel:WORD_1
	v_or_b32_sdwa v87, v87, v88 dst_sel:DWORD dst_unused:UNUSED_PAD src0_sel:BYTE_0 src1_sel:DWORD
	v_or_b32_sdwa v26, v27, v26 dst_sel:WORD_1 dst_unused:UNUSED_PAD src0_sel:BYTE_0 src1_sel:DWORD
	v_or_b32_sdwa v93, v87, v26 dst_sel:DWORD dst_unused:UNUSED_PAD src0_sel:WORD_0 src1_sel:DWORD
	v_add_u32_e32 v26, 0x1088, v121
	ds_read2_b32 v[26:27], v26 offset1:1
	ds_read2_b32 v[87:88], v126 offset0:2 offset1:3
	s_waitcnt lgkmcnt(1)
	v_ashrrev_i32_e32 v26, s29, v26
	s_waitcnt lgkmcnt(0)
	v_ashrrev_i32_e32 v87, s3, v87
	v_lshlrev_b32_e32 v87, 2, v87
	v_and_b32_e32 v61, 0x3030303, v26
	v_bfe_u32 v26, v26, 24, 2
	v_and_b32_e32 v87, 0x4040404, v87
	v_sub_u16_e32 v122, v61, v87
	v_sub_u16_sdwa v123, v61, v87 dst_sel:BYTE_1 dst_unused:UNUSED_PAD src0_sel:BYTE_1 src1_sel:BYTE_1
	v_sub_u16_sdwa v26, v26, v87 dst_sel:BYTE_1 dst_unused:UNUSED_PAD src0_sel:DWORD src1_sel:BYTE_3
	v_sub_u16_sdwa v61, v61, v87 dst_sel:DWORD dst_unused:UNUSED_PAD src0_sel:WORD_1 src1_sel:WORD_1
	v_or_b32_sdwa v122, v122, v123 dst_sel:DWORD dst_unused:UNUSED_PAD src0_sel:BYTE_0 src1_sel:DWORD
	v_or_b32_sdwa v26, v61, v26 dst_sel:WORD_1 dst_unused:UNUSED_PAD src0_sel:BYTE_0 src1_sel:DWORD
	v_ashrrev_i32_e32 v61, s3, v88
	v_or_b32_sdwa v122, v122, v26 dst_sel:DWORD dst_unused:UNUSED_PAD src0_sel:WORD_0 src1_sel:DWORD
	v_ashrrev_i32_e32 v26, s29, v27
	v_lshlrev_b32_e32 v61, 2, v61
	v_and_b32_e32 v27, 0x3030303, v26
	v_bfe_u32 v26, v26, 24, 2
	v_and_b32_e32 v61, 0x4040404, v61
	v_sub_u16_e32 v87, v27, v61
	v_sub_u16_sdwa v88, v27, v61 dst_sel:BYTE_1 dst_unused:UNUSED_PAD src0_sel:BYTE_1 src1_sel:BYTE_1
	v_sub_u16_sdwa v26, v26, v61 dst_sel:BYTE_1 dst_unused:UNUSED_PAD src0_sel:DWORD src1_sel:BYTE_3
	v_sub_u16_sdwa v27, v27, v61 dst_sel:DWORD dst_unused:UNUSED_PAD src0_sel:WORD_1 src1_sel:WORD_1
	v_or_b32_sdwa v87, v87, v88 dst_sel:DWORD dst_unused:UNUSED_PAD src0_sel:BYTE_0 src1_sel:DWORD
	v_or_b32_sdwa v26, v27, v26 dst_sel:WORD_1 dst_unused:UNUSED_PAD src0_sel:BYTE_0 src1_sel:DWORD
	v_or_b32_sdwa v123, v87, v26 dst_sel:DWORD dst_unused:UNUSED_PAD src0_sel:WORD_0 src1_sel:DWORD
	v_add_u32_e32 v26, 0x1090, v121
	ds_read2_b32 v[26:27], v26 offset1:1
	ds_read2_b32 v[87:88], v126 offset0:4 offset1:5
	s_waitcnt lgkmcnt(1)
	v_ashrrev_i32_e32 v26, s29, v26
	s_waitcnt lgkmcnt(0)
	v_ashrrev_i32_e32 v87, s3, v87
	v_lshlrev_b32_e32 v87, 2, v87
	v_and_b32_e32 v61, 0x3030303, v26
	v_bfe_u32 v26, v26, 24, 2
	v_and_b32_e32 v87, 0x4040404, v87
	;; [unrolled: 31-line block ×3, first 2 shown]
	v_sub_u16_e32 v126, v61, v87
	v_sub_u16_sdwa v127, v61, v87 dst_sel:BYTE_1 dst_unused:UNUSED_PAD src0_sel:BYTE_1 src1_sel:BYTE_1
	v_sub_u16_sdwa v26, v26, v87 dst_sel:BYTE_1 dst_unused:UNUSED_PAD src0_sel:DWORD src1_sel:BYTE_3
	v_sub_u16_sdwa v61, v61, v87 dst_sel:DWORD dst_unused:UNUSED_PAD src0_sel:WORD_1 src1_sel:WORD_1
	v_or_b32_sdwa v126, v126, v127 dst_sel:DWORD dst_unused:UNUSED_PAD src0_sel:BYTE_0 src1_sel:DWORD
	v_or_b32_sdwa v26, v61, v26 dst_sel:WORD_1 dst_unused:UNUSED_PAD src0_sel:BYTE_0 src1_sel:DWORD
	v_ashrrev_i32_e32 v61, s3, v88
	v_or_b32_sdwa v126, v126, v26 dst_sel:DWORD dst_unused:UNUSED_PAD src0_sel:WORD_0 src1_sel:DWORD
	v_ashrrev_i32_e32 v26, s29, v27
	v_lshlrev_b32_e32 v61, 2, v61
	v_and_b32_e32 v27, 0x3030303, v26
	v_bfe_u32 v26, v26, 24, 2
	v_and_b32_e32 v61, 0x4040404, v61
	v_sub_u16_e32 v87, v27, v61
	v_sub_u16_sdwa v88, v27, v61 dst_sel:BYTE_1 dst_unused:UNUSED_PAD src0_sel:BYTE_1 src1_sel:BYTE_1
	v_sub_u16_sdwa v26, v26, v61 dst_sel:BYTE_1 dst_unused:UNUSED_PAD src0_sel:DWORD src1_sel:BYTE_3
	v_sub_u16_sdwa v27, v27, v61 dst_sel:DWORD dst_unused:UNUSED_PAD src0_sel:WORD_1 src1_sel:WORD_1
	v_or_b32_sdwa v87, v87, v88 dst_sel:DWORD dst_unused:UNUSED_PAD src0_sel:BYTE_0 src1_sel:DWORD
	v_or_b32_sdwa v26, v27, v26 dst_sel:WORD_1 dst_unused:UNUSED_PAD src0_sel:BYTE_0 src1_sel:DWORD
	v_or_b32_sdwa v127, v87, v26 dst_sel:DWORD dst_unused:UNUSED_PAD src0_sel:WORD_0 src1_sel:DWORD
	v_add_u32_e32 v26, s28, v79
	v_add3_u32 v27, s19, v104, v105
	ds_read_b32 v61, v27
	ds_read_u16 v26, v26 offset:26370
	v_dot4_i32_i8 v27, v89, v5, 0
	v_dot4_i32_i8 v27, v93, v6, v27
	;; [unrolled: 1-line block ×4, first 2 shown]
	s_waitcnt lgkmcnt(0)
	v_lshrrev_b16_e32 v88, 8, v26
	v_bfe_i32 v26, v26, 0, 8
	v_dot4_i32_i8 v87, v124, v1, 0
	v_mul_lo_u32 v26, v27, v26
	v_dot4_i32_i8 v87, v125, v2, v87
	v_dot4_i32_i8 v87, v126, v3, v87
	;; [unrolled: 1-line block ×3, first 2 shown]
	v_bfe_i32 v88, v88, 0, 8
                                        ; kill: def $vgpr27 killed $sgpr0 killed $exec
	v_add3_u32 v89, s30, v106, v107
	v_mad_u64_u32 v[26:27], s[34:35], v87, v88, v[26:27]
	v_mul_f32_e32 v27, v120, v61
	ds_read2_b32 v[87:88], v89 offset1:1
	v_cvt_f32_i32_e32 v26, v26
	v_fmac_f32_e32 v76, v27, v26
	v_add_u32_e32 v26, 0x2100, v121
	ds_read2_b32 v[26:27], v26 offset1:1
	s_waitcnt lgkmcnt(1)
	v_ashrrev_i32_e32 v87, s3, v87
	v_lshlrev_b32_e32 v87, 2, v87
	v_and_b32_e32 v87, 0x4040404, v87
	s_waitcnt lgkmcnt(0)
	v_ashrrev_i32_e32 v26, s29, v26
	v_and_b32_e32 v61, 0x3030303, v26
	v_bfe_u32 v26, v26, 24, 2
	v_sub_u16_e32 v93, v61, v87
	v_sub_u16_sdwa v122, v61, v87 dst_sel:BYTE_1 dst_unused:UNUSED_PAD src0_sel:BYTE_1 src1_sel:BYTE_1
	v_sub_u16_sdwa v26, v26, v87 dst_sel:BYTE_1 dst_unused:UNUSED_PAD src0_sel:DWORD src1_sel:BYTE_3
	v_sub_u16_sdwa v61, v61, v87 dst_sel:DWORD dst_unused:UNUSED_PAD src0_sel:WORD_1 src1_sel:WORD_1
	v_or_b32_sdwa v93, v93, v122 dst_sel:DWORD dst_unused:UNUSED_PAD src0_sel:BYTE_0 src1_sel:DWORD
	v_or_b32_sdwa v26, v61, v26 dst_sel:WORD_1 dst_unused:UNUSED_PAD src0_sel:BYTE_0 src1_sel:DWORD
	v_ashrrev_i32_e32 v61, s3, v88
	v_or_b32_sdwa v93, v93, v26 dst_sel:DWORD dst_unused:UNUSED_PAD src0_sel:WORD_0 src1_sel:DWORD
	v_ashrrev_i32_e32 v26, s29, v27
	v_lshlrev_b32_e32 v61, 2, v61
	v_and_b32_e32 v27, 0x3030303, v26
	v_bfe_u32 v26, v26, 24, 2
	v_and_b32_e32 v61, 0x4040404, v61
	v_sub_u16_e32 v87, v27, v61
	v_sub_u16_sdwa v88, v27, v61 dst_sel:BYTE_1 dst_unused:UNUSED_PAD src0_sel:BYTE_1 src1_sel:BYTE_1
	v_sub_u16_sdwa v26, v26, v61 dst_sel:BYTE_1 dst_unused:UNUSED_PAD src0_sel:DWORD src1_sel:BYTE_3
	v_sub_u16_sdwa v27, v27, v61 dst_sel:DWORD dst_unused:UNUSED_PAD src0_sel:WORD_1 src1_sel:WORD_1
	v_or_b32_sdwa v87, v87, v88 dst_sel:DWORD dst_unused:UNUSED_PAD src0_sel:BYTE_0 src1_sel:DWORD
	v_or_b32_sdwa v26, v27, v26 dst_sel:WORD_1 dst_unused:UNUSED_PAD src0_sel:BYTE_0 src1_sel:DWORD
	v_or_b32_sdwa v122, v87, v26 dst_sel:DWORD dst_unused:UNUSED_PAD src0_sel:WORD_0 src1_sel:DWORD
	v_add_u32_e32 v26, 0x2108, v121
	ds_read2_b32 v[26:27], v26 offset1:1
	ds_read2_b32 v[87:88], v89 offset0:2 offset1:3
	s_waitcnt lgkmcnt(1)
	v_ashrrev_i32_e32 v26, s29, v26
	s_waitcnt lgkmcnt(0)
	v_ashrrev_i32_e32 v87, s3, v87
	v_lshlrev_b32_e32 v87, 2, v87
	v_and_b32_e32 v61, 0x3030303, v26
	v_bfe_u32 v26, v26, 24, 2
	v_and_b32_e32 v87, 0x4040404, v87
	v_sub_u16_e32 v123, v61, v87
	v_sub_u16_sdwa v124, v61, v87 dst_sel:BYTE_1 dst_unused:UNUSED_PAD src0_sel:BYTE_1 src1_sel:BYTE_1
	v_sub_u16_sdwa v26, v26, v87 dst_sel:BYTE_1 dst_unused:UNUSED_PAD src0_sel:DWORD src1_sel:BYTE_3
	v_sub_u16_sdwa v61, v61, v87 dst_sel:DWORD dst_unused:UNUSED_PAD src0_sel:WORD_1 src1_sel:WORD_1
	v_or_b32_sdwa v123, v123, v124 dst_sel:DWORD dst_unused:UNUSED_PAD src0_sel:BYTE_0 src1_sel:DWORD
	v_or_b32_sdwa v26, v61, v26 dst_sel:WORD_1 dst_unused:UNUSED_PAD src0_sel:BYTE_0 src1_sel:DWORD
	v_ashrrev_i32_e32 v61, s3, v88
	v_or_b32_sdwa v123, v123, v26 dst_sel:DWORD dst_unused:UNUSED_PAD src0_sel:WORD_0 src1_sel:DWORD
	v_ashrrev_i32_e32 v26, s29, v27
	v_lshlrev_b32_e32 v61, 2, v61
	v_and_b32_e32 v27, 0x3030303, v26
	v_bfe_u32 v26, v26, 24, 2
	v_and_b32_e32 v61, 0x4040404, v61
	v_sub_u16_e32 v87, v27, v61
	v_sub_u16_sdwa v88, v27, v61 dst_sel:BYTE_1 dst_unused:UNUSED_PAD src0_sel:BYTE_1 src1_sel:BYTE_1
	v_sub_u16_sdwa v26, v26, v61 dst_sel:BYTE_1 dst_unused:UNUSED_PAD src0_sel:DWORD src1_sel:BYTE_3
	v_sub_u16_sdwa v27, v27, v61 dst_sel:DWORD dst_unused:UNUSED_PAD src0_sel:WORD_1 src1_sel:WORD_1
	v_or_b32_sdwa v87, v87, v88 dst_sel:DWORD dst_unused:UNUSED_PAD src0_sel:BYTE_0 src1_sel:DWORD
	v_or_b32_sdwa v26, v27, v26 dst_sel:WORD_1 dst_unused:UNUSED_PAD src0_sel:BYTE_0 src1_sel:DWORD
	v_or_b32_sdwa v124, v87, v26 dst_sel:DWORD dst_unused:UNUSED_PAD src0_sel:WORD_0 src1_sel:DWORD
	v_add_u32_e32 v26, 0x2110, v121
	ds_read2_b32 v[26:27], v26 offset1:1
	ds_read2_b32 v[87:88], v89 offset0:4 offset1:5
	s_waitcnt lgkmcnt(1)
	v_ashrrev_i32_e32 v26, s29, v26
	s_waitcnt lgkmcnt(0)
	v_ashrrev_i32_e32 v87, s3, v87
	v_lshlrev_b32_e32 v87, 2, v87
	v_and_b32_e32 v61, 0x3030303, v26
	v_bfe_u32 v26, v26, 24, 2
	v_and_b32_e32 v87, 0x4040404, v87
	;; [unrolled: 31-line block ×3, first 2 shown]
	v_sub_u16_e32 v89, v61, v87
	v_sub_u16_sdwa v127, v61, v87 dst_sel:BYTE_1 dst_unused:UNUSED_PAD src0_sel:BYTE_1 src1_sel:BYTE_1
	v_sub_u16_sdwa v26, v26, v87 dst_sel:BYTE_1 dst_unused:UNUSED_PAD src0_sel:DWORD src1_sel:BYTE_3
	v_sub_u16_sdwa v61, v61, v87 dst_sel:DWORD dst_unused:UNUSED_PAD src0_sel:WORD_1 src1_sel:WORD_1
	v_or_b32_sdwa v89, v89, v127 dst_sel:DWORD dst_unused:UNUSED_PAD src0_sel:BYTE_0 src1_sel:DWORD
	v_or_b32_sdwa v26, v61, v26 dst_sel:WORD_1 dst_unused:UNUSED_PAD src0_sel:BYTE_0 src1_sel:DWORD
	v_ashrrev_i32_e32 v61, s3, v88
	v_or_b32_sdwa v127, v89, v26 dst_sel:DWORD dst_unused:UNUSED_PAD src0_sel:WORD_0 src1_sel:DWORD
	v_ashrrev_i32_e32 v26, s29, v27
	v_lshlrev_b32_e32 v61, 2, v61
	v_and_b32_e32 v27, 0x3030303, v26
	v_bfe_u32 v26, v26, 24, 2
	v_and_b32_e32 v61, 0x4040404, v61
	v_sub_u16_e32 v87, v27, v61
	v_sub_u16_sdwa v88, v27, v61 dst_sel:BYTE_1 dst_unused:UNUSED_PAD src0_sel:BYTE_1 src1_sel:BYTE_1
	v_sub_u16_sdwa v26, v26, v61 dst_sel:BYTE_1 dst_unused:UNUSED_PAD src0_sel:DWORD src1_sel:BYTE_3
	v_sub_u16_sdwa v27, v27, v61 dst_sel:DWORD dst_unused:UNUSED_PAD src0_sel:WORD_1 src1_sel:WORD_1
	v_or_b32_sdwa v87, v87, v88 dst_sel:DWORD dst_unused:UNUSED_PAD src0_sel:BYTE_0 src1_sel:DWORD
	v_or_b32_sdwa v26, v27, v26 dst_sel:WORD_1 dst_unused:UNUSED_PAD src0_sel:BYTE_0 src1_sel:DWORD
	v_or_b32_sdwa v89, v87, v26 dst_sel:DWORD dst_unused:UNUSED_PAD src0_sel:WORD_0 src1_sel:DWORD
	v_add_u32_e32 v26, s28, v78
	v_add3_u32 v27, s19, v108, v109
	ds_read_b32 v61, v27
	ds_read_u16 v26, v26 offset:27394
	v_dot4_i32_i8 v27, v93, v5, 0
	v_dot4_i32_i8 v27, v122, v6, v27
	v_dot4_i32_i8 v27, v123, v7, v27
	v_dot4_i32_i8 v27, v124, v8, v27
	s_waitcnt lgkmcnt(0)
	v_lshrrev_b16_e32 v88, 8, v26
	v_bfe_i32 v26, v26, 0, 8
	v_dot4_i32_i8 v87, v125, v1, 0
	v_mul_lo_u32 v26, v27, v26
	v_dot4_i32_i8 v87, v126, v2, v87
	v_dot4_i32_i8 v87, v127, v3, v87
	;; [unrolled: 1-line block ×3, first 2 shown]
	v_bfe_i32 v88, v88, 0, 8
                                        ; kill: def $vgpr27 killed $sgpr0 killed $exec
	v_add3_u32 v89, s30, v110, v111
	v_mad_u64_u32 v[26:27], s[34:35], v87, v88, v[26:27]
	v_mul_f32_e32 v27, v120, v61
	ds_read2_b32 v[87:88], v89 offset1:1
	v_cvt_f32_i32_e32 v26, v26
	v_fmac_f32_e32 v75, v27, v26
	v_add_u32_e32 v26, 0x3180, v121
	ds_read2_b32 v[26:27], v26 offset1:1
	s_waitcnt lgkmcnt(1)
	v_ashrrev_i32_e32 v87, s3, v87
	v_lshlrev_b32_e32 v87, 2, v87
	v_and_b32_e32 v87, 0x4040404, v87
	s_waitcnt lgkmcnt(0)
	v_ashrrev_i32_e32 v26, s29, v26
	v_and_b32_e32 v61, 0x3030303, v26
	v_bfe_u32 v26, v26, 24, 2
	v_sub_u16_e32 v93, v61, v87
	v_sub_u16_sdwa v122, v61, v87 dst_sel:BYTE_1 dst_unused:UNUSED_PAD src0_sel:BYTE_1 src1_sel:BYTE_1
	v_sub_u16_sdwa v26, v26, v87 dst_sel:BYTE_1 dst_unused:UNUSED_PAD src0_sel:DWORD src1_sel:BYTE_3
	v_sub_u16_sdwa v61, v61, v87 dst_sel:DWORD dst_unused:UNUSED_PAD src0_sel:WORD_1 src1_sel:WORD_1
	v_or_b32_sdwa v93, v93, v122 dst_sel:DWORD dst_unused:UNUSED_PAD src0_sel:BYTE_0 src1_sel:DWORD
	v_or_b32_sdwa v26, v61, v26 dst_sel:WORD_1 dst_unused:UNUSED_PAD src0_sel:BYTE_0 src1_sel:DWORD
	v_ashrrev_i32_e32 v61, s3, v88
	v_or_b32_sdwa v93, v93, v26 dst_sel:DWORD dst_unused:UNUSED_PAD src0_sel:WORD_0 src1_sel:DWORD
	v_ashrrev_i32_e32 v26, s29, v27
	v_lshlrev_b32_e32 v61, 2, v61
	v_and_b32_e32 v27, 0x3030303, v26
	v_bfe_u32 v26, v26, 24, 2
	v_and_b32_e32 v61, 0x4040404, v61
	v_sub_u16_e32 v87, v27, v61
	v_sub_u16_sdwa v88, v27, v61 dst_sel:BYTE_1 dst_unused:UNUSED_PAD src0_sel:BYTE_1 src1_sel:BYTE_1
	v_sub_u16_sdwa v26, v26, v61 dst_sel:BYTE_1 dst_unused:UNUSED_PAD src0_sel:DWORD src1_sel:BYTE_3
	v_sub_u16_sdwa v27, v27, v61 dst_sel:DWORD dst_unused:UNUSED_PAD src0_sel:WORD_1 src1_sel:WORD_1
	v_or_b32_sdwa v87, v87, v88 dst_sel:DWORD dst_unused:UNUSED_PAD src0_sel:BYTE_0 src1_sel:DWORD
	v_or_b32_sdwa v26, v27, v26 dst_sel:WORD_1 dst_unused:UNUSED_PAD src0_sel:BYTE_0 src1_sel:DWORD
	v_or_b32_sdwa v122, v87, v26 dst_sel:DWORD dst_unused:UNUSED_PAD src0_sel:WORD_0 src1_sel:DWORD
	v_add_u32_e32 v26, 0x3188, v121
	ds_read2_b32 v[26:27], v26 offset1:1
	ds_read2_b32 v[87:88], v89 offset0:2 offset1:3
	v_dot4_i32_i8 v5, v93, v5, 0
	v_dot4_i32_i8 v5, v122, v6, v5
	s_waitcnt lgkmcnt(1)
	v_ashrrev_i32_e32 v26, s29, v26
	s_waitcnt lgkmcnt(0)
	v_ashrrev_i32_e32 v87, s3, v87
	v_lshlrev_b32_e32 v87, 2, v87
	v_and_b32_e32 v61, 0x3030303, v26
	v_bfe_u32 v26, v26, 24, 2
	v_and_b32_e32 v87, 0x4040404, v87
	v_sub_u16_e32 v123, v61, v87
	v_sub_u16_sdwa v124, v61, v87 dst_sel:BYTE_1 dst_unused:UNUSED_PAD src0_sel:BYTE_1 src1_sel:BYTE_1
	v_sub_u16_sdwa v26, v26, v87 dst_sel:BYTE_1 dst_unused:UNUSED_PAD src0_sel:DWORD src1_sel:BYTE_3
	v_sub_u16_sdwa v61, v61, v87 dst_sel:DWORD dst_unused:UNUSED_PAD src0_sel:WORD_1 src1_sel:WORD_1
	v_or_b32_sdwa v123, v123, v124 dst_sel:DWORD dst_unused:UNUSED_PAD src0_sel:BYTE_0 src1_sel:DWORD
	v_or_b32_sdwa v26, v61, v26 dst_sel:WORD_1 dst_unused:UNUSED_PAD src0_sel:BYTE_0 src1_sel:DWORD
	v_ashrrev_i32_e32 v61, s3, v88
	v_or_b32_sdwa v123, v123, v26 dst_sel:DWORD dst_unused:UNUSED_PAD src0_sel:WORD_0 src1_sel:DWORD
	v_ashrrev_i32_e32 v26, s29, v27
	v_lshlrev_b32_e32 v61, 2, v61
	v_and_b32_e32 v27, 0x3030303, v26
	v_bfe_u32 v26, v26, 24, 2
	v_and_b32_e32 v61, 0x4040404, v61
	v_sub_u16_e32 v87, v27, v61
	v_sub_u16_sdwa v88, v27, v61 dst_sel:BYTE_1 dst_unused:UNUSED_PAD src0_sel:BYTE_1 src1_sel:BYTE_1
	v_sub_u16_sdwa v26, v26, v61 dst_sel:BYTE_1 dst_unused:UNUSED_PAD src0_sel:DWORD src1_sel:BYTE_3
	v_sub_u16_sdwa v27, v27, v61 dst_sel:DWORD dst_unused:UNUSED_PAD src0_sel:WORD_1 src1_sel:WORD_1
	v_or_b32_sdwa v87, v87, v88 dst_sel:DWORD dst_unused:UNUSED_PAD src0_sel:BYTE_0 src1_sel:DWORD
	v_or_b32_sdwa v26, v27, v26 dst_sel:WORD_1 dst_unused:UNUSED_PAD src0_sel:BYTE_0 src1_sel:DWORD
	v_or_b32_sdwa v124, v87, v26 dst_sel:DWORD dst_unused:UNUSED_PAD src0_sel:WORD_0 src1_sel:DWORD
	v_add_u32_e32 v26, 0x3190, v121
	ds_read2_b32 v[26:27], v26 offset1:1
	ds_read2_b32 v[87:88], v89 offset0:4 offset1:5
	v_dot4_i32_i8 v5, v123, v7, v5
	v_dot4_i32_i8 v5, v124, v8, v5
	s_waitcnt lgkmcnt(1)
	v_ashrrev_i32_e32 v26, s29, v26
	s_waitcnt lgkmcnt(0)
	v_ashrrev_i32_e32 v87, s3, v87
	v_lshlrev_b32_e32 v87, 2, v87
	v_and_b32_e32 v61, 0x3030303, v26
	v_bfe_u32 v26, v26, 24, 2
	v_and_b32_e32 v87, 0x4040404, v87
	;; [unrolled: 33-line block ×3, first 2 shown]
	v_sub_u16_e32 v89, v61, v87
	v_sub_u16_sdwa v121, v61, v87 dst_sel:BYTE_1 dst_unused:UNUSED_PAD src0_sel:BYTE_1 src1_sel:BYTE_1
	v_sub_u16_sdwa v26, v26, v87 dst_sel:BYTE_1 dst_unused:UNUSED_PAD src0_sel:DWORD src1_sel:BYTE_3
	v_sub_u16_sdwa v61, v61, v87 dst_sel:DWORD dst_unused:UNUSED_PAD src0_sel:WORD_1 src1_sel:WORD_1
	v_or_b32_sdwa v89, v89, v121 dst_sel:DWORD dst_unused:UNUSED_PAD src0_sel:BYTE_0 src1_sel:DWORD
	v_or_b32_sdwa v26, v61, v26 dst_sel:WORD_1 dst_unused:UNUSED_PAD src0_sel:BYTE_0 src1_sel:DWORD
	v_ashrrev_i32_e32 v61, s3, v88
	v_or_b32_sdwa v121, v89, v26 dst_sel:DWORD dst_unused:UNUSED_PAD src0_sel:WORD_0 src1_sel:DWORD
	v_ashrrev_i32_e32 v26, s29, v27
	v_lshlrev_b32_e32 v61, 2, v61
	v_and_b32_e32 v27, 0x3030303, v26
	v_bfe_u32 v26, v26, 24, 2
	v_and_b32_e32 v61, 0x4040404, v61
	v_sub_u16_e32 v87, v27, v61
	v_sub_u16_sdwa v88, v27, v61 dst_sel:BYTE_1 dst_unused:UNUSED_PAD src0_sel:BYTE_1 src1_sel:BYTE_1
	v_sub_u16_sdwa v26, v26, v61 dst_sel:BYTE_1 dst_unused:UNUSED_PAD src0_sel:DWORD src1_sel:BYTE_3
	v_sub_u16_sdwa v27, v27, v61 dst_sel:DWORD dst_unused:UNUSED_PAD src0_sel:WORD_1 src1_sel:WORD_1
	v_or_b32_sdwa v87, v87, v88 dst_sel:DWORD dst_unused:UNUSED_PAD src0_sel:BYTE_0 src1_sel:DWORD
	v_or_b32_sdwa v26, v27, v26 dst_sel:WORD_1 dst_unused:UNUSED_PAD src0_sel:BYTE_0 src1_sel:DWORD
	v_or_b32_sdwa v127, v87, v26 dst_sel:DWORD dst_unused:UNUSED_PAD src0_sel:WORD_0 src1_sel:DWORD
	v_add_u32_e32 v88, s28, v77
	v_add3_u32 v26, s19, v112, v113
	v_dot4_i32_i8 v1, v121, v3, v1
	ds_read_b32 v89, v26
	v_dot4_i32_i8 v2, v127, v4, v1
	ds_read_u16 v1, v88 offset:28418
	s_add_i32 s3, s3, 1
	s_cmp_lt_u32 s18, 14
	s_mov_b32 s19, s18
	s_waitcnt lgkmcnt(0)
	v_lshrrev_b16_e32 v3, 8, v1
	v_bfe_i32 v1, v1, 0, 8
	v_mul_lo_u32 v1, v5, v1
	v_bfe_i32 v3, v3, 0, 8
	v_mad_u64_u32 v[1:2], s[28:29], v2, v3, v[1:2]
	v_mul_f32_e32 v2, v120, v89
	v_cvt_f32_i32_e32 v1, v1
	v_fmac_f32_e32 v25, v2, v1
	s_cbranch_scc1 .LBB210_19
; %bb.20:                               ;   in Loop: Header=BB210_5 Depth=1
	s_or_b32 s2, s26, 0x100
	s_cmp_ge_i32 s2, s9
	s_barrier
	s_cbranch_scc1 .LBB210_4
; %bb.21:                               ;   in Loop: Header=BB210_5 Depth=1
	buffer_load_dword v1, off, s[36:39], 0 offset:8 ; 4-byte Folded Reload
	s_waitcnt vmcnt(0)
	v_add_u32_e32 v1, s27, v1
	v_cmp_gt_i32_e64 s[2:3], s12, v1
	s_and_b64 s[18:19], s[0:1], s[2:3]
	s_and_saveexec_b64 s[2:3], s[18:19]
	s_cbranch_execz .LBB210_23
; %bb.22:                               ;   in Loop: Header=BB210_5 Depth=1
	buffer_load_dword v2, off, s[36:39], 0  ; 4-byte Folded Reload
	buffer_load_dword v3, off, s[36:39], 0 offset:4 ; 4-byte Folded Reload
	v_add_u32_e32 v1, v90, v1
	s_waitcnt vmcnt(0)
	v_mad_i64_i32 v[1:2], s[18:19], v1, 36, v[2:3]
	global_load_dword v1, v[1:2], off offset:4
	s_waitcnt vmcnt(0)
	ds_write_b32 v72, v1
.LBB210_23:                             ;   in Loop: Header=BB210_5 Depth=1
	s_or_b64 exec, exec, s[2:3]
	s_and_saveexec_b64 s[18:19], vcc
	s_cbranch_execz .LBB210_26
; %bb.24:                               ;   in Loop: Header=BB210_5 Depth=1
	v_or_b32_e32 v1, 8, v117
	v_cmp_gt_i32_e64 s[2:3], s12, v1
	s_and_b64 s[2:3], s[0:1], s[2:3]
	s_and_b64 exec, exec, s[2:3]
	s_cbranch_execz .LBB210_26
; %bb.25:                               ;   in Loop: Header=BB210_5 Depth=1
	v_ashrrev_i32_e32 v1, 31, v117
	v_add_co_u32_e64 v2, s[2:3], v90, v117
	v_ashrrev_i32_e32 v3, 31, v90
	v_addc_co_u32_e64 v3, s[2:3], v3, v1, s[2:3]
	v_mad_u64_u32 v[1:2], s[2:3], v2, 36, s[6:7]
	v_mad_i32_i24 v2, v3, 36, v2
	global_load_dword v1, v[1:2], off offset:288
	s_waitcnt vmcnt(0)
	v_cvt_f32_f16_e32 v1, v1
	ds_write_b32 v74, v1
.LBB210_26:                             ;   in Loop: Header=BB210_5 Depth=1
	s_or_b64 exec, exec, s[18:19]
	s_mov_b32 s2, 16
	s_mov_b32 s19, 14
	;; [unrolled: 1-line block ×3, first 2 shown]
	v_mov_b32_e32 v118, v71
	v_mov_b32_e32 v119, v73
	s_waitcnt lgkmcnt(0)
	s_barrier
.LBB210_27:                             ;   Parent Loop BB210_5 Depth=1
                                        ; =>  This Inner Loop Header: Depth=2
	s_add_i32 s18, s19, 2
	s_lshr_b32 s31, s18, 4
	s_and_b32 s30, s18, 0x3ffffff8
	v_lshl_add_u32 v121, s30, 2, v91
	s_lshl_b32 s30, s31, 5
	s_addk_i32 s30, 0x4200
	v_add3_u32 v126, s30, v114, v101
	ds_read_b32 v120, v119
	ds_read_b128 v[5:8], v118
	ds_read_b128 v[1:4], v118 offset:16
	ds_read2_b32 v[26:27], v121 offset1:1
	ds_read2_b32 v[87:88], v126 offset1:1
	s_add_i32 s29, s19, -14
	s_and_b32 s28, s2, -16
	s_add_i32 s28, s19, s28
	s_waitcnt lgkmcnt(1)
	v_ashrrev_i32_e32 v26, s29, v26
	s_waitcnt lgkmcnt(0)
	v_ashrrev_i32_e32 v87, s3, v87
	v_lshlrev_b32_e32 v87, 2, v87
	v_and_b32_e32 v61, 0x3030303, v26
	v_bfe_u32 v26, v26, 24, 2
	v_and_b32_e32 v87, 0x4040404, v87
	v_sub_u16_e32 v89, v61, v87
	v_sub_u16_sdwa v93, v61, v87 dst_sel:BYTE_1 dst_unused:UNUSED_PAD src0_sel:BYTE_1 src1_sel:BYTE_1
	v_sub_u16_sdwa v26, v26, v87 dst_sel:BYTE_1 dst_unused:UNUSED_PAD src0_sel:DWORD src1_sel:BYTE_3
	v_sub_u16_sdwa v61, v61, v87 dst_sel:DWORD dst_unused:UNUSED_PAD src0_sel:WORD_1 src1_sel:WORD_1
	v_or_b32_sdwa v89, v89, v93 dst_sel:DWORD dst_unused:UNUSED_PAD src0_sel:BYTE_0 src1_sel:DWORD
	v_or_b32_sdwa v26, v61, v26 dst_sel:WORD_1 dst_unused:UNUSED_PAD src0_sel:BYTE_0 src1_sel:DWORD
	v_ashrrev_i32_e32 v61, s3, v88
	v_or_b32_sdwa v93, v89, v26 dst_sel:DWORD dst_unused:UNUSED_PAD src0_sel:WORD_0 src1_sel:DWORD
	v_ashrrev_i32_e32 v26, s29, v27
	v_lshlrev_b32_e32 v61, 2, v61
	v_and_b32_e32 v27, 0x3030303, v26
	v_bfe_u32 v26, v26, 24, 2
	v_and_b32_e32 v61, 0x4040404, v61
	v_sub_u16_e32 v87, v27, v61
	v_sub_u16_sdwa v88, v27, v61 dst_sel:BYTE_1 dst_unused:UNUSED_PAD src0_sel:BYTE_1 src1_sel:BYTE_1
	v_sub_u16_sdwa v26, v26, v61 dst_sel:BYTE_1 dst_unused:UNUSED_PAD src0_sel:DWORD src1_sel:BYTE_3
	v_sub_u16_sdwa v27, v27, v61 dst_sel:DWORD dst_unused:UNUSED_PAD src0_sel:WORD_1 src1_sel:WORD_1
	v_or_b32_sdwa v87, v87, v88 dst_sel:DWORD dst_unused:UNUSED_PAD src0_sel:BYTE_0 src1_sel:DWORD
	v_or_b32_sdwa v26, v27, v26 dst_sel:WORD_1 dst_unused:UNUSED_PAD src0_sel:BYTE_0 src1_sel:DWORD
	v_or_b32_sdwa v122, v87, v26 dst_sel:DWORD dst_unused:UNUSED_PAD src0_sel:WORD_0 src1_sel:DWORD
	ds_read2_b32 v[26:27], v121 offset0:2 offset1:3
	ds_read2_b32 v[87:88], v126 offset0:2 offset1:3
	s_lshl_b32 s19, s31, 2
	s_addk_i32 s19, 0x7380
	s_add_i32 s2, s2, 2
	s_waitcnt lgkmcnt(1)
	v_ashrrev_i32_e32 v26, s29, v26
	s_waitcnt lgkmcnt(0)
	v_ashrrev_i32_e32 v87, s3, v87
	v_lshlrev_b32_e32 v87, 2, v87
	v_and_b32_e32 v61, 0x3030303, v26
	v_bfe_u32 v26, v26, 24, 2
	v_and_b32_e32 v87, 0x4040404, v87
	v_sub_u16_e32 v89, v61, v87
	v_sub_u16_sdwa v123, v61, v87 dst_sel:BYTE_1 dst_unused:UNUSED_PAD src0_sel:BYTE_1 src1_sel:BYTE_1
	v_sub_u16_sdwa v26, v26, v87 dst_sel:BYTE_1 dst_unused:UNUSED_PAD src0_sel:DWORD src1_sel:BYTE_3
	v_sub_u16_sdwa v61, v61, v87 dst_sel:DWORD dst_unused:UNUSED_PAD src0_sel:WORD_1 src1_sel:WORD_1
	v_or_b32_sdwa v89, v89, v123 dst_sel:DWORD dst_unused:UNUSED_PAD src0_sel:BYTE_0 src1_sel:DWORD
	v_or_b32_sdwa v26, v61, v26 dst_sel:WORD_1 dst_unused:UNUSED_PAD src0_sel:BYTE_0 src1_sel:DWORD
	v_ashrrev_i32_e32 v61, s3, v88
	v_or_b32_sdwa v123, v89, v26 dst_sel:DWORD dst_unused:UNUSED_PAD src0_sel:WORD_0 src1_sel:DWORD
	v_ashrrev_i32_e32 v26, s29, v27
	v_lshlrev_b32_e32 v61, 2, v61
	v_and_b32_e32 v27, 0x3030303, v26
	v_bfe_u32 v26, v26, 24, 2
	v_and_b32_e32 v61, 0x4040404, v61
	v_sub_u16_e32 v87, v27, v61
	v_sub_u16_sdwa v88, v27, v61 dst_sel:BYTE_1 dst_unused:UNUSED_PAD src0_sel:BYTE_1 src1_sel:BYTE_1
	v_sub_u16_sdwa v26, v26, v61 dst_sel:BYTE_1 dst_unused:UNUSED_PAD src0_sel:DWORD src1_sel:BYTE_3
	v_sub_u16_sdwa v27, v27, v61 dst_sel:DWORD dst_unused:UNUSED_PAD src0_sel:WORD_1 src1_sel:WORD_1
	v_or_b32_sdwa v87, v87, v88 dst_sel:DWORD dst_unused:UNUSED_PAD src0_sel:BYTE_0 src1_sel:DWORD
	v_or_b32_sdwa v26, v27, v26 dst_sel:WORD_1 dst_unused:UNUSED_PAD src0_sel:BYTE_0 src1_sel:DWORD
	v_or_b32_sdwa v89, v87, v26 dst_sel:DWORD dst_unused:UNUSED_PAD src0_sel:WORD_0 src1_sel:DWORD
	ds_read2_b32 v[26:27], v121 offset0:4 offset1:5
	ds_read2_b32 v[87:88], v126 offset0:4 offset1:5
	v_add_u32_e32 v119, 4, v119
	v_add_u32_e32 v118, 32, v118
	s_waitcnt lgkmcnt(1)
	v_ashrrev_i32_e32 v26, s29, v26
	s_waitcnt lgkmcnt(0)
	v_ashrrev_i32_e32 v87, s3, v87
	v_lshlrev_b32_e32 v87, 2, v87
	v_and_b32_e32 v61, 0x3030303, v26
	v_bfe_u32 v26, v26, 24, 2
	v_and_b32_e32 v87, 0x4040404, v87
	v_sub_u16_e32 v124, v61, v87
	v_sub_u16_sdwa v125, v61, v87 dst_sel:BYTE_1 dst_unused:UNUSED_PAD src0_sel:BYTE_1 src1_sel:BYTE_1
	v_sub_u16_sdwa v26, v26, v87 dst_sel:BYTE_1 dst_unused:UNUSED_PAD src0_sel:DWORD src1_sel:BYTE_3
	v_sub_u16_sdwa v61, v61, v87 dst_sel:DWORD dst_unused:UNUSED_PAD src0_sel:WORD_1 src1_sel:WORD_1
	v_or_b32_sdwa v124, v124, v125 dst_sel:DWORD dst_unused:UNUSED_PAD src0_sel:BYTE_0 src1_sel:DWORD
	v_or_b32_sdwa v26, v61, v26 dst_sel:WORD_1 dst_unused:UNUSED_PAD src0_sel:BYTE_0 src1_sel:DWORD
	v_ashrrev_i32_e32 v61, s3, v88
	v_or_b32_sdwa v124, v124, v26 dst_sel:DWORD dst_unused:UNUSED_PAD src0_sel:WORD_0 src1_sel:DWORD
	v_ashrrev_i32_e32 v26, s29, v27
	v_lshlrev_b32_e32 v61, 2, v61
	v_and_b32_e32 v27, 0x3030303, v26
	v_bfe_u32 v26, v26, 24, 2
	v_and_b32_e32 v61, 0x4040404, v61
	v_sub_u16_e32 v87, v27, v61
	v_sub_u16_sdwa v88, v27, v61 dst_sel:BYTE_1 dst_unused:UNUSED_PAD src0_sel:BYTE_1 src1_sel:BYTE_1
	v_sub_u16_sdwa v26, v26, v61 dst_sel:BYTE_1 dst_unused:UNUSED_PAD src0_sel:DWORD src1_sel:BYTE_3
	v_sub_u16_sdwa v27, v27, v61 dst_sel:DWORD dst_unused:UNUSED_PAD src0_sel:WORD_1 src1_sel:WORD_1
	v_or_b32_sdwa v87, v87, v88 dst_sel:DWORD dst_unused:UNUSED_PAD src0_sel:BYTE_0 src1_sel:DWORD
	v_or_b32_sdwa v26, v27, v26 dst_sel:WORD_1 dst_unused:UNUSED_PAD src0_sel:BYTE_0 src1_sel:DWORD
	v_or_b32_sdwa v125, v87, v26 dst_sel:DWORD dst_unused:UNUSED_PAD src0_sel:WORD_0 src1_sel:DWORD
	ds_read2_b32 v[26:27], v121 offset0:6 offset1:7
	ds_read2_b32 v[87:88], v126 offset0:6 offset1:7
	s_waitcnt lgkmcnt(1)
	v_ashrrev_i32_e32 v26, s29, v26
	s_waitcnt lgkmcnt(0)
	v_ashrrev_i32_e32 v87, s3, v87
	v_lshlrev_b32_e32 v87, 2, v87
	v_and_b32_e32 v61, 0x3030303, v26
	v_bfe_u32 v26, v26, 24, 2
	v_and_b32_e32 v87, 0x4040404, v87
	v_sub_u16_e32 v126, v61, v87
	v_sub_u16_sdwa v127, v61, v87 dst_sel:BYTE_1 dst_unused:UNUSED_PAD src0_sel:BYTE_1 src1_sel:BYTE_1
	v_sub_u16_sdwa v26, v26, v87 dst_sel:BYTE_1 dst_unused:UNUSED_PAD src0_sel:DWORD src1_sel:BYTE_3
	v_sub_u16_sdwa v61, v61, v87 dst_sel:DWORD dst_unused:UNUSED_PAD src0_sel:WORD_1 src1_sel:WORD_1
	v_or_b32_sdwa v126, v126, v127 dst_sel:DWORD dst_unused:UNUSED_PAD src0_sel:BYTE_0 src1_sel:DWORD
	v_or_b32_sdwa v26, v61, v26 dst_sel:WORD_1 dst_unused:UNUSED_PAD src0_sel:BYTE_0 src1_sel:DWORD
	v_ashrrev_i32_e32 v61, s3, v88
	v_or_b32_sdwa v126, v126, v26 dst_sel:DWORD dst_unused:UNUSED_PAD src0_sel:WORD_0 src1_sel:DWORD
	v_ashrrev_i32_e32 v26, s29, v27
	v_lshlrev_b32_e32 v61, 2, v61
	v_and_b32_e32 v27, 0x3030303, v26
	v_bfe_u32 v26, v26, 24, 2
	v_and_b32_e32 v61, 0x4040404, v61
	v_sub_u16_e32 v87, v27, v61
	v_sub_u16_sdwa v88, v27, v61 dst_sel:BYTE_1 dst_unused:UNUSED_PAD src0_sel:BYTE_1 src1_sel:BYTE_1
	v_sub_u16_sdwa v26, v26, v61 dst_sel:BYTE_1 dst_unused:UNUSED_PAD src0_sel:DWORD src1_sel:BYTE_3
	v_sub_u16_sdwa v27, v27, v61 dst_sel:DWORD dst_unused:UNUSED_PAD src0_sel:WORD_1 src1_sel:WORD_1
	v_or_b32_sdwa v87, v87, v88 dst_sel:DWORD dst_unused:UNUSED_PAD src0_sel:BYTE_0 src1_sel:DWORD
	v_or_b32_sdwa v26, v27, v26 dst_sel:WORD_1 dst_unused:UNUSED_PAD src0_sel:BYTE_0 src1_sel:DWORD
	v_or_b32_sdwa v127, v87, v26 dst_sel:DWORD dst_unused:UNUSED_PAD src0_sel:WORD_0 src1_sel:DWORD
	v_add_u32_e32 v26, s28, v80
	v_add3_u32 v27, s19, v115, v116
	ds_read_b32 v61, v27
	ds_read_u16 v26, v26 offset:25330
	v_dot4_i32_i8 v27, v93, v5, 0
	v_dot4_i32_i8 v27, v122, v6, v27
	;; [unrolled: 1-line block ×4, first 2 shown]
	s_waitcnt lgkmcnt(0)
	v_lshrrev_b16_e32 v88, 8, v26
	v_bfe_i32 v26, v26, 0, 8
	v_dot4_i32_i8 v87, v124, v1, 0
	v_mul_lo_u32 v26, v27, v26
	v_dot4_i32_i8 v87, v125, v2, v87
	v_dot4_i32_i8 v87, v126, v3, v87
	;; [unrolled: 1-line block ×3, first 2 shown]
	v_bfe_i32 v88, v88, 0, 8
                                        ; kill: def $vgpr27 killed $sgpr0 killed $exec
	v_add3_u32 v126, s30, v102, v103
	v_mad_u64_u32 v[26:27], s[34:35], v87, v88, v[26:27]
	v_mul_f32_e32 v27, v120, v61
	ds_read2_b32 v[87:88], v126 offset1:1
	v_cvt_f32_i32_e32 v26, v26
	v_fmac_f32_e32 v29, v27, v26
	v_add_u32_e32 v26, 0x1080, v121
	ds_read2_b32 v[26:27], v26 offset1:1
	s_waitcnt lgkmcnt(1)
	v_ashrrev_i32_e32 v87, s3, v87
	v_lshlrev_b32_e32 v87, 2, v87
	v_and_b32_e32 v87, 0x4040404, v87
	s_waitcnt lgkmcnt(0)
	v_ashrrev_i32_e32 v26, s29, v26
	v_and_b32_e32 v61, 0x3030303, v26
	v_bfe_u32 v26, v26, 24, 2
	v_sub_u16_e32 v89, v61, v87
	v_sub_u16_sdwa v93, v61, v87 dst_sel:BYTE_1 dst_unused:UNUSED_PAD src0_sel:BYTE_1 src1_sel:BYTE_1
	v_sub_u16_sdwa v26, v26, v87 dst_sel:BYTE_1 dst_unused:UNUSED_PAD src0_sel:DWORD src1_sel:BYTE_3
	v_sub_u16_sdwa v61, v61, v87 dst_sel:DWORD dst_unused:UNUSED_PAD src0_sel:WORD_1 src1_sel:WORD_1
	v_or_b32_sdwa v89, v89, v93 dst_sel:DWORD dst_unused:UNUSED_PAD src0_sel:BYTE_0 src1_sel:DWORD
	v_or_b32_sdwa v26, v61, v26 dst_sel:WORD_1 dst_unused:UNUSED_PAD src0_sel:BYTE_0 src1_sel:DWORD
	v_ashrrev_i32_e32 v61, s3, v88
	v_or_b32_sdwa v89, v89, v26 dst_sel:DWORD dst_unused:UNUSED_PAD src0_sel:WORD_0 src1_sel:DWORD
	v_ashrrev_i32_e32 v26, s29, v27
	v_lshlrev_b32_e32 v61, 2, v61
	v_and_b32_e32 v27, 0x3030303, v26
	v_bfe_u32 v26, v26, 24, 2
	v_and_b32_e32 v61, 0x4040404, v61
	v_sub_u16_e32 v87, v27, v61
	v_sub_u16_sdwa v88, v27, v61 dst_sel:BYTE_1 dst_unused:UNUSED_PAD src0_sel:BYTE_1 src1_sel:BYTE_1
	v_sub_u16_sdwa v26, v26, v61 dst_sel:BYTE_1 dst_unused:UNUSED_PAD src0_sel:DWORD src1_sel:BYTE_3
	v_sub_u16_sdwa v27, v27, v61 dst_sel:DWORD dst_unused:UNUSED_PAD src0_sel:WORD_1 src1_sel:WORD_1
	v_or_b32_sdwa v87, v87, v88 dst_sel:DWORD dst_unused:UNUSED_PAD src0_sel:BYTE_0 src1_sel:DWORD
	v_or_b32_sdwa v26, v27, v26 dst_sel:WORD_1 dst_unused:UNUSED_PAD src0_sel:BYTE_0 src1_sel:DWORD
	v_or_b32_sdwa v93, v87, v26 dst_sel:DWORD dst_unused:UNUSED_PAD src0_sel:WORD_0 src1_sel:DWORD
	v_add_u32_e32 v26, 0x1088, v121
	ds_read2_b32 v[26:27], v26 offset1:1
	ds_read2_b32 v[87:88], v126 offset0:2 offset1:3
	s_waitcnt lgkmcnt(1)
	v_ashrrev_i32_e32 v26, s29, v26
	s_waitcnt lgkmcnt(0)
	v_ashrrev_i32_e32 v87, s3, v87
	v_lshlrev_b32_e32 v87, 2, v87
	v_and_b32_e32 v61, 0x3030303, v26
	v_bfe_u32 v26, v26, 24, 2
	v_and_b32_e32 v87, 0x4040404, v87
	v_sub_u16_e32 v122, v61, v87
	v_sub_u16_sdwa v123, v61, v87 dst_sel:BYTE_1 dst_unused:UNUSED_PAD src0_sel:BYTE_1 src1_sel:BYTE_1
	v_sub_u16_sdwa v26, v26, v87 dst_sel:BYTE_1 dst_unused:UNUSED_PAD src0_sel:DWORD src1_sel:BYTE_3
	v_sub_u16_sdwa v61, v61, v87 dst_sel:DWORD dst_unused:UNUSED_PAD src0_sel:WORD_1 src1_sel:WORD_1
	v_or_b32_sdwa v122, v122, v123 dst_sel:DWORD dst_unused:UNUSED_PAD src0_sel:BYTE_0 src1_sel:DWORD
	v_or_b32_sdwa v26, v61, v26 dst_sel:WORD_1 dst_unused:UNUSED_PAD src0_sel:BYTE_0 src1_sel:DWORD
	v_ashrrev_i32_e32 v61, s3, v88
	v_or_b32_sdwa v122, v122, v26 dst_sel:DWORD dst_unused:UNUSED_PAD src0_sel:WORD_0 src1_sel:DWORD
	v_ashrrev_i32_e32 v26, s29, v27
	v_lshlrev_b32_e32 v61, 2, v61
	v_and_b32_e32 v27, 0x3030303, v26
	v_bfe_u32 v26, v26, 24, 2
	v_and_b32_e32 v61, 0x4040404, v61
	v_sub_u16_e32 v87, v27, v61
	v_sub_u16_sdwa v88, v27, v61 dst_sel:BYTE_1 dst_unused:UNUSED_PAD src0_sel:BYTE_1 src1_sel:BYTE_1
	v_sub_u16_sdwa v26, v26, v61 dst_sel:BYTE_1 dst_unused:UNUSED_PAD src0_sel:DWORD src1_sel:BYTE_3
	v_sub_u16_sdwa v27, v27, v61 dst_sel:DWORD dst_unused:UNUSED_PAD src0_sel:WORD_1 src1_sel:WORD_1
	v_or_b32_sdwa v87, v87, v88 dst_sel:DWORD dst_unused:UNUSED_PAD src0_sel:BYTE_0 src1_sel:DWORD
	v_or_b32_sdwa v26, v27, v26 dst_sel:WORD_1 dst_unused:UNUSED_PAD src0_sel:BYTE_0 src1_sel:DWORD
	v_or_b32_sdwa v123, v87, v26 dst_sel:DWORD dst_unused:UNUSED_PAD src0_sel:WORD_0 src1_sel:DWORD
	v_add_u32_e32 v26, 0x1090, v121
	ds_read2_b32 v[26:27], v26 offset1:1
	ds_read2_b32 v[87:88], v126 offset0:4 offset1:5
	s_waitcnt lgkmcnt(1)
	v_ashrrev_i32_e32 v26, s29, v26
	s_waitcnt lgkmcnt(0)
	v_ashrrev_i32_e32 v87, s3, v87
	v_lshlrev_b32_e32 v87, 2, v87
	v_and_b32_e32 v61, 0x3030303, v26
	v_bfe_u32 v26, v26, 24, 2
	v_and_b32_e32 v87, 0x4040404, v87
	;; [unrolled: 31-line block ×3, first 2 shown]
	v_sub_u16_e32 v126, v61, v87
	v_sub_u16_sdwa v127, v61, v87 dst_sel:BYTE_1 dst_unused:UNUSED_PAD src0_sel:BYTE_1 src1_sel:BYTE_1
	v_sub_u16_sdwa v26, v26, v87 dst_sel:BYTE_1 dst_unused:UNUSED_PAD src0_sel:DWORD src1_sel:BYTE_3
	v_sub_u16_sdwa v61, v61, v87 dst_sel:DWORD dst_unused:UNUSED_PAD src0_sel:WORD_1 src1_sel:WORD_1
	v_or_b32_sdwa v126, v126, v127 dst_sel:DWORD dst_unused:UNUSED_PAD src0_sel:BYTE_0 src1_sel:DWORD
	v_or_b32_sdwa v26, v61, v26 dst_sel:WORD_1 dst_unused:UNUSED_PAD src0_sel:BYTE_0 src1_sel:DWORD
	v_ashrrev_i32_e32 v61, s3, v88
	v_or_b32_sdwa v126, v126, v26 dst_sel:DWORD dst_unused:UNUSED_PAD src0_sel:WORD_0 src1_sel:DWORD
	v_ashrrev_i32_e32 v26, s29, v27
	v_lshlrev_b32_e32 v61, 2, v61
	v_and_b32_e32 v27, 0x3030303, v26
	v_bfe_u32 v26, v26, 24, 2
	v_and_b32_e32 v61, 0x4040404, v61
	v_sub_u16_e32 v87, v27, v61
	v_sub_u16_sdwa v88, v27, v61 dst_sel:BYTE_1 dst_unused:UNUSED_PAD src0_sel:BYTE_1 src1_sel:BYTE_1
	v_sub_u16_sdwa v26, v26, v61 dst_sel:BYTE_1 dst_unused:UNUSED_PAD src0_sel:DWORD src1_sel:BYTE_3
	v_sub_u16_sdwa v27, v27, v61 dst_sel:DWORD dst_unused:UNUSED_PAD src0_sel:WORD_1 src1_sel:WORD_1
	v_or_b32_sdwa v87, v87, v88 dst_sel:DWORD dst_unused:UNUSED_PAD src0_sel:BYTE_0 src1_sel:DWORD
	v_or_b32_sdwa v26, v27, v26 dst_sel:WORD_1 dst_unused:UNUSED_PAD src0_sel:BYTE_0 src1_sel:DWORD
	v_or_b32_sdwa v127, v87, v26 dst_sel:DWORD dst_unused:UNUSED_PAD src0_sel:WORD_0 src1_sel:DWORD
	v_add_u32_e32 v26, s28, v79
	v_add3_u32 v27, s19, v104, v105
	ds_read_b32 v61, v27
	ds_read_u16 v26, v26 offset:26354
	v_dot4_i32_i8 v27, v89, v5, 0
	v_dot4_i32_i8 v27, v93, v6, v27
	;; [unrolled: 1-line block ×4, first 2 shown]
	s_waitcnt lgkmcnt(0)
	v_lshrrev_b16_e32 v88, 8, v26
	v_bfe_i32 v26, v26, 0, 8
	v_dot4_i32_i8 v87, v124, v1, 0
	v_mul_lo_u32 v26, v27, v26
	v_dot4_i32_i8 v87, v125, v2, v87
	v_dot4_i32_i8 v87, v126, v3, v87
	;; [unrolled: 1-line block ×3, first 2 shown]
	v_bfe_i32 v88, v88, 0, 8
                                        ; kill: def $vgpr27 killed $sgpr0 killed $exec
	v_add3_u32 v89, s30, v106, v107
	v_mad_u64_u32 v[26:27], s[34:35], v87, v88, v[26:27]
	v_mul_f32_e32 v27, v120, v61
	ds_read2_b32 v[87:88], v89 offset1:1
	v_cvt_f32_i32_e32 v26, v26
	v_fmac_f32_e32 v76, v27, v26
	v_add_u32_e32 v26, 0x2100, v121
	ds_read2_b32 v[26:27], v26 offset1:1
	s_waitcnt lgkmcnt(1)
	v_ashrrev_i32_e32 v87, s3, v87
	v_lshlrev_b32_e32 v87, 2, v87
	v_and_b32_e32 v87, 0x4040404, v87
	s_waitcnt lgkmcnt(0)
	v_ashrrev_i32_e32 v26, s29, v26
	v_and_b32_e32 v61, 0x3030303, v26
	v_bfe_u32 v26, v26, 24, 2
	v_sub_u16_e32 v93, v61, v87
	v_sub_u16_sdwa v122, v61, v87 dst_sel:BYTE_1 dst_unused:UNUSED_PAD src0_sel:BYTE_1 src1_sel:BYTE_1
	v_sub_u16_sdwa v26, v26, v87 dst_sel:BYTE_1 dst_unused:UNUSED_PAD src0_sel:DWORD src1_sel:BYTE_3
	v_sub_u16_sdwa v61, v61, v87 dst_sel:DWORD dst_unused:UNUSED_PAD src0_sel:WORD_1 src1_sel:WORD_1
	v_or_b32_sdwa v93, v93, v122 dst_sel:DWORD dst_unused:UNUSED_PAD src0_sel:BYTE_0 src1_sel:DWORD
	v_or_b32_sdwa v26, v61, v26 dst_sel:WORD_1 dst_unused:UNUSED_PAD src0_sel:BYTE_0 src1_sel:DWORD
	v_ashrrev_i32_e32 v61, s3, v88
	v_or_b32_sdwa v93, v93, v26 dst_sel:DWORD dst_unused:UNUSED_PAD src0_sel:WORD_0 src1_sel:DWORD
	v_ashrrev_i32_e32 v26, s29, v27
	v_lshlrev_b32_e32 v61, 2, v61
	v_and_b32_e32 v27, 0x3030303, v26
	v_bfe_u32 v26, v26, 24, 2
	v_and_b32_e32 v61, 0x4040404, v61
	v_sub_u16_e32 v87, v27, v61
	v_sub_u16_sdwa v88, v27, v61 dst_sel:BYTE_1 dst_unused:UNUSED_PAD src0_sel:BYTE_1 src1_sel:BYTE_1
	v_sub_u16_sdwa v26, v26, v61 dst_sel:BYTE_1 dst_unused:UNUSED_PAD src0_sel:DWORD src1_sel:BYTE_3
	v_sub_u16_sdwa v27, v27, v61 dst_sel:DWORD dst_unused:UNUSED_PAD src0_sel:WORD_1 src1_sel:WORD_1
	v_or_b32_sdwa v87, v87, v88 dst_sel:DWORD dst_unused:UNUSED_PAD src0_sel:BYTE_0 src1_sel:DWORD
	v_or_b32_sdwa v26, v27, v26 dst_sel:WORD_1 dst_unused:UNUSED_PAD src0_sel:BYTE_0 src1_sel:DWORD
	v_or_b32_sdwa v122, v87, v26 dst_sel:DWORD dst_unused:UNUSED_PAD src0_sel:WORD_0 src1_sel:DWORD
	v_add_u32_e32 v26, 0x2108, v121
	ds_read2_b32 v[26:27], v26 offset1:1
	ds_read2_b32 v[87:88], v89 offset0:2 offset1:3
	s_waitcnt lgkmcnt(1)
	v_ashrrev_i32_e32 v26, s29, v26
	s_waitcnt lgkmcnt(0)
	v_ashrrev_i32_e32 v87, s3, v87
	v_lshlrev_b32_e32 v87, 2, v87
	v_and_b32_e32 v61, 0x3030303, v26
	v_bfe_u32 v26, v26, 24, 2
	v_and_b32_e32 v87, 0x4040404, v87
	v_sub_u16_e32 v123, v61, v87
	v_sub_u16_sdwa v124, v61, v87 dst_sel:BYTE_1 dst_unused:UNUSED_PAD src0_sel:BYTE_1 src1_sel:BYTE_1
	v_sub_u16_sdwa v26, v26, v87 dst_sel:BYTE_1 dst_unused:UNUSED_PAD src0_sel:DWORD src1_sel:BYTE_3
	v_sub_u16_sdwa v61, v61, v87 dst_sel:DWORD dst_unused:UNUSED_PAD src0_sel:WORD_1 src1_sel:WORD_1
	v_or_b32_sdwa v123, v123, v124 dst_sel:DWORD dst_unused:UNUSED_PAD src0_sel:BYTE_0 src1_sel:DWORD
	v_or_b32_sdwa v26, v61, v26 dst_sel:WORD_1 dst_unused:UNUSED_PAD src0_sel:BYTE_0 src1_sel:DWORD
	v_ashrrev_i32_e32 v61, s3, v88
	v_or_b32_sdwa v123, v123, v26 dst_sel:DWORD dst_unused:UNUSED_PAD src0_sel:WORD_0 src1_sel:DWORD
	v_ashrrev_i32_e32 v26, s29, v27
	v_lshlrev_b32_e32 v61, 2, v61
	v_and_b32_e32 v27, 0x3030303, v26
	v_bfe_u32 v26, v26, 24, 2
	v_and_b32_e32 v61, 0x4040404, v61
	v_sub_u16_e32 v87, v27, v61
	v_sub_u16_sdwa v88, v27, v61 dst_sel:BYTE_1 dst_unused:UNUSED_PAD src0_sel:BYTE_1 src1_sel:BYTE_1
	v_sub_u16_sdwa v26, v26, v61 dst_sel:BYTE_1 dst_unused:UNUSED_PAD src0_sel:DWORD src1_sel:BYTE_3
	v_sub_u16_sdwa v27, v27, v61 dst_sel:DWORD dst_unused:UNUSED_PAD src0_sel:WORD_1 src1_sel:WORD_1
	v_or_b32_sdwa v87, v87, v88 dst_sel:DWORD dst_unused:UNUSED_PAD src0_sel:BYTE_0 src1_sel:DWORD
	v_or_b32_sdwa v26, v27, v26 dst_sel:WORD_1 dst_unused:UNUSED_PAD src0_sel:BYTE_0 src1_sel:DWORD
	v_or_b32_sdwa v124, v87, v26 dst_sel:DWORD dst_unused:UNUSED_PAD src0_sel:WORD_0 src1_sel:DWORD
	v_add_u32_e32 v26, 0x2110, v121
	ds_read2_b32 v[26:27], v26 offset1:1
	ds_read2_b32 v[87:88], v89 offset0:4 offset1:5
	s_waitcnt lgkmcnt(1)
	v_ashrrev_i32_e32 v26, s29, v26
	s_waitcnt lgkmcnt(0)
	v_ashrrev_i32_e32 v87, s3, v87
	v_lshlrev_b32_e32 v87, 2, v87
	v_and_b32_e32 v61, 0x3030303, v26
	v_bfe_u32 v26, v26, 24, 2
	v_and_b32_e32 v87, 0x4040404, v87
	;; [unrolled: 31-line block ×3, first 2 shown]
	v_sub_u16_e32 v89, v61, v87
	v_sub_u16_sdwa v127, v61, v87 dst_sel:BYTE_1 dst_unused:UNUSED_PAD src0_sel:BYTE_1 src1_sel:BYTE_1
	v_sub_u16_sdwa v26, v26, v87 dst_sel:BYTE_1 dst_unused:UNUSED_PAD src0_sel:DWORD src1_sel:BYTE_3
	v_sub_u16_sdwa v61, v61, v87 dst_sel:DWORD dst_unused:UNUSED_PAD src0_sel:WORD_1 src1_sel:WORD_1
	v_or_b32_sdwa v89, v89, v127 dst_sel:DWORD dst_unused:UNUSED_PAD src0_sel:BYTE_0 src1_sel:DWORD
	v_or_b32_sdwa v26, v61, v26 dst_sel:WORD_1 dst_unused:UNUSED_PAD src0_sel:BYTE_0 src1_sel:DWORD
	v_ashrrev_i32_e32 v61, s3, v88
	v_or_b32_sdwa v127, v89, v26 dst_sel:DWORD dst_unused:UNUSED_PAD src0_sel:WORD_0 src1_sel:DWORD
	v_ashrrev_i32_e32 v26, s29, v27
	v_lshlrev_b32_e32 v61, 2, v61
	v_and_b32_e32 v27, 0x3030303, v26
	v_bfe_u32 v26, v26, 24, 2
	v_and_b32_e32 v61, 0x4040404, v61
	v_sub_u16_e32 v87, v27, v61
	v_sub_u16_sdwa v88, v27, v61 dst_sel:BYTE_1 dst_unused:UNUSED_PAD src0_sel:BYTE_1 src1_sel:BYTE_1
	v_sub_u16_sdwa v26, v26, v61 dst_sel:BYTE_1 dst_unused:UNUSED_PAD src0_sel:DWORD src1_sel:BYTE_3
	v_sub_u16_sdwa v27, v27, v61 dst_sel:DWORD dst_unused:UNUSED_PAD src0_sel:WORD_1 src1_sel:WORD_1
	v_or_b32_sdwa v87, v87, v88 dst_sel:DWORD dst_unused:UNUSED_PAD src0_sel:BYTE_0 src1_sel:DWORD
	v_or_b32_sdwa v26, v27, v26 dst_sel:WORD_1 dst_unused:UNUSED_PAD src0_sel:BYTE_0 src1_sel:DWORD
	v_or_b32_sdwa v89, v87, v26 dst_sel:DWORD dst_unused:UNUSED_PAD src0_sel:WORD_0 src1_sel:DWORD
	v_add_u32_e32 v26, s28, v78
	v_add3_u32 v27, s19, v108, v109
	ds_read_b32 v61, v27
	ds_read_u16 v26, v26 offset:27378
	v_dot4_i32_i8 v27, v93, v5, 0
	v_dot4_i32_i8 v27, v122, v6, v27
	;; [unrolled: 1-line block ×4, first 2 shown]
	s_waitcnt lgkmcnt(0)
	v_lshrrev_b16_e32 v88, 8, v26
	v_bfe_i32 v26, v26, 0, 8
	v_dot4_i32_i8 v87, v125, v1, 0
	v_mul_lo_u32 v26, v27, v26
	v_dot4_i32_i8 v87, v126, v2, v87
	v_dot4_i32_i8 v87, v127, v3, v87
	;; [unrolled: 1-line block ×3, first 2 shown]
	v_bfe_i32 v88, v88, 0, 8
                                        ; kill: def $vgpr27 killed $sgpr0 killed $exec
	v_add3_u32 v89, s30, v110, v111
	v_mad_u64_u32 v[26:27], s[34:35], v87, v88, v[26:27]
	v_mul_f32_e32 v27, v120, v61
	ds_read2_b32 v[87:88], v89 offset1:1
	v_cvt_f32_i32_e32 v26, v26
	v_fmac_f32_e32 v75, v27, v26
	v_add_u32_e32 v26, 0x3180, v121
	ds_read2_b32 v[26:27], v26 offset1:1
	s_waitcnt lgkmcnt(1)
	v_ashrrev_i32_e32 v87, s3, v87
	v_lshlrev_b32_e32 v87, 2, v87
	v_and_b32_e32 v87, 0x4040404, v87
	s_waitcnt lgkmcnt(0)
	v_ashrrev_i32_e32 v26, s29, v26
	v_and_b32_e32 v61, 0x3030303, v26
	v_bfe_u32 v26, v26, 24, 2
	v_sub_u16_e32 v93, v61, v87
	v_sub_u16_sdwa v122, v61, v87 dst_sel:BYTE_1 dst_unused:UNUSED_PAD src0_sel:BYTE_1 src1_sel:BYTE_1
	v_sub_u16_sdwa v26, v26, v87 dst_sel:BYTE_1 dst_unused:UNUSED_PAD src0_sel:DWORD src1_sel:BYTE_3
	v_sub_u16_sdwa v61, v61, v87 dst_sel:DWORD dst_unused:UNUSED_PAD src0_sel:WORD_1 src1_sel:WORD_1
	v_or_b32_sdwa v93, v93, v122 dst_sel:DWORD dst_unused:UNUSED_PAD src0_sel:BYTE_0 src1_sel:DWORD
	v_or_b32_sdwa v26, v61, v26 dst_sel:WORD_1 dst_unused:UNUSED_PAD src0_sel:BYTE_0 src1_sel:DWORD
	v_ashrrev_i32_e32 v61, s3, v88
	v_or_b32_sdwa v93, v93, v26 dst_sel:DWORD dst_unused:UNUSED_PAD src0_sel:WORD_0 src1_sel:DWORD
	v_ashrrev_i32_e32 v26, s29, v27
	v_lshlrev_b32_e32 v61, 2, v61
	v_and_b32_e32 v27, 0x3030303, v26
	v_bfe_u32 v26, v26, 24, 2
	v_and_b32_e32 v61, 0x4040404, v61
	v_sub_u16_e32 v87, v27, v61
	v_sub_u16_sdwa v88, v27, v61 dst_sel:BYTE_1 dst_unused:UNUSED_PAD src0_sel:BYTE_1 src1_sel:BYTE_1
	v_sub_u16_sdwa v26, v26, v61 dst_sel:BYTE_1 dst_unused:UNUSED_PAD src0_sel:DWORD src1_sel:BYTE_3
	v_sub_u16_sdwa v27, v27, v61 dst_sel:DWORD dst_unused:UNUSED_PAD src0_sel:WORD_1 src1_sel:WORD_1
	v_or_b32_sdwa v87, v87, v88 dst_sel:DWORD dst_unused:UNUSED_PAD src0_sel:BYTE_0 src1_sel:DWORD
	v_or_b32_sdwa v26, v27, v26 dst_sel:WORD_1 dst_unused:UNUSED_PAD src0_sel:BYTE_0 src1_sel:DWORD
	v_or_b32_sdwa v122, v87, v26 dst_sel:DWORD dst_unused:UNUSED_PAD src0_sel:WORD_0 src1_sel:DWORD
	v_add_u32_e32 v26, 0x3188, v121
	ds_read2_b32 v[26:27], v26 offset1:1
	ds_read2_b32 v[87:88], v89 offset0:2 offset1:3
	v_dot4_i32_i8 v5, v93, v5, 0
	v_dot4_i32_i8 v5, v122, v6, v5
	s_waitcnt lgkmcnt(1)
	v_ashrrev_i32_e32 v26, s29, v26
	s_waitcnt lgkmcnt(0)
	v_ashrrev_i32_e32 v87, s3, v87
	v_lshlrev_b32_e32 v87, 2, v87
	v_and_b32_e32 v61, 0x3030303, v26
	v_bfe_u32 v26, v26, 24, 2
	v_and_b32_e32 v87, 0x4040404, v87
	v_sub_u16_e32 v123, v61, v87
	v_sub_u16_sdwa v124, v61, v87 dst_sel:BYTE_1 dst_unused:UNUSED_PAD src0_sel:BYTE_1 src1_sel:BYTE_1
	v_sub_u16_sdwa v26, v26, v87 dst_sel:BYTE_1 dst_unused:UNUSED_PAD src0_sel:DWORD src1_sel:BYTE_3
	v_sub_u16_sdwa v61, v61, v87 dst_sel:DWORD dst_unused:UNUSED_PAD src0_sel:WORD_1 src1_sel:WORD_1
	v_or_b32_sdwa v123, v123, v124 dst_sel:DWORD dst_unused:UNUSED_PAD src0_sel:BYTE_0 src1_sel:DWORD
	v_or_b32_sdwa v26, v61, v26 dst_sel:WORD_1 dst_unused:UNUSED_PAD src0_sel:BYTE_0 src1_sel:DWORD
	v_ashrrev_i32_e32 v61, s3, v88
	v_or_b32_sdwa v123, v123, v26 dst_sel:DWORD dst_unused:UNUSED_PAD src0_sel:WORD_0 src1_sel:DWORD
	v_ashrrev_i32_e32 v26, s29, v27
	v_lshlrev_b32_e32 v61, 2, v61
	v_and_b32_e32 v27, 0x3030303, v26
	v_bfe_u32 v26, v26, 24, 2
	v_and_b32_e32 v61, 0x4040404, v61
	v_sub_u16_e32 v87, v27, v61
	v_sub_u16_sdwa v88, v27, v61 dst_sel:BYTE_1 dst_unused:UNUSED_PAD src0_sel:BYTE_1 src1_sel:BYTE_1
	v_sub_u16_sdwa v26, v26, v61 dst_sel:BYTE_1 dst_unused:UNUSED_PAD src0_sel:DWORD src1_sel:BYTE_3
	v_sub_u16_sdwa v27, v27, v61 dst_sel:DWORD dst_unused:UNUSED_PAD src0_sel:WORD_1 src1_sel:WORD_1
	v_or_b32_sdwa v87, v87, v88 dst_sel:DWORD dst_unused:UNUSED_PAD src0_sel:BYTE_0 src1_sel:DWORD
	v_or_b32_sdwa v26, v27, v26 dst_sel:WORD_1 dst_unused:UNUSED_PAD src0_sel:BYTE_0 src1_sel:DWORD
	v_or_b32_sdwa v124, v87, v26 dst_sel:DWORD dst_unused:UNUSED_PAD src0_sel:WORD_0 src1_sel:DWORD
	v_add_u32_e32 v26, 0x3190, v121
	ds_read2_b32 v[26:27], v26 offset1:1
	ds_read2_b32 v[87:88], v89 offset0:4 offset1:5
	v_dot4_i32_i8 v5, v123, v7, v5
	v_dot4_i32_i8 v5, v124, v8, v5
	s_waitcnt lgkmcnt(1)
	v_ashrrev_i32_e32 v26, s29, v26
	s_waitcnt lgkmcnt(0)
	v_ashrrev_i32_e32 v87, s3, v87
	v_lshlrev_b32_e32 v87, 2, v87
	v_and_b32_e32 v61, 0x3030303, v26
	v_bfe_u32 v26, v26, 24, 2
	v_and_b32_e32 v87, 0x4040404, v87
	;; [unrolled: 33-line block ×3, first 2 shown]
	v_sub_u16_e32 v89, v61, v87
	v_sub_u16_sdwa v121, v61, v87 dst_sel:BYTE_1 dst_unused:UNUSED_PAD src0_sel:BYTE_1 src1_sel:BYTE_1
	v_sub_u16_sdwa v26, v26, v87 dst_sel:BYTE_1 dst_unused:UNUSED_PAD src0_sel:DWORD src1_sel:BYTE_3
	v_sub_u16_sdwa v61, v61, v87 dst_sel:DWORD dst_unused:UNUSED_PAD src0_sel:WORD_1 src1_sel:WORD_1
	v_or_b32_sdwa v89, v89, v121 dst_sel:DWORD dst_unused:UNUSED_PAD src0_sel:BYTE_0 src1_sel:DWORD
	v_or_b32_sdwa v26, v61, v26 dst_sel:WORD_1 dst_unused:UNUSED_PAD src0_sel:BYTE_0 src1_sel:DWORD
	v_ashrrev_i32_e32 v61, s3, v88
	v_or_b32_sdwa v121, v89, v26 dst_sel:DWORD dst_unused:UNUSED_PAD src0_sel:WORD_0 src1_sel:DWORD
	v_ashrrev_i32_e32 v26, s29, v27
	v_lshlrev_b32_e32 v61, 2, v61
	v_and_b32_e32 v27, 0x3030303, v26
	v_bfe_u32 v26, v26, 24, 2
	v_and_b32_e32 v61, 0x4040404, v61
	v_sub_u16_e32 v87, v27, v61
	v_sub_u16_sdwa v88, v27, v61 dst_sel:BYTE_1 dst_unused:UNUSED_PAD src0_sel:BYTE_1 src1_sel:BYTE_1
	v_sub_u16_sdwa v26, v26, v61 dst_sel:BYTE_1 dst_unused:UNUSED_PAD src0_sel:DWORD src1_sel:BYTE_3
	v_sub_u16_sdwa v27, v27, v61 dst_sel:DWORD dst_unused:UNUSED_PAD src0_sel:WORD_1 src1_sel:WORD_1
	v_or_b32_sdwa v87, v87, v88 dst_sel:DWORD dst_unused:UNUSED_PAD src0_sel:BYTE_0 src1_sel:DWORD
	v_or_b32_sdwa v26, v27, v26 dst_sel:WORD_1 dst_unused:UNUSED_PAD src0_sel:BYTE_0 src1_sel:DWORD
	v_or_b32_sdwa v127, v87, v26 dst_sel:DWORD dst_unused:UNUSED_PAD src0_sel:WORD_0 src1_sel:DWORD
	v_add_u32_e32 v88, s28, v77
	v_add3_u32 v26, s19, v112, v113
	v_dot4_i32_i8 v1, v121, v3, v1
	ds_read_b32 v89, v26
	v_dot4_i32_i8 v2, v127, v4, v1
	ds_read_u16 v1, v88 offset:28402
	s_add_i32 s3, s3, 1
	s_cmp_lt_u32 s18, 22
	s_mov_b32 s19, s18
	s_waitcnt lgkmcnt(0)
	v_lshrrev_b16_e32 v3, 8, v1
	v_bfe_i32 v1, v1, 0, 8
	v_mul_lo_u32 v1, v5, v1
	v_bfe_i32 v3, v3, 0, 8
	v_mad_u64_u32 v[1:2], s[28:29], v2, v3, v[1:2]
	v_mul_f32_e32 v2, v120, v89
	v_cvt_f32_i32_e32 v1, v1
	v_fmac_f32_e32 v25, v2, v1
	s_cbranch_scc1 .LBB210_27
; %bb.28:                               ;   in Loop: Header=BB210_5 Depth=1
	s_or_b32 s2, s26, 0x180
	s_cmp_ge_i32 s2, s9
	s_barrier
	s_cbranch_scc1 .LBB210_4
; %bb.29:                               ;   in Loop: Header=BB210_5 Depth=1
	buffer_load_dword v1, off, s[36:39], 0 offset:12 ; 4-byte Folded Reload
	s_waitcnt vmcnt(0)
	v_add_u32_e32 v1, s27, v1
	v_cmp_gt_i32_e64 s[2:3], s12, v1
	s_and_b64 s[18:19], s[0:1], s[2:3]
	s_and_saveexec_b64 s[2:3], s[18:19]
	s_cbranch_execz .LBB210_31
; %bb.30:                               ;   in Loop: Header=BB210_5 Depth=1
	buffer_load_dword v2, off, s[36:39], 0  ; 4-byte Folded Reload
	buffer_load_dword v3, off, s[36:39], 0 offset:4 ; 4-byte Folded Reload
	v_add_u32_e32 v1, v90, v1
	s_waitcnt vmcnt(0)
	v_mad_i64_i32 v[1:2], s[18:19], v1, 36, v[2:3]
	global_load_dword v1, v[1:2], off offset:4
	s_waitcnt vmcnt(0)
	ds_write_b32 v72, v1
.LBB210_31:                             ;   in Loop: Header=BB210_5 Depth=1
	s_or_b64 exec, exec, s[2:3]
	s_and_saveexec_b64 s[18:19], vcc
	s_cbranch_execz .LBB210_34
; %bb.32:                               ;   in Loop: Header=BB210_5 Depth=1
	v_or_b32_e32 v1, 12, v117
	v_cmp_gt_i32_e64 s[2:3], s12, v1
	s_and_b64 s[2:3], s[0:1], s[2:3]
	s_and_b64 exec, exec, s[2:3]
	s_cbranch_execz .LBB210_34
; %bb.33:                               ;   in Loop: Header=BB210_5 Depth=1
	v_ashrrev_i32_e32 v1, 31, v117
	v_add_co_u32_e64 v2, s[2:3], v90, v117
	v_ashrrev_i32_e32 v3, 31, v90
	v_addc_co_u32_e64 v3, s[2:3], v3, v1, s[2:3]
	v_mad_u64_u32 v[1:2], s[2:3], v2, 36, s[6:7]
	v_mad_i32_i24 v2, v3, 36, v2
	global_load_dword v1, v[1:2], off offset:432
	s_waitcnt vmcnt(0)
	v_cvt_f32_f16_e32 v1, v1
	ds_write_b32 v74, v1
.LBB210_34:                             ;   in Loop: Header=BB210_5 Depth=1
	s_or_b64 exec, exec, s[18:19]
	s_mov_b32 s2, 24
	s_mov_b32 s19, 22
	;; [unrolled: 1-line block ×3, first 2 shown]
	v_mov_b32_e32 v117, v71
	v_mov_b32_e32 v118, v73
	s_waitcnt lgkmcnt(0)
	s_barrier
.LBB210_35:                             ;   Parent Loop BB210_5 Depth=1
                                        ; =>  This Inner Loop Header: Depth=2
	s_add_i32 s18, s19, 2
	s_lshr_b32 s29, s18, 4
	s_and_b32 s28, s18, 0x3ffffff8
	v_lshl_add_u32 v120, s28, 2, v91
	s_lshl_b32 s28, s29, 5
	s_addk_i32 s28, 0x4200
	v_add3_u32 v125, s28, v114, v101
	ds_read_b32 v119, v118
	ds_read_b128 v[5:8], v117
	ds_read_b128 v[1:4], v117 offset:16
	ds_read2_b32 v[26:27], v120 offset1:1
	ds_read2_b32 v[87:88], v125 offset1:1
	s_sub_i32 s27, s19, 22
	s_and_b32 s26, s2, -16
	s_add_i32 s26, s19, s26
	s_waitcnt lgkmcnt(1)
	v_ashrrev_i32_e32 v26, s27, v26
	s_waitcnt lgkmcnt(0)
	v_ashrrev_i32_e32 v87, s3, v87
	v_lshlrev_b32_e32 v87, 2, v87
	v_and_b32_e32 v61, 0x3030303, v26
	v_bfe_u32 v26, v26, 24, 2
	v_and_b32_e32 v87, 0x4040404, v87
	v_sub_u16_e32 v89, v61, v87
	v_sub_u16_sdwa v93, v61, v87 dst_sel:BYTE_1 dst_unused:UNUSED_PAD src0_sel:BYTE_1 src1_sel:BYTE_1
	v_sub_u16_sdwa v26, v26, v87 dst_sel:BYTE_1 dst_unused:UNUSED_PAD src0_sel:DWORD src1_sel:BYTE_3
	v_sub_u16_sdwa v61, v61, v87 dst_sel:DWORD dst_unused:UNUSED_PAD src0_sel:WORD_1 src1_sel:WORD_1
	v_or_b32_sdwa v89, v89, v93 dst_sel:DWORD dst_unused:UNUSED_PAD src0_sel:BYTE_0 src1_sel:DWORD
	v_or_b32_sdwa v26, v61, v26 dst_sel:WORD_1 dst_unused:UNUSED_PAD src0_sel:BYTE_0 src1_sel:DWORD
	v_ashrrev_i32_e32 v61, s3, v88
	v_or_b32_sdwa v93, v89, v26 dst_sel:DWORD dst_unused:UNUSED_PAD src0_sel:WORD_0 src1_sel:DWORD
	v_ashrrev_i32_e32 v26, s27, v27
	v_lshlrev_b32_e32 v61, 2, v61
	v_and_b32_e32 v27, 0x3030303, v26
	v_bfe_u32 v26, v26, 24, 2
	v_and_b32_e32 v61, 0x4040404, v61
	v_sub_u16_e32 v87, v27, v61
	v_sub_u16_sdwa v88, v27, v61 dst_sel:BYTE_1 dst_unused:UNUSED_PAD src0_sel:BYTE_1 src1_sel:BYTE_1
	v_sub_u16_sdwa v26, v26, v61 dst_sel:BYTE_1 dst_unused:UNUSED_PAD src0_sel:DWORD src1_sel:BYTE_3
	v_sub_u16_sdwa v27, v27, v61 dst_sel:DWORD dst_unused:UNUSED_PAD src0_sel:WORD_1 src1_sel:WORD_1
	v_or_b32_sdwa v87, v87, v88 dst_sel:DWORD dst_unused:UNUSED_PAD src0_sel:BYTE_0 src1_sel:DWORD
	v_or_b32_sdwa v26, v27, v26 dst_sel:WORD_1 dst_unused:UNUSED_PAD src0_sel:BYTE_0 src1_sel:DWORD
	v_or_b32_sdwa v121, v87, v26 dst_sel:DWORD dst_unused:UNUSED_PAD src0_sel:WORD_0 src1_sel:DWORD
	ds_read2_b32 v[26:27], v120 offset0:2 offset1:3
	ds_read2_b32 v[87:88], v125 offset0:2 offset1:3
	s_lshl_b32 s19, s29, 2
	s_addk_i32 s19, 0x7380
	s_add_i32 s2, s2, 2
	s_waitcnt lgkmcnt(1)
	v_ashrrev_i32_e32 v26, s27, v26
	s_waitcnt lgkmcnt(0)
	v_ashrrev_i32_e32 v87, s3, v87
	v_lshlrev_b32_e32 v87, 2, v87
	v_and_b32_e32 v61, 0x3030303, v26
	v_bfe_u32 v26, v26, 24, 2
	v_and_b32_e32 v87, 0x4040404, v87
	v_sub_u16_e32 v89, v61, v87
	v_sub_u16_sdwa v122, v61, v87 dst_sel:BYTE_1 dst_unused:UNUSED_PAD src0_sel:BYTE_1 src1_sel:BYTE_1
	v_sub_u16_sdwa v26, v26, v87 dst_sel:BYTE_1 dst_unused:UNUSED_PAD src0_sel:DWORD src1_sel:BYTE_3
	v_sub_u16_sdwa v61, v61, v87 dst_sel:DWORD dst_unused:UNUSED_PAD src0_sel:WORD_1 src1_sel:WORD_1
	v_or_b32_sdwa v89, v89, v122 dst_sel:DWORD dst_unused:UNUSED_PAD src0_sel:BYTE_0 src1_sel:DWORD
	v_or_b32_sdwa v26, v61, v26 dst_sel:WORD_1 dst_unused:UNUSED_PAD src0_sel:BYTE_0 src1_sel:DWORD
	v_ashrrev_i32_e32 v61, s3, v88
	v_or_b32_sdwa v122, v89, v26 dst_sel:DWORD dst_unused:UNUSED_PAD src0_sel:WORD_0 src1_sel:DWORD
	v_ashrrev_i32_e32 v26, s27, v27
	v_lshlrev_b32_e32 v61, 2, v61
	v_and_b32_e32 v27, 0x3030303, v26
	v_bfe_u32 v26, v26, 24, 2
	v_and_b32_e32 v61, 0x4040404, v61
	v_sub_u16_e32 v87, v27, v61
	v_sub_u16_sdwa v88, v27, v61 dst_sel:BYTE_1 dst_unused:UNUSED_PAD src0_sel:BYTE_1 src1_sel:BYTE_1
	v_sub_u16_sdwa v26, v26, v61 dst_sel:BYTE_1 dst_unused:UNUSED_PAD src0_sel:DWORD src1_sel:BYTE_3
	v_sub_u16_sdwa v27, v27, v61 dst_sel:DWORD dst_unused:UNUSED_PAD src0_sel:WORD_1 src1_sel:WORD_1
	v_or_b32_sdwa v87, v87, v88 dst_sel:DWORD dst_unused:UNUSED_PAD src0_sel:BYTE_0 src1_sel:DWORD
	v_or_b32_sdwa v26, v27, v26 dst_sel:WORD_1 dst_unused:UNUSED_PAD src0_sel:BYTE_0 src1_sel:DWORD
	v_or_b32_sdwa v89, v87, v26 dst_sel:DWORD dst_unused:UNUSED_PAD src0_sel:WORD_0 src1_sel:DWORD
	ds_read2_b32 v[26:27], v120 offset0:4 offset1:5
	ds_read2_b32 v[87:88], v125 offset0:4 offset1:5
	v_add_u32_e32 v118, 4, v118
	v_add_u32_e32 v117, 32, v117
	s_waitcnt lgkmcnt(1)
	v_ashrrev_i32_e32 v26, s27, v26
	s_waitcnt lgkmcnt(0)
	v_ashrrev_i32_e32 v87, s3, v87
	v_lshlrev_b32_e32 v87, 2, v87
	v_and_b32_e32 v61, 0x3030303, v26
	v_bfe_u32 v26, v26, 24, 2
	v_and_b32_e32 v87, 0x4040404, v87
	v_sub_u16_e32 v123, v61, v87
	v_sub_u16_sdwa v124, v61, v87 dst_sel:BYTE_1 dst_unused:UNUSED_PAD src0_sel:BYTE_1 src1_sel:BYTE_1
	v_sub_u16_sdwa v26, v26, v87 dst_sel:BYTE_1 dst_unused:UNUSED_PAD src0_sel:DWORD src1_sel:BYTE_3
	v_sub_u16_sdwa v61, v61, v87 dst_sel:DWORD dst_unused:UNUSED_PAD src0_sel:WORD_1 src1_sel:WORD_1
	v_or_b32_sdwa v123, v123, v124 dst_sel:DWORD dst_unused:UNUSED_PAD src0_sel:BYTE_0 src1_sel:DWORD
	v_or_b32_sdwa v26, v61, v26 dst_sel:WORD_1 dst_unused:UNUSED_PAD src0_sel:BYTE_0 src1_sel:DWORD
	v_ashrrev_i32_e32 v61, s3, v88
	v_or_b32_sdwa v123, v123, v26 dst_sel:DWORD dst_unused:UNUSED_PAD src0_sel:WORD_0 src1_sel:DWORD
	v_ashrrev_i32_e32 v26, s27, v27
	v_lshlrev_b32_e32 v61, 2, v61
	v_and_b32_e32 v27, 0x3030303, v26
	v_bfe_u32 v26, v26, 24, 2
	v_and_b32_e32 v61, 0x4040404, v61
	v_sub_u16_e32 v87, v27, v61
	v_sub_u16_sdwa v88, v27, v61 dst_sel:BYTE_1 dst_unused:UNUSED_PAD src0_sel:BYTE_1 src1_sel:BYTE_1
	v_sub_u16_sdwa v26, v26, v61 dst_sel:BYTE_1 dst_unused:UNUSED_PAD src0_sel:DWORD src1_sel:BYTE_3
	v_sub_u16_sdwa v27, v27, v61 dst_sel:DWORD dst_unused:UNUSED_PAD src0_sel:WORD_1 src1_sel:WORD_1
	v_or_b32_sdwa v87, v87, v88 dst_sel:DWORD dst_unused:UNUSED_PAD src0_sel:BYTE_0 src1_sel:DWORD
	v_or_b32_sdwa v26, v27, v26 dst_sel:WORD_1 dst_unused:UNUSED_PAD src0_sel:BYTE_0 src1_sel:DWORD
	v_or_b32_sdwa v124, v87, v26 dst_sel:DWORD dst_unused:UNUSED_PAD src0_sel:WORD_0 src1_sel:DWORD
	ds_read2_b32 v[26:27], v120 offset0:6 offset1:7
	ds_read2_b32 v[87:88], v125 offset0:6 offset1:7
	s_waitcnt lgkmcnt(1)
	v_ashrrev_i32_e32 v26, s27, v26
	s_waitcnt lgkmcnt(0)
	v_ashrrev_i32_e32 v87, s3, v87
	v_lshlrev_b32_e32 v87, 2, v87
	v_and_b32_e32 v61, 0x3030303, v26
	v_bfe_u32 v26, v26, 24, 2
	v_and_b32_e32 v87, 0x4040404, v87
	v_sub_u16_e32 v125, v61, v87
	v_sub_u16_sdwa v126, v61, v87 dst_sel:BYTE_1 dst_unused:UNUSED_PAD src0_sel:BYTE_1 src1_sel:BYTE_1
	v_sub_u16_sdwa v26, v26, v87 dst_sel:BYTE_1 dst_unused:UNUSED_PAD src0_sel:DWORD src1_sel:BYTE_3
	v_sub_u16_sdwa v61, v61, v87 dst_sel:DWORD dst_unused:UNUSED_PAD src0_sel:WORD_1 src1_sel:WORD_1
	v_or_b32_sdwa v125, v125, v126 dst_sel:DWORD dst_unused:UNUSED_PAD src0_sel:BYTE_0 src1_sel:DWORD
	v_or_b32_sdwa v26, v61, v26 dst_sel:WORD_1 dst_unused:UNUSED_PAD src0_sel:BYTE_0 src1_sel:DWORD
	v_ashrrev_i32_e32 v61, s3, v88
	v_or_b32_sdwa v125, v125, v26 dst_sel:DWORD dst_unused:UNUSED_PAD src0_sel:WORD_0 src1_sel:DWORD
	v_ashrrev_i32_e32 v26, s27, v27
	v_lshlrev_b32_e32 v61, 2, v61
	v_and_b32_e32 v27, 0x3030303, v26
	v_bfe_u32 v26, v26, 24, 2
	v_and_b32_e32 v61, 0x4040404, v61
	v_sub_u16_e32 v87, v27, v61
	v_sub_u16_sdwa v88, v27, v61 dst_sel:BYTE_1 dst_unused:UNUSED_PAD src0_sel:BYTE_1 src1_sel:BYTE_1
	v_sub_u16_sdwa v26, v26, v61 dst_sel:BYTE_1 dst_unused:UNUSED_PAD src0_sel:DWORD src1_sel:BYTE_3
	v_sub_u16_sdwa v27, v27, v61 dst_sel:DWORD dst_unused:UNUSED_PAD src0_sel:WORD_1 src1_sel:WORD_1
	v_or_b32_sdwa v87, v87, v88 dst_sel:DWORD dst_unused:UNUSED_PAD src0_sel:BYTE_0 src1_sel:DWORD
	v_or_b32_sdwa v26, v27, v26 dst_sel:WORD_1 dst_unused:UNUSED_PAD src0_sel:BYTE_0 src1_sel:DWORD
	v_or_b32_sdwa v126, v87, v26 dst_sel:DWORD dst_unused:UNUSED_PAD src0_sel:WORD_0 src1_sel:DWORD
	v_add_u32_e32 v26, s26, v80
	v_add3_u32 v27, s19, v115, v116
	ds_read_b32 v61, v27
	ds_read_u16 v26, v26 offset:25330
	v_dot4_i32_i8 v27, v93, v5, 0
	v_dot4_i32_i8 v27, v121, v6, v27
	;; [unrolled: 1-line block ×4, first 2 shown]
	s_waitcnt lgkmcnt(0)
	v_lshrrev_b16_e32 v88, 8, v26
	v_bfe_i32 v26, v26, 0, 8
	v_dot4_i32_i8 v87, v123, v1, 0
	v_mul_lo_u32 v26, v27, v26
	v_dot4_i32_i8 v87, v124, v2, v87
	v_dot4_i32_i8 v87, v125, v3, v87
	;; [unrolled: 1-line block ×3, first 2 shown]
	v_bfe_i32 v88, v88, 0, 8
                                        ; kill: def $vgpr27 killed $sgpr0 killed $exec
	v_add3_u32 v125, s28, v102, v103
	v_mad_u64_u32 v[26:27], s[30:31], v87, v88, v[26:27]
	v_mul_f32_e32 v27, v119, v61
	ds_read2_b32 v[87:88], v125 offset1:1
	v_cvt_f32_i32_e32 v26, v26
	v_fmac_f32_e32 v29, v27, v26
	v_add_u32_e32 v26, 0x1080, v120
	ds_read2_b32 v[26:27], v26 offset1:1
	s_waitcnt lgkmcnt(1)
	v_ashrrev_i32_e32 v87, s3, v87
	v_lshlrev_b32_e32 v87, 2, v87
	v_and_b32_e32 v87, 0x4040404, v87
	s_waitcnt lgkmcnt(0)
	v_ashrrev_i32_e32 v26, s27, v26
	v_and_b32_e32 v61, 0x3030303, v26
	v_bfe_u32 v26, v26, 24, 2
	v_sub_u16_e32 v89, v61, v87
	v_sub_u16_sdwa v93, v61, v87 dst_sel:BYTE_1 dst_unused:UNUSED_PAD src0_sel:BYTE_1 src1_sel:BYTE_1
	v_sub_u16_sdwa v26, v26, v87 dst_sel:BYTE_1 dst_unused:UNUSED_PAD src0_sel:DWORD src1_sel:BYTE_3
	v_sub_u16_sdwa v61, v61, v87 dst_sel:DWORD dst_unused:UNUSED_PAD src0_sel:WORD_1 src1_sel:WORD_1
	v_or_b32_sdwa v89, v89, v93 dst_sel:DWORD dst_unused:UNUSED_PAD src0_sel:BYTE_0 src1_sel:DWORD
	v_or_b32_sdwa v26, v61, v26 dst_sel:WORD_1 dst_unused:UNUSED_PAD src0_sel:BYTE_0 src1_sel:DWORD
	v_ashrrev_i32_e32 v61, s3, v88
	v_or_b32_sdwa v89, v89, v26 dst_sel:DWORD dst_unused:UNUSED_PAD src0_sel:WORD_0 src1_sel:DWORD
	v_ashrrev_i32_e32 v26, s27, v27
	v_lshlrev_b32_e32 v61, 2, v61
	v_and_b32_e32 v27, 0x3030303, v26
	v_bfe_u32 v26, v26, 24, 2
	v_and_b32_e32 v61, 0x4040404, v61
	v_sub_u16_e32 v87, v27, v61
	v_sub_u16_sdwa v88, v27, v61 dst_sel:BYTE_1 dst_unused:UNUSED_PAD src0_sel:BYTE_1 src1_sel:BYTE_1
	v_sub_u16_sdwa v26, v26, v61 dst_sel:BYTE_1 dst_unused:UNUSED_PAD src0_sel:DWORD src1_sel:BYTE_3
	v_sub_u16_sdwa v27, v27, v61 dst_sel:DWORD dst_unused:UNUSED_PAD src0_sel:WORD_1 src1_sel:WORD_1
	v_or_b32_sdwa v87, v87, v88 dst_sel:DWORD dst_unused:UNUSED_PAD src0_sel:BYTE_0 src1_sel:DWORD
	v_or_b32_sdwa v26, v27, v26 dst_sel:WORD_1 dst_unused:UNUSED_PAD src0_sel:BYTE_0 src1_sel:DWORD
	v_or_b32_sdwa v93, v87, v26 dst_sel:DWORD dst_unused:UNUSED_PAD src0_sel:WORD_0 src1_sel:DWORD
	v_add_u32_e32 v26, 0x1088, v120
	ds_read2_b32 v[26:27], v26 offset1:1
	ds_read2_b32 v[87:88], v125 offset0:2 offset1:3
	s_waitcnt lgkmcnt(1)
	v_ashrrev_i32_e32 v26, s27, v26
	s_waitcnt lgkmcnt(0)
	v_ashrrev_i32_e32 v87, s3, v87
	v_lshlrev_b32_e32 v87, 2, v87
	v_and_b32_e32 v61, 0x3030303, v26
	v_bfe_u32 v26, v26, 24, 2
	v_and_b32_e32 v87, 0x4040404, v87
	v_sub_u16_e32 v121, v61, v87
	v_sub_u16_sdwa v122, v61, v87 dst_sel:BYTE_1 dst_unused:UNUSED_PAD src0_sel:BYTE_1 src1_sel:BYTE_1
	v_sub_u16_sdwa v26, v26, v87 dst_sel:BYTE_1 dst_unused:UNUSED_PAD src0_sel:DWORD src1_sel:BYTE_3
	v_sub_u16_sdwa v61, v61, v87 dst_sel:DWORD dst_unused:UNUSED_PAD src0_sel:WORD_1 src1_sel:WORD_1
	v_or_b32_sdwa v121, v121, v122 dst_sel:DWORD dst_unused:UNUSED_PAD src0_sel:BYTE_0 src1_sel:DWORD
	v_or_b32_sdwa v26, v61, v26 dst_sel:WORD_1 dst_unused:UNUSED_PAD src0_sel:BYTE_0 src1_sel:DWORD
	v_ashrrev_i32_e32 v61, s3, v88
	v_or_b32_sdwa v121, v121, v26 dst_sel:DWORD dst_unused:UNUSED_PAD src0_sel:WORD_0 src1_sel:DWORD
	v_ashrrev_i32_e32 v26, s27, v27
	v_lshlrev_b32_e32 v61, 2, v61
	v_and_b32_e32 v27, 0x3030303, v26
	v_bfe_u32 v26, v26, 24, 2
	v_and_b32_e32 v61, 0x4040404, v61
	v_sub_u16_e32 v87, v27, v61
	v_sub_u16_sdwa v88, v27, v61 dst_sel:BYTE_1 dst_unused:UNUSED_PAD src0_sel:BYTE_1 src1_sel:BYTE_1
	v_sub_u16_sdwa v26, v26, v61 dst_sel:BYTE_1 dst_unused:UNUSED_PAD src0_sel:DWORD src1_sel:BYTE_3
	v_sub_u16_sdwa v27, v27, v61 dst_sel:DWORD dst_unused:UNUSED_PAD src0_sel:WORD_1 src1_sel:WORD_1
	v_or_b32_sdwa v87, v87, v88 dst_sel:DWORD dst_unused:UNUSED_PAD src0_sel:BYTE_0 src1_sel:DWORD
	v_or_b32_sdwa v26, v27, v26 dst_sel:WORD_1 dst_unused:UNUSED_PAD src0_sel:BYTE_0 src1_sel:DWORD
	v_or_b32_sdwa v122, v87, v26 dst_sel:DWORD dst_unused:UNUSED_PAD src0_sel:WORD_0 src1_sel:DWORD
	v_add_u32_e32 v26, 0x1090, v120
	ds_read2_b32 v[26:27], v26 offset1:1
	ds_read2_b32 v[87:88], v125 offset0:4 offset1:5
	s_waitcnt lgkmcnt(1)
	v_ashrrev_i32_e32 v26, s27, v26
	s_waitcnt lgkmcnt(0)
	v_ashrrev_i32_e32 v87, s3, v87
	v_lshlrev_b32_e32 v87, 2, v87
	v_and_b32_e32 v61, 0x3030303, v26
	v_bfe_u32 v26, v26, 24, 2
	v_and_b32_e32 v87, 0x4040404, v87
	;; [unrolled: 31-line block ×3, first 2 shown]
	v_sub_u16_e32 v125, v61, v87
	v_sub_u16_sdwa v126, v61, v87 dst_sel:BYTE_1 dst_unused:UNUSED_PAD src0_sel:BYTE_1 src1_sel:BYTE_1
	v_sub_u16_sdwa v26, v26, v87 dst_sel:BYTE_1 dst_unused:UNUSED_PAD src0_sel:DWORD src1_sel:BYTE_3
	v_sub_u16_sdwa v61, v61, v87 dst_sel:DWORD dst_unused:UNUSED_PAD src0_sel:WORD_1 src1_sel:WORD_1
	v_or_b32_sdwa v125, v125, v126 dst_sel:DWORD dst_unused:UNUSED_PAD src0_sel:BYTE_0 src1_sel:DWORD
	v_or_b32_sdwa v26, v61, v26 dst_sel:WORD_1 dst_unused:UNUSED_PAD src0_sel:BYTE_0 src1_sel:DWORD
	v_ashrrev_i32_e32 v61, s3, v88
	v_or_b32_sdwa v125, v125, v26 dst_sel:DWORD dst_unused:UNUSED_PAD src0_sel:WORD_0 src1_sel:DWORD
	v_ashrrev_i32_e32 v26, s27, v27
	v_lshlrev_b32_e32 v61, 2, v61
	v_and_b32_e32 v27, 0x3030303, v26
	v_bfe_u32 v26, v26, 24, 2
	v_and_b32_e32 v61, 0x4040404, v61
	v_sub_u16_e32 v87, v27, v61
	v_sub_u16_sdwa v88, v27, v61 dst_sel:BYTE_1 dst_unused:UNUSED_PAD src0_sel:BYTE_1 src1_sel:BYTE_1
	v_sub_u16_sdwa v26, v26, v61 dst_sel:BYTE_1 dst_unused:UNUSED_PAD src0_sel:DWORD src1_sel:BYTE_3
	v_sub_u16_sdwa v27, v27, v61 dst_sel:DWORD dst_unused:UNUSED_PAD src0_sel:WORD_1 src1_sel:WORD_1
	v_or_b32_sdwa v87, v87, v88 dst_sel:DWORD dst_unused:UNUSED_PAD src0_sel:BYTE_0 src1_sel:DWORD
	v_or_b32_sdwa v26, v27, v26 dst_sel:WORD_1 dst_unused:UNUSED_PAD src0_sel:BYTE_0 src1_sel:DWORD
	v_or_b32_sdwa v126, v87, v26 dst_sel:DWORD dst_unused:UNUSED_PAD src0_sel:WORD_0 src1_sel:DWORD
	v_add_u32_e32 v26, s26, v79
	v_add3_u32 v27, s19, v104, v105
	ds_read_b32 v61, v27
	ds_read_u16 v26, v26 offset:26354
	v_dot4_i32_i8 v27, v89, v5, 0
	v_dot4_i32_i8 v27, v93, v6, v27
	;; [unrolled: 1-line block ×4, first 2 shown]
	s_waitcnt lgkmcnt(0)
	v_lshrrev_b16_e32 v88, 8, v26
	v_bfe_i32 v26, v26, 0, 8
	v_dot4_i32_i8 v87, v123, v1, 0
	v_mul_lo_u32 v26, v27, v26
	v_dot4_i32_i8 v87, v124, v2, v87
	v_dot4_i32_i8 v87, v125, v3, v87
	;; [unrolled: 1-line block ×3, first 2 shown]
	v_bfe_i32 v88, v88, 0, 8
                                        ; kill: def $vgpr27 killed $sgpr0 killed $exec
	v_add3_u32 v89, s28, v106, v107
	v_mad_u64_u32 v[26:27], s[30:31], v87, v88, v[26:27]
	v_mul_f32_e32 v27, v119, v61
	ds_read2_b32 v[87:88], v89 offset1:1
	v_cvt_f32_i32_e32 v26, v26
	v_fmac_f32_e32 v76, v27, v26
	v_add_u32_e32 v26, 0x2100, v120
	ds_read2_b32 v[26:27], v26 offset1:1
	s_waitcnt lgkmcnt(1)
	v_ashrrev_i32_e32 v87, s3, v87
	v_lshlrev_b32_e32 v87, 2, v87
	v_and_b32_e32 v87, 0x4040404, v87
	s_waitcnt lgkmcnt(0)
	v_ashrrev_i32_e32 v26, s27, v26
	v_and_b32_e32 v61, 0x3030303, v26
	v_bfe_u32 v26, v26, 24, 2
	v_sub_u16_e32 v93, v61, v87
	v_sub_u16_sdwa v121, v61, v87 dst_sel:BYTE_1 dst_unused:UNUSED_PAD src0_sel:BYTE_1 src1_sel:BYTE_1
	v_sub_u16_sdwa v26, v26, v87 dst_sel:BYTE_1 dst_unused:UNUSED_PAD src0_sel:DWORD src1_sel:BYTE_3
	v_sub_u16_sdwa v61, v61, v87 dst_sel:DWORD dst_unused:UNUSED_PAD src0_sel:WORD_1 src1_sel:WORD_1
	v_or_b32_sdwa v93, v93, v121 dst_sel:DWORD dst_unused:UNUSED_PAD src0_sel:BYTE_0 src1_sel:DWORD
	v_or_b32_sdwa v26, v61, v26 dst_sel:WORD_1 dst_unused:UNUSED_PAD src0_sel:BYTE_0 src1_sel:DWORD
	v_ashrrev_i32_e32 v61, s3, v88
	v_or_b32_sdwa v93, v93, v26 dst_sel:DWORD dst_unused:UNUSED_PAD src0_sel:WORD_0 src1_sel:DWORD
	v_ashrrev_i32_e32 v26, s27, v27
	v_lshlrev_b32_e32 v61, 2, v61
	v_and_b32_e32 v27, 0x3030303, v26
	v_bfe_u32 v26, v26, 24, 2
	v_and_b32_e32 v61, 0x4040404, v61
	v_sub_u16_e32 v87, v27, v61
	v_sub_u16_sdwa v88, v27, v61 dst_sel:BYTE_1 dst_unused:UNUSED_PAD src0_sel:BYTE_1 src1_sel:BYTE_1
	v_sub_u16_sdwa v26, v26, v61 dst_sel:BYTE_1 dst_unused:UNUSED_PAD src0_sel:DWORD src1_sel:BYTE_3
	v_sub_u16_sdwa v27, v27, v61 dst_sel:DWORD dst_unused:UNUSED_PAD src0_sel:WORD_1 src1_sel:WORD_1
	v_or_b32_sdwa v87, v87, v88 dst_sel:DWORD dst_unused:UNUSED_PAD src0_sel:BYTE_0 src1_sel:DWORD
	v_or_b32_sdwa v26, v27, v26 dst_sel:WORD_1 dst_unused:UNUSED_PAD src0_sel:BYTE_0 src1_sel:DWORD
	v_or_b32_sdwa v121, v87, v26 dst_sel:DWORD dst_unused:UNUSED_PAD src0_sel:WORD_0 src1_sel:DWORD
	v_add_u32_e32 v26, 0x2108, v120
	ds_read2_b32 v[26:27], v26 offset1:1
	ds_read2_b32 v[87:88], v89 offset0:2 offset1:3
	s_waitcnt lgkmcnt(1)
	v_ashrrev_i32_e32 v26, s27, v26
	s_waitcnt lgkmcnt(0)
	v_ashrrev_i32_e32 v87, s3, v87
	v_lshlrev_b32_e32 v87, 2, v87
	v_and_b32_e32 v61, 0x3030303, v26
	v_bfe_u32 v26, v26, 24, 2
	v_and_b32_e32 v87, 0x4040404, v87
	v_sub_u16_e32 v122, v61, v87
	v_sub_u16_sdwa v123, v61, v87 dst_sel:BYTE_1 dst_unused:UNUSED_PAD src0_sel:BYTE_1 src1_sel:BYTE_1
	v_sub_u16_sdwa v26, v26, v87 dst_sel:BYTE_1 dst_unused:UNUSED_PAD src0_sel:DWORD src1_sel:BYTE_3
	v_sub_u16_sdwa v61, v61, v87 dst_sel:DWORD dst_unused:UNUSED_PAD src0_sel:WORD_1 src1_sel:WORD_1
	v_or_b32_sdwa v122, v122, v123 dst_sel:DWORD dst_unused:UNUSED_PAD src0_sel:BYTE_0 src1_sel:DWORD
	v_or_b32_sdwa v26, v61, v26 dst_sel:WORD_1 dst_unused:UNUSED_PAD src0_sel:BYTE_0 src1_sel:DWORD
	v_ashrrev_i32_e32 v61, s3, v88
	v_or_b32_sdwa v122, v122, v26 dst_sel:DWORD dst_unused:UNUSED_PAD src0_sel:WORD_0 src1_sel:DWORD
	v_ashrrev_i32_e32 v26, s27, v27
	v_lshlrev_b32_e32 v61, 2, v61
	v_and_b32_e32 v27, 0x3030303, v26
	v_bfe_u32 v26, v26, 24, 2
	v_and_b32_e32 v61, 0x4040404, v61
	v_sub_u16_e32 v87, v27, v61
	v_sub_u16_sdwa v88, v27, v61 dst_sel:BYTE_1 dst_unused:UNUSED_PAD src0_sel:BYTE_1 src1_sel:BYTE_1
	v_sub_u16_sdwa v26, v26, v61 dst_sel:BYTE_1 dst_unused:UNUSED_PAD src0_sel:DWORD src1_sel:BYTE_3
	v_sub_u16_sdwa v27, v27, v61 dst_sel:DWORD dst_unused:UNUSED_PAD src0_sel:WORD_1 src1_sel:WORD_1
	v_or_b32_sdwa v87, v87, v88 dst_sel:DWORD dst_unused:UNUSED_PAD src0_sel:BYTE_0 src1_sel:DWORD
	v_or_b32_sdwa v26, v27, v26 dst_sel:WORD_1 dst_unused:UNUSED_PAD src0_sel:BYTE_0 src1_sel:DWORD
	v_or_b32_sdwa v123, v87, v26 dst_sel:DWORD dst_unused:UNUSED_PAD src0_sel:WORD_0 src1_sel:DWORD
	v_add_u32_e32 v26, 0x2110, v120
	ds_read2_b32 v[26:27], v26 offset1:1
	ds_read2_b32 v[87:88], v89 offset0:4 offset1:5
	s_waitcnt lgkmcnt(1)
	v_ashrrev_i32_e32 v26, s27, v26
	s_waitcnt lgkmcnt(0)
	v_ashrrev_i32_e32 v87, s3, v87
	v_lshlrev_b32_e32 v87, 2, v87
	v_and_b32_e32 v61, 0x3030303, v26
	v_bfe_u32 v26, v26, 24, 2
	v_and_b32_e32 v87, 0x4040404, v87
	;; [unrolled: 31-line block ×3, first 2 shown]
	v_sub_u16_e32 v89, v61, v87
	v_sub_u16_sdwa v126, v61, v87 dst_sel:BYTE_1 dst_unused:UNUSED_PAD src0_sel:BYTE_1 src1_sel:BYTE_1
	v_sub_u16_sdwa v26, v26, v87 dst_sel:BYTE_1 dst_unused:UNUSED_PAD src0_sel:DWORD src1_sel:BYTE_3
	v_sub_u16_sdwa v61, v61, v87 dst_sel:DWORD dst_unused:UNUSED_PAD src0_sel:WORD_1 src1_sel:WORD_1
	v_or_b32_sdwa v89, v89, v126 dst_sel:DWORD dst_unused:UNUSED_PAD src0_sel:BYTE_0 src1_sel:DWORD
	v_or_b32_sdwa v26, v61, v26 dst_sel:WORD_1 dst_unused:UNUSED_PAD src0_sel:BYTE_0 src1_sel:DWORD
	v_ashrrev_i32_e32 v61, s3, v88
	v_or_b32_sdwa v126, v89, v26 dst_sel:DWORD dst_unused:UNUSED_PAD src0_sel:WORD_0 src1_sel:DWORD
	v_ashrrev_i32_e32 v26, s27, v27
	v_lshlrev_b32_e32 v61, 2, v61
	v_and_b32_e32 v27, 0x3030303, v26
	v_bfe_u32 v26, v26, 24, 2
	v_and_b32_e32 v61, 0x4040404, v61
	v_sub_u16_e32 v87, v27, v61
	v_sub_u16_sdwa v88, v27, v61 dst_sel:BYTE_1 dst_unused:UNUSED_PAD src0_sel:BYTE_1 src1_sel:BYTE_1
	v_sub_u16_sdwa v26, v26, v61 dst_sel:BYTE_1 dst_unused:UNUSED_PAD src0_sel:DWORD src1_sel:BYTE_3
	v_sub_u16_sdwa v27, v27, v61 dst_sel:DWORD dst_unused:UNUSED_PAD src0_sel:WORD_1 src1_sel:WORD_1
	v_or_b32_sdwa v87, v87, v88 dst_sel:DWORD dst_unused:UNUSED_PAD src0_sel:BYTE_0 src1_sel:DWORD
	v_or_b32_sdwa v26, v27, v26 dst_sel:WORD_1 dst_unused:UNUSED_PAD src0_sel:BYTE_0 src1_sel:DWORD
	v_or_b32_sdwa v89, v87, v26 dst_sel:DWORD dst_unused:UNUSED_PAD src0_sel:WORD_0 src1_sel:DWORD
	v_add_u32_e32 v26, s26, v78
	v_add3_u32 v27, s19, v108, v109
	ds_read_b32 v61, v27
	ds_read_u16 v26, v26 offset:27378
	v_dot4_i32_i8 v27, v93, v5, 0
	v_dot4_i32_i8 v27, v121, v6, v27
	;; [unrolled: 1-line block ×4, first 2 shown]
	s_waitcnt lgkmcnt(0)
	v_lshrrev_b16_e32 v88, 8, v26
	v_bfe_i32 v26, v26, 0, 8
	v_dot4_i32_i8 v87, v124, v1, 0
	v_mul_lo_u32 v26, v27, v26
	v_dot4_i32_i8 v87, v125, v2, v87
	v_dot4_i32_i8 v87, v126, v3, v87
	v_dot4_i32_i8 v87, v89, v4, v87
	v_bfe_i32 v88, v88, 0, 8
                                        ; kill: def $vgpr27 killed $sgpr0 killed $exec
	v_add3_u32 v89, s28, v110, v111
	v_mad_u64_u32 v[26:27], s[30:31], v87, v88, v[26:27]
	v_mul_f32_e32 v27, v119, v61
	ds_read2_b32 v[87:88], v89 offset1:1
	v_cvt_f32_i32_e32 v26, v26
	v_fmac_f32_e32 v75, v27, v26
	v_add_u32_e32 v26, 0x3180, v120
	ds_read2_b32 v[26:27], v26 offset1:1
	s_waitcnt lgkmcnt(1)
	v_ashrrev_i32_e32 v87, s3, v87
	v_lshlrev_b32_e32 v87, 2, v87
	v_and_b32_e32 v87, 0x4040404, v87
	s_waitcnt lgkmcnt(0)
	v_ashrrev_i32_e32 v26, s27, v26
	v_and_b32_e32 v61, 0x3030303, v26
	v_bfe_u32 v26, v26, 24, 2
	v_sub_u16_e32 v93, v61, v87
	v_sub_u16_sdwa v121, v61, v87 dst_sel:BYTE_1 dst_unused:UNUSED_PAD src0_sel:BYTE_1 src1_sel:BYTE_1
	v_sub_u16_sdwa v26, v26, v87 dst_sel:BYTE_1 dst_unused:UNUSED_PAD src0_sel:DWORD src1_sel:BYTE_3
	v_sub_u16_sdwa v61, v61, v87 dst_sel:DWORD dst_unused:UNUSED_PAD src0_sel:WORD_1 src1_sel:WORD_1
	v_or_b32_sdwa v93, v93, v121 dst_sel:DWORD dst_unused:UNUSED_PAD src0_sel:BYTE_0 src1_sel:DWORD
	v_or_b32_sdwa v26, v61, v26 dst_sel:WORD_1 dst_unused:UNUSED_PAD src0_sel:BYTE_0 src1_sel:DWORD
	v_ashrrev_i32_e32 v61, s3, v88
	v_or_b32_sdwa v93, v93, v26 dst_sel:DWORD dst_unused:UNUSED_PAD src0_sel:WORD_0 src1_sel:DWORD
	v_ashrrev_i32_e32 v26, s27, v27
	v_lshlrev_b32_e32 v61, 2, v61
	v_and_b32_e32 v27, 0x3030303, v26
	v_bfe_u32 v26, v26, 24, 2
	v_and_b32_e32 v61, 0x4040404, v61
	v_sub_u16_e32 v87, v27, v61
	v_sub_u16_sdwa v88, v27, v61 dst_sel:BYTE_1 dst_unused:UNUSED_PAD src0_sel:BYTE_1 src1_sel:BYTE_1
	v_sub_u16_sdwa v26, v26, v61 dst_sel:BYTE_1 dst_unused:UNUSED_PAD src0_sel:DWORD src1_sel:BYTE_3
	v_sub_u16_sdwa v27, v27, v61 dst_sel:DWORD dst_unused:UNUSED_PAD src0_sel:WORD_1 src1_sel:WORD_1
	v_or_b32_sdwa v87, v87, v88 dst_sel:DWORD dst_unused:UNUSED_PAD src0_sel:BYTE_0 src1_sel:DWORD
	v_or_b32_sdwa v26, v27, v26 dst_sel:WORD_1 dst_unused:UNUSED_PAD src0_sel:BYTE_0 src1_sel:DWORD
	v_or_b32_sdwa v121, v87, v26 dst_sel:DWORD dst_unused:UNUSED_PAD src0_sel:WORD_0 src1_sel:DWORD
	v_add_u32_e32 v26, 0x3188, v120
	ds_read2_b32 v[26:27], v26 offset1:1
	ds_read2_b32 v[87:88], v89 offset0:2 offset1:3
	v_dot4_i32_i8 v5, v93, v5, 0
	v_dot4_i32_i8 v5, v121, v6, v5
	s_waitcnt lgkmcnt(1)
	v_ashrrev_i32_e32 v26, s27, v26
	s_waitcnt lgkmcnt(0)
	v_ashrrev_i32_e32 v87, s3, v87
	v_lshlrev_b32_e32 v87, 2, v87
	v_and_b32_e32 v61, 0x3030303, v26
	v_bfe_u32 v26, v26, 24, 2
	v_and_b32_e32 v87, 0x4040404, v87
	v_sub_u16_e32 v122, v61, v87
	v_sub_u16_sdwa v123, v61, v87 dst_sel:BYTE_1 dst_unused:UNUSED_PAD src0_sel:BYTE_1 src1_sel:BYTE_1
	v_sub_u16_sdwa v26, v26, v87 dst_sel:BYTE_1 dst_unused:UNUSED_PAD src0_sel:DWORD src1_sel:BYTE_3
	v_sub_u16_sdwa v61, v61, v87 dst_sel:DWORD dst_unused:UNUSED_PAD src0_sel:WORD_1 src1_sel:WORD_1
	v_or_b32_sdwa v122, v122, v123 dst_sel:DWORD dst_unused:UNUSED_PAD src0_sel:BYTE_0 src1_sel:DWORD
	v_or_b32_sdwa v26, v61, v26 dst_sel:WORD_1 dst_unused:UNUSED_PAD src0_sel:BYTE_0 src1_sel:DWORD
	v_ashrrev_i32_e32 v61, s3, v88
	v_or_b32_sdwa v122, v122, v26 dst_sel:DWORD dst_unused:UNUSED_PAD src0_sel:WORD_0 src1_sel:DWORD
	v_ashrrev_i32_e32 v26, s27, v27
	v_lshlrev_b32_e32 v61, 2, v61
	v_and_b32_e32 v27, 0x3030303, v26
	v_bfe_u32 v26, v26, 24, 2
	v_and_b32_e32 v61, 0x4040404, v61
	v_sub_u16_e32 v87, v27, v61
	v_sub_u16_sdwa v88, v27, v61 dst_sel:BYTE_1 dst_unused:UNUSED_PAD src0_sel:BYTE_1 src1_sel:BYTE_1
	v_sub_u16_sdwa v26, v26, v61 dst_sel:BYTE_1 dst_unused:UNUSED_PAD src0_sel:DWORD src1_sel:BYTE_3
	v_sub_u16_sdwa v27, v27, v61 dst_sel:DWORD dst_unused:UNUSED_PAD src0_sel:WORD_1 src1_sel:WORD_1
	v_or_b32_sdwa v87, v87, v88 dst_sel:DWORD dst_unused:UNUSED_PAD src0_sel:BYTE_0 src1_sel:DWORD
	v_or_b32_sdwa v26, v27, v26 dst_sel:WORD_1 dst_unused:UNUSED_PAD src0_sel:BYTE_0 src1_sel:DWORD
	v_or_b32_sdwa v123, v87, v26 dst_sel:DWORD dst_unused:UNUSED_PAD src0_sel:WORD_0 src1_sel:DWORD
	v_add_u32_e32 v26, 0x3190, v120
	ds_read2_b32 v[26:27], v26 offset1:1
	ds_read2_b32 v[87:88], v89 offset0:4 offset1:5
	v_dot4_i32_i8 v5, v122, v7, v5
	v_dot4_i32_i8 v5, v123, v8, v5
	s_waitcnt lgkmcnt(1)
	v_ashrrev_i32_e32 v26, s27, v26
	s_waitcnt lgkmcnt(0)
	v_ashrrev_i32_e32 v87, s3, v87
	v_lshlrev_b32_e32 v87, 2, v87
	v_and_b32_e32 v61, 0x3030303, v26
	v_bfe_u32 v26, v26, 24, 2
	v_and_b32_e32 v87, 0x4040404, v87
	v_sub_u16_e32 v124, v61, v87
	v_sub_u16_sdwa v125, v61, v87 dst_sel:BYTE_1 dst_unused:UNUSED_PAD src0_sel:BYTE_1 src1_sel:BYTE_1
	v_sub_u16_sdwa v26, v26, v87 dst_sel:BYTE_1 dst_unused:UNUSED_PAD src0_sel:DWORD src1_sel:BYTE_3
	v_sub_u16_sdwa v61, v61, v87 dst_sel:DWORD dst_unused:UNUSED_PAD src0_sel:WORD_1 src1_sel:WORD_1
	v_or_b32_sdwa v124, v124, v125 dst_sel:DWORD dst_unused:UNUSED_PAD src0_sel:BYTE_0 src1_sel:DWORD
	v_or_b32_sdwa v26, v61, v26 dst_sel:WORD_1 dst_unused:UNUSED_PAD src0_sel:BYTE_0 src1_sel:DWORD
	v_ashrrev_i32_e32 v61, s3, v88
	v_or_b32_sdwa v124, v124, v26 dst_sel:DWORD dst_unused:UNUSED_PAD src0_sel:WORD_0 src1_sel:DWORD
	v_ashrrev_i32_e32 v26, s27, v27
	v_lshlrev_b32_e32 v61, 2, v61
	v_and_b32_e32 v27, 0x3030303, v26
	v_bfe_u32 v26, v26, 24, 2
	v_and_b32_e32 v61, 0x4040404, v61
	v_sub_u16_e32 v87, v27, v61
	v_sub_u16_sdwa v88, v27, v61 dst_sel:BYTE_1 dst_unused:UNUSED_PAD src0_sel:BYTE_1 src1_sel:BYTE_1
	v_sub_u16_sdwa v26, v26, v61 dst_sel:BYTE_1 dst_unused:UNUSED_PAD src0_sel:DWORD src1_sel:BYTE_3
	v_sub_u16_sdwa v27, v27, v61 dst_sel:DWORD dst_unused:UNUSED_PAD src0_sel:WORD_1 src1_sel:WORD_1
	v_or_b32_sdwa v87, v87, v88 dst_sel:DWORD dst_unused:UNUSED_PAD src0_sel:BYTE_0 src1_sel:DWORD
	v_or_b32_sdwa v26, v27, v26 dst_sel:WORD_1 dst_unused:UNUSED_PAD src0_sel:BYTE_0 src1_sel:DWORD
	v_or_b32_sdwa v125, v87, v26 dst_sel:DWORD dst_unused:UNUSED_PAD src0_sel:WORD_0 src1_sel:DWORD
	v_add_u32_e32 v26, 0x3198, v120
	ds_read2_b32 v[26:27], v26 offset1:1
	ds_read2_b32 v[87:88], v89 offset0:6 offset1:7
	v_dot4_i32_i8 v1, v124, v1, 0
	v_dot4_i32_i8 v1, v125, v2, v1
	s_waitcnt lgkmcnt(1)
	v_ashrrev_i32_e32 v26, s27, v26
	s_waitcnt lgkmcnt(0)
	v_ashrrev_i32_e32 v87, s3, v87
	v_lshlrev_b32_e32 v87, 2, v87
	v_and_b32_e32 v61, 0x3030303, v26
	v_bfe_u32 v26, v26, 24, 2
	v_and_b32_e32 v87, 0x4040404, v87
	v_sub_u16_e32 v89, v61, v87
	v_sub_u16_sdwa v120, v61, v87 dst_sel:BYTE_1 dst_unused:UNUSED_PAD src0_sel:BYTE_1 src1_sel:BYTE_1
	v_sub_u16_sdwa v26, v26, v87 dst_sel:BYTE_1 dst_unused:UNUSED_PAD src0_sel:DWORD src1_sel:BYTE_3
	v_sub_u16_sdwa v61, v61, v87 dst_sel:DWORD dst_unused:UNUSED_PAD src0_sel:WORD_1 src1_sel:WORD_1
	v_or_b32_sdwa v89, v89, v120 dst_sel:DWORD dst_unused:UNUSED_PAD src0_sel:BYTE_0 src1_sel:DWORD
	v_or_b32_sdwa v26, v61, v26 dst_sel:WORD_1 dst_unused:UNUSED_PAD src0_sel:BYTE_0 src1_sel:DWORD
	v_ashrrev_i32_e32 v61, s3, v88
	v_or_b32_sdwa v120, v89, v26 dst_sel:DWORD dst_unused:UNUSED_PAD src0_sel:WORD_0 src1_sel:DWORD
	v_ashrrev_i32_e32 v26, s27, v27
	v_lshlrev_b32_e32 v61, 2, v61
	v_and_b32_e32 v27, 0x3030303, v26
	v_bfe_u32 v26, v26, 24, 2
	v_and_b32_e32 v61, 0x4040404, v61
	v_sub_u16_e32 v87, v27, v61
	v_sub_u16_sdwa v88, v27, v61 dst_sel:BYTE_1 dst_unused:UNUSED_PAD src0_sel:BYTE_1 src1_sel:BYTE_1
	v_sub_u16_sdwa v26, v26, v61 dst_sel:BYTE_1 dst_unused:UNUSED_PAD src0_sel:DWORD src1_sel:BYTE_3
	v_sub_u16_sdwa v27, v27, v61 dst_sel:DWORD dst_unused:UNUSED_PAD src0_sel:WORD_1 src1_sel:WORD_1
	v_or_b32_sdwa v87, v87, v88 dst_sel:DWORD dst_unused:UNUSED_PAD src0_sel:BYTE_0 src1_sel:DWORD
	v_or_b32_sdwa v26, v27, v26 dst_sel:WORD_1 dst_unused:UNUSED_PAD src0_sel:BYTE_0 src1_sel:DWORD
	v_or_b32_sdwa v126, v87, v26 dst_sel:DWORD dst_unused:UNUSED_PAD src0_sel:WORD_0 src1_sel:DWORD
	v_add_u32_e32 v88, s26, v77
	v_add3_u32 v26, s19, v112, v113
	v_dot4_i32_i8 v1, v120, v3, v1
	ds_read_b32 v89, v26
	v_dot4_i32_i8 v2, v126, v4, v1
	ds_read_u16 v1, v88 offset:28402
	s_add_i32 s3, s3, 1
	s_cmp_lt_u32 s18, 30
	s_mov_b32 s19, s18
	s_waitcnt lgkmcnt(0)
	v_lshrrev_b16_e32 v3, 8, v1
	v_bfe_i32 v1, v1, 0, 8
	v_mul_lo_u32 v1, v5, v1
	v_bfe_i32 v3, v3, 0, 8
	v_mad_u64_u32 v[1:2], s[26:27], v2, v3, v[1:2]
	v_mul_f32_e32 v2, v119, v89
	v_cvt_f32_i32_e32 v1, v1
	v_fmac_f32_e32 v25, v2, v1
	s_cbranch_scc1 .LBB210_35
; %bb.36:                               ;   in Loop: Header=BB210_5 Depth=1
	s_barrier
	s_branch .LBB210_4
.LBB210_37:
	buffer_load_dword v81, off, s[36:39], 0 offset:16 ; 4-byte Folded Reload
.LBB210_38:
	s_mul_i32 s0, s14, s11
	s_waitcnt vmcnt(0)
	v_cmp_gt_i32_e32 vcc, s0, v81
	s_and_saveexec_b64 s[0:1], vcc
	s_cbranch_execz .LBB210_47
; %bb.39:
	v_mul_lo_u32 v1, v81, s13
	v_add_u32_e32 v0, s15, v0
	v_cmp_gt_u32_e32 vcc, s13, v0
	s_and_saveexec_b64 s[0:1], vcc
	s_cbranch_execz .LBB210_41
; %bb.40:
	v_add_u32_e32 v2, v1, v0
	v_mov_b32_e32 v3, 0
	v_lshlrev_b64 v[2:3], 1, v[2:3]
	v_cvt_f16_f32_e32 v5, v29
	v_mov_b32_e32 v4, s17
	v_add_co_u32_e32 v2, vcc, s16, v2
	v_addc_co_u32_e32 v3, vcc, v4, v3, vcc
	global_store_short v[2:3], v5, off
.LBB210_41:
	s_or_b64 exec, exec, s[0:1]
	v_add_u32_e32 v2, 32, v0
	v_cmp_gt_u32_e32 vcc, s13, v2
	s_and_saveexec_b64 s[0:1], vcc
	s_cbranch_execz .LBB210_43
; %bb.42:
	v_add_u32_e32 v2, v1, v2
	v_mov_b32_e32 v3, 0
	v_lshlrev_b64 v[2:3], 1, v[2:3]
	v_cvt_f16_f32_e32 v5, v76
	v_mov_b32_e32 v4, s17
	v_add_co_u32_e32 v2, vcc, s16, v2
	v_addc_co_u32_e32 v3, vcc, v4, v3, vcc
	global_store_short v[2:3], v5, off
.LBB210_43:
	s_or_b64 exec, exec, s[0:1]
	;; [unrolled: 15-line block ×3, first 2 shown]
	v_add_u32_e32 v0, 0x60, v0
	v_cmp_gt_u32_e32 vcc, s13, v0
	s_and_b64 exec, exec, vcc
	s_cbranch_execz .LBB210_47
; %bb.46:
	v_add_u32_e32 v0, v1, v0
	v_mov_b32_e32 v1, 0
	v_lshlrev_b64 v[0:1], 1, v[0:1]
	v_cvt_f16_f32_e32 v3, v25
	v_mov_b32_e32 v2, s17
	v_add_co_u32_e32 v0, vcc, s16, v0
	v_addc_co_u32_e32 v1, vcc, v2, v1, vcc
	global_store_short v[0:1], v3, off
.LBB210_47:
	s_endpgm
	.section	.rodata,"a",@progbits
	.p2align	6, 0x0
	.amdhsa_kernel _ZL8moe_q3_KIN3c104HalfELb1EEvPKvS3_PT_PKiS7_S7_iiiiiii
		.amdhsa_group_segment_fixed_size 31776
		.amdhsa_private_segment_fixed_size 24
		.amdhsa_kernarg_size 76
		.amdhsa_user_sgpr_count 6
		.amdhsa_user_sgpr_private_segment_buffer 1
		.amdhsa_user_sgpr_dispatch_ptr 0
		.amdhsa_user_sgpr_queue_ptr 0
		.amdhsa_user_sgpr_kernarg_segment_ptr 1
		.amdhsa_user_sgpr_dispatch_id 0
		.amdhsa_user_sgpr_flat_scratch_init 0
		.amdhsa_user_sgpr_private_segment_size 0
		.amdhsa_uses_dynamic_stack 0
		.amdhsa_system_sgpr_private_segment_wavefront_offset 1
		.amdhsa_system_sgpr_workgroup_id_x 1
		.amdhsa_system_sgpr_workgroup_id_y 1
		.amdhsa_system_sgpr_workgroup_id_z 0
		.amdhsa_system_sgpr_workgroup_info 0
		.amdhsa_system_vgpr_workitem_id 1
		.amdhsa_next_free_vgpr 128
		.amdhsa_next_free_sgpr 98
		.amdhsa_reserve_vcc 1
		.amdhsa_reserve_flat_scratch 0
		.amdhsa_float_round_mode_32 0
		.amdhsa_float_round_mode_16_64 0
		.amdhsa_float_denorm_mode_32 3
		.amdhsa_float_denorm_mode_16_64 3
		.amdhsa_dx10_clamp 1
		.amdhsa_ieee_mode 1
		.amdhsa_fp16_overflow 0
		.amdhsa_exception_fp_ieee_invalid_op 0
		.amdhsa_exception_fp_denorm_src 0
		.amdhsa_exception_fp_ieee_div_zero 0
		.amdhsa_exception_fp_ieee_overflow 0
		.amdhsa_exception_fp_ieee_underflow 0
		.amdhsa_exception_fp_ieee_inexact 0
		.amdhsa_exception_int_div_zero 0
	.end_amdhsa_kernel
	.section	.text._ZL8moe_q3_KIN3c104HalfELb1EEvPKvS3_PT_PKiS7_S7_iiiiiii,"axG",@progbits,_ZL8moe_q3_KIN3c104HalfELb1EEvPKvS3_PT_PKiS7_S7_iiiiiii,comdat
.Lfunc_end210:
	.size	_ZL8moe_q3_KIN3c104HalfELb1EEvPKvS3_PT_PKiS7_S7_iiiiiii, .Lfunc_end210-_ZL8moe_q3_KIN3c104HalfELb1EEvPKvS3_PT_PKiS7_S7_iiiiiii
                                        ; -- End function
	.set _ZL8moe_q3_KIN3c104HalfELb1EEvPKvS3_PT_PKiS7_S7_iiiiiii.num_vgpr, 128
	.set _ZL8moe_q3_KIN3c104HalfELb1EEvPKvS3_PT_PKiS7_S7_iiiiiii.num_agpr, 0
	.set _ZL8moe_q3_KIN3c104HalfELb1EEvPKvS3_PT_PKiS7_S7_iiiiiii.numbered_sgpr, 40
	.set _ZL8moe_q3_KIN3c104HalfELb1EEvPKvS3_PT_PKiS7_S7_iiiiiii.num_named_barrier, 0
	.set _ZL8moe_q3_KIN3c104HalfELb1EEvPKvS3_PT_PKiS7_S7_iiiiiii.private_seg_size, 24
	.set _ZL8moe_q3_KIN3c104HalfELb1EEvPKvS3_PT_PKiS7_S7_iiiiiii.uses_vcc, 1
	.set _ZL8moe_q3_KIN3c104HalfELb1EEvPKvS3_PT_PKiS7_S7_iiiiiii.uses_flat_scratch, 0
	.set _ZL8moe_q3_KIN3c104HalfELb1EEvPKvS3_PT_PKiS7_S7_iiiiiii.has_dyn_sized_stack, 0
	.set _ZL8moe_q3_KIN3c104HalfELb1EEvPKvS3_PT_PKiS7_S7_iiiiiii.has_recursion, 0
	.set _ZL8moe_q3_KIN3c104HalfELb1EEvPKvS3_PT_PKiS7_S7_iiiiiii.has_indirect_call, 0
	.section	.AMDGPU.csdata,"",@progbits
; Kernel info:
; codeLenInByte = 20984
; TotalNumSgprs: 44
; NumVgprs: 128
; ScratchSize: 24
; MemoryBound: 0
; FloatMode: 240
; IeeeMode: 1
; LDSByteSize: 31776 bytes/workgroup (compile time only)
; SGPRBlocks: 12
; VGPRBlocks: 31
; NumSGPRsForWavesPerEU: 102
; NumVGPRsForWavesPerEU: 128
; Occupancy: 2
; WaveLimiterHint : 1
; COMPUTE_PGM_RSRC2:SCRATCH_EN: 1
; COMPUTE_PGM_RSRC2:USER_SGPR: 6
; COMPUTE_PGM_RSRC2:TRAP_HANDLER: 0
; COMPUTE_PGM_RSRC2:TGID_X_EN: 1
; COMPUTE_PGM_RSRC2:TGID_Y_EN: 1
; COMPUTE_PGM_RSRC2:TGID_Z_EN: 0
; COMPUTE_PGM_RSRC2:TIDIG_COMP_CNT: 1
	.section	.text._ZL8moe_q4_KIN3c104HalfELb0EEvPKvS3_PT_PKiS7_S7_iiiiiii,"axG",@progbits,_ZL8moe_q4_KIN3c104HalfELb0EEvPKvS3_PT_PKiS7_S7_iiiiiii,comdat
	.globl	_ZL8moe_q4_KIN3c104HalfELb0EEvPKvS3_PT_PKiS7_S7_iiiiiii ; -- Begin function _ZL8moe_q4_KIN3c104HalfELb0EEvPKvS3_PT_PKiS7_S7_iiiiiii
	.p2align	8
	.type	_ZL8moe_q4_KIN3c104HalfELb0EEvPKvS3_PT_PKiS7_S7_iiiiiii,@function
_ZL8moe_q4_KIN3c104HalfELb0EEvPKvS3_PT_PKiS7_S7_iiiiiii: ; @_ZL8moe_q4_KIN3c104HalfELb0EEvPKvS3_PT_PKiS7_S7_iiiiiii
; %bb.0:
	s_load_dwordx4 s[0:3], s[4:5], 0x18
	s_mov_b32 s8, s7
	s_mov_b32 s9, 0
	s_lshl_b64 s[10:11], s[8:9], 2
	s_waitcnt lgkmcnt(0)
	s_add_u32 s2, s2, s10
	s_addc_u32 s3, s3, s11
	s_load_dword s2, s[2:3], 0x0
	s_waitcnt lgkmcnt(0)
	s_cmpk_gt_u32 s2, 0xff
	s_cbranch_scc1 .LBB211_26
; %bb.1:
	s_load_dwordx2 s[10:11], s[4:5], 0x28
	s_lshl_b32 s3, s8, 3
	s_waitcnt lgkmcnt(0)
	s_load_dword s7, s[10:11], 0x0
	s_waitcnt lgkmcnt(0)
	s_cmp_gt_u32 s3, s7
	s_cbranch_scc1 .LBB211_26
; %bb.2:
	v_add_u32_e32 v4, s3, v1
	v_mov_b32_e32 v5, 0
	v_lshlrev_b64 v[2:3], 2, v[4:5]
	v_mov_b32_e32 v4, s1
	v_add_co_u32_e32 v2, vcc, s0, v2
	v_addc_co_u32_e32 v3, vcc, v4, v3, vcc
	global_load_dword v33, v[2:3], off
	s_load_dwordx2 s[18:19], s[4:5], 0x30
	s_load_dwordx2 s[16:17], s[4:5], 0x10
	s_load_dwordx4 s[8:11], s[4:5], 0x3c
	s_lshl_b32 s22, s6, 7
	v_mov_b32_e32 v8, v5
	s_waitcnt lgkmcnt(0)
	s_cmpk_lt_i32 s19, 0x100
	v_mov_b32_e32 v7, v5
	v_mov_b32_e32 v6, v5
	s_cbranch_scc1 .LBB211_17
; %bb.3:
	s_ashr_i32 s0, s19, 31
	s_lshr_b32 s0, s0, 24
	s_add_i32 s0, s19, s0
	s_ashr_i32 s23, s0, 8
	s_ashr_i32 s0, s9, 31
	s_lshr_b32 s0, s0, 27
	s_add_i32 s0, s9, s0
	s_ashr_i32 s9, s0, 5
	v_lshlrev_b32_e32 v12, 2, v0
	s_movk_i32 s0, 0x84
	v_mad_u32_u24 v34, v1, s0, v12
	s_lshl_b32 s0, s23, 3
	v_mov_b32_e32 v3, s0
	v_mad_i32_i24 v20, s23, v1, v3
	v_add_u32_e32 v23, s0, v20
	v_add_u32_e32 v24, s0, v23
	;; [unrolled: 1-line block ×5, first 2 shown]
	v_lshl_add_u32 v3, v1, 5, v0
	v_add_u32_e32 v28, s0, v27
	v_and_b32_e32 v4, 0x7f, v3
	v_lshrrev_b32_e32 v3, 3, v3
	s_mul_i32 s18, s2, s18
	v_add_u32_e32 v29, s0, v28
	v_mul_i32_i24_e32 v5, s23, v4
	v_and_b32_e32 v3, 12, v3
	v_lshlrev_b32_e32 v4, 2, v4
	s_movk_i32 s2, 0x4e40
	v_and_b32_e32 v16, 3, v0
	v_add_u32_e32 v15, s0, v29
	v_add3_u32 v35, v4, v3, s2
	v_add_u32_e32 v4, 0xfe, v16
	v_add_u32_e32 v14, s0, v15
	v_and_b32_e32 v4, 0xff, v4
	v_cmp_gt_u32_e32 vcc, 2, v16
	v_add_u32_e32 v13, s0, v14
	v_lshlrev_b32_e32 v3, 3, v1
	v_lshrrev_b32_e32 v7, 2, v0
	v_cndmask_b32_e32 v17, v4, v16, vcc
	v_cmp_ne_u32_e32 vcc, 0, v16
	v_add_u32_e32 v11, s0, v13
	v_add_u32_e32 v8, v7, v3
	v_addc_co_u32_e32 v4, vcc, 0, v17, vcc
	v_add_u16_e32 v3, v7, v3
	s_load_dwordx4 s[12:15], s[4:5], 0x0
	v_add_u32_e32 v10, s0, v11
	v_and_b32_e32 v21, 4, v12
	v_cmp_lt_u32_e32 vcc, 1, v16
	v_lshlrev_b32_e32 v37, 1, v17
	v_and_b32_e32 v17, 0x7f, v8
	v_lshlrev_b32_e32 v16, 2, v16
	v_lshrrev_b16_e32 v3, 1, v3
	s_abs_i32 s5, s11
	v_add_u32_e32 v9, s0, v10
	v_cndmask_b32_e32 v36, 0, v21, vcc
	v_lshl_or_b32 v21, v17, 4, v16
	v_and_b32_e32 v3, 60, v3
	s_movk_i32 s0, 0x4200
	v_cvt_f32_u32_e32 v22, s5
	v_add3_u32 v38, v21, v3, s0
	v_xor_b32_e32 v3, 64, v17
	v_mul_i32_i24_e32 v7, s23, v3
	v_lshl_or_b32 v16, v3, 4, v16
	v_lshrrev_b32_e32 v3, 1, v3
	v_and_b32_e32 v3, 60, v3
	v_lshrrev_b32_e32 v41, 3, v0
	v_lshrrev_b32_e32 v18, 5, v0
	v_mul_i32_i24_e32 v8, s23, v17
	v_add3_u32 v39, v16, v3, s0
	v_add_u32_e32 v16, v41, v12
	v_mov_b32_e32 v17, 0x4200
	v_rcp_iflag_f32_e32 v22, v22
	v_lshl_add_u32 v42, v16, 2, v17
	v_lshlrev_b32_e32 v16, 2, v18
	v_add3_u32 v43, v12, v16, s2
	v_add_u32_e32 v16, 32, v0
	v_lshrrev_b32_e32 v44, 3, v16
	v_lshl_add_u32 v16, v16, 2, v44
	v_mul_f32_e32 v22, 0x4f7ffffe, v22
	v_lshl_add_u32 v45, v16, 2, v17
	v_and_b32_e32 v16, 60, v44
	v_cvt_u32_f32_e32 v22, v22
	v_add3_u32 v46, v12, v16, s2
	v_add_u32_e32 v16, 64, v0
	v_lshrrev_b32_e32 v30, 3, v16
	v_lshl_add_u32 v16, v16, 2, v30
	s_sub_i32 s3, 0, s5
	v_lshl_add_u32 v47, v16, 2, v17
	v_mul_lo_u32 v16, s3, v22
	s_waitcnt vmcnt(0)
	v_sub_u32_e32 v32, 0, v33
	v_max_i32_e32 v32, v33, v32
	v_and_b32_e32 v30, 60, v30
	v_mul_hi_u32 v16, v22, v16
	v_add3_u32 v48, v12, v30, s2
	v_add_u32_e32 v30, 0x60, v0
	v_lshrrev_b32_e32 v31, 3, v30
	v_add_u32_e32 v16, v22, v16
	v_mul_hi_u32 v16, v32, v16
	v_lshl_add_u32 v22, v30, 2, v31
	v_lshl_add_u32 v49, v22, 2, v17
	v_and_b32_e32 v17, 60, v31
	v_mul_lo_u32 v22, v16, s5
	v_add3_u32 v50, v12, v17, s2
	v_and_b32_e32 v2, 0x7c, v12
	v_add_u32_e32 v40, 0x5050, v12
	v_sub_u32_e32 v17, v32, v22
	v_add_u32_e32 v22, 1, v16
	v_cmp_le_u32_e64 s[2:3], s5, v17
	v_cndmask_b32_e64 v16, v16, v22, s[2:3]
	v_subrev_u32_e32 v22, s5, v17
	v_cndmask_b32_e64 v17, v17, v22, s[2:3]
	v_and_b32_e32 v21, 28, v12
	v_xor_b32_e32 v12, s11, v33
	v_add_u32_e32 v22, 1, v16
	v_cmp_le_u32_e64 s[2:3], s5, v17
	s_mul_i32 s4, s23, s22
	v_ashrrev_i32_e32 v12, 31, v12
	v_cndmask_b32_e64 v16, v16, v22, s[2:3]
	v_xor_b32_e32 v16, v16, v12
	s_mul_i32 s20, s4, 0x90
	v_sub_u32_e32 v12, v16, v12
	s_mul_hi_i32 s21, s4, 0x90
	v_mov_b32_e32 v16, s20
	s_movk_i32 s25, 0x90
	v_mov_b32_e32 v17, s21
	v_mad_u64_u32 v[16:17], s[2:3], v18, s25, v[16:17]
	v_mul_i32_i24_e32 v19, s23, v1
	s_waitcnt lgkmcnt(0)
	v_mov_b32_e32 v22, s15
	v_mad_u64_u32 v[18:19], s[4:5], v19, s25, v[16:17]
	v_add_co_u32_e64 v21, s[4:5], s14, v21
	v_addc_co_u32_e64 v22, s[4:5], 0, v22, s[4:5]
	v_add_co_u32_e64 v30, s[4:5], v18, v2
	v_addc_co_u32_e64 v31, s[4:5], 0, v19, s[4:5]
	v_mad_u64_u32 v[18:19], s[4:5], v20, s25, v[16:17]
	v_mov_b32_e32 v32, s13
	v_add_co_u32_e64 v20, s[4:5], s12, v30
	v_addc_co_u32_e64 v30, s[4:5], v32, v31, s[4:5]
	v_add_co_u32_e64 v31, s[4:5], v18, v2
	v_addc_co_u32_e64 v32, s[4:5], 0, v19, s[4:5]
	v_mad_u64_u32 v[18:19], s[4:5], v23, s25, v[16:17]
	v_mov_b32_e32 v51, s13
	;; [unrolled: 6-line block ×4, first 2 shown]
	v_add_co_u32_e64 v25, s[4:5], s12, v23
	v_addc_co_u32_e64 v62, s[4:5], v51, v24, s[4:5]
	v_add_co_u32_e64 v23, s[4:5], v18, v2
	v_addc_co_u32_e64 v24, s[4:5], 0, v19, s[4:5]
	v_mad_u64_u32 v[18:19], s[4:5], v26, s25, v[16:17]
	v_add_co_u32_e64 v26, s[4:5], s12, v23
	v_addc_co_u32_e64 v64, s[4:5], v51, v24, s[4:5]
	v_add_co_u32_e64 v23, s[4:5], v18, v2
	v_addc_co_u32_e64 v24, s[4:5], 0, v19, s[4:5]
	v_mad_u64_u32 v[18:19], s[4:5], v27, s25, v[16:17]
	;; [unrolled: 5-line block ×6, first 2 shown]
	v_mov_b32_e32 v23, s13
	v_add_co_u32_e64 v18, s[4:5], s12, v18
	v_addc_co_u32_e64 v19, s[4:5], v23, v19, s[4:5]
	v_add_co_u32_e64 v23, s[4:5], v14, v2
	v_addc_co_u32_e64 v15, s[4:5], 0, v15, s[4:5]
	v_mad_u64_u32 v[13:14], s[4:5], v13, s25, v[16:17]
	v_mov_b32_e32 v24, s13
	v_add_co_u32_e64 v75, s[4:5], s12, v23
	v_addc_co_u32_e64 v15, s[4:5], v24, v15, s[4:5]
	v_add_co_u32_e64 v23, s[4:5], v13, v2
	v_addc_co_u32_e64 v24, s[4:5], 0, v14, s[4:5]
	v_mad_u64_u32 v[13:14], s[4:5], v11, s25, v[16:17]
	v_add_co_u32_e64 v77, s[4:5], s12, v23
	v_addc_co_u32_e64 v78, s[4:5], v51, v24, s[4:5]
	v_add_co_u32_e64 v13, s[4:5], v13, v2
	v_addc_co_u32_e64 v14, s[4:5], 0, v14, s[4:5]
	v_mad_u64_u32 v[10:11], s[4:5], v10, s25, v[16:17]
	v_mov_b32_e32 v23, s13
	v_add_co_u32_e64 v79, s[4:5], s12, v13
	v_addc_co_u32_e64 v80, s[4:5], v23, v14, s[4:5]
	v_add_co_u32_e64 v13, s[4:5], v10, v2
	v_addc_co_u32_e64 v11, s[4:5], 0, v11, s[4:5]
	v_mad_u64_u32 v[9:10], s[4:5], v9, s25, v[16:17]
	v_mov_b32_e32 v14, s13
	v_add_co_u32_e64 v81, s[4:5], s12, v13
	v_addc_co_u32_e64 v11, s[4:5], v14, v11, s[4:5]
	v_add_co_u32_e64 v13, s[4:5], v9, v2
	v_addc_co_u32_e64 v14, s[4:5], 0, v10, s[4:5]
	s_mul_i32 s4, s23, 0x78
	v_mov_b32_e32 v9, s4
	v_mad_i32_i24 v9, s23, v1, v9
	v_mad_u64_u32 v[9:10], s[4:5], v9, s25, v[16:17]
	v_add_co_u32_e64 v16, s[4:5], s12, v13
	v_addc_co_u32_e64 v17, s[4:5], v23, v14, s[4:5]
	v_add_co_u32_e64 v2, s[4:5], v9, v2
	v_addc_co_u32_e64 v9, s[4:5], 0, v10, s[4:5]
	v_cmp_gt_u32_e64 s[0:1], 4, v0
	v_cmp_gt_i32_e64 s[2:3], s8, v12
	v_mov_b32_e32 v10, s13
	v_add_co_u32_e64 v2, s[4:5], s12, v2
	s_ashr_i32 s24, s18, 31
	s_and_b64 s[6:7], s[0:1], s[2:3]
	v_addc_co_u32_e64 v86, s[4:5], v10, v9, s[4:5]
	s_add_u32 s4, s12, s20
	s_addc_u32 s5, s13, s21
	v_mov_b32_e32 v10, s5
	v_mov_b32_e32 v9, s4
	v_mad_u64_u32 v[13:14], s[4:5], v8, s25, 0
	v_mad_u64_u32 v[23:24], s[4:5], v5, s25, v[9:10]
	v_mov_b32_e32 v5, s21
	v_add_co_u32_e64 v9, s[4:5], s20, v13
	v_cndmask_b32_e64 v8, 0, 1, vcc
	v_addc_co_u32_e64 v5, s[4:5], v5, v14, s[4:5]
	v_lshlrev_b32_e32 v10, 2, v8
	v_mad_u64_u32 v[7:8], s[4:5], v7, s25, 0
	v_mov_b32_e32 v14, s21
	v_or_b32_e32 v13, v9, v10
	v_add_co_u32_e32 v7, vcc, s20, v7
	v_addc_co_u32_e32 v8, vcc, v14, v8, vcc
	v_mov_b32_e32 v14, s13
	v_add_co_u32_e32 v13, vcc, s12, v13
	v_addc_co_u32_e32 v14, vcc, v14, v5, vcc
	v_lshlrev_b32_e32 v4, 2, v4
	v_add_co_u32_e32 v9, vcc, v9, v4
	v_addc_co_u32_e32 v5, vcc, 0, v5, vcc
	v_add_co_u32_e32 v9, vcc, s12, v9
	v_addc_co_u32_e32 v5, vcc, v51, v5, vcc
	v_or_b32_e32 v10, v7, v10
	v_add_co_u32_e32 v10, vcc, s12, v10
	v_addc_co_u32_e32 v92, vcc, v51, v8, vcc
	v_add_co_u32_e32 v4, vcc, v7, v4
	v_addc_co_u32_e32 v7, vcc, 0, v8, vcc
	v_mov_b32_e32 v8, s13
	v_add_co_u32_e32 v4, vcc, s12, v4
	v_addc_co_u32_e32 v7, vcc, v8, v7, vcc
	v_add_co_u32_e32 v55, vcc, 16, v20
	v_addc_co_u32_e32 v56, vcc, 0, v30, vcc
	;; [unrolled: 2-line block ×19, first 2 shown]
	v_mul_lo_u32 v54, v12, s9
	v_add_co_u32_e32 v91, vcc, 4, v10
	v_mov_b32_e32 v8, 0x4a40
	v_addc_co_u32_e32 v92, vcc, 0, v92, vcc
	v_and_b32_e32 v3, 31, v0
	v_lshl_add_u32 v51, v1, 7, v8
	v_add_co_u32_e32 v93, vcc, 4, v4
	v_mov_b32_e32 v6, 0
	v_lshl_add_u32 v52, v3, 2, v51
	v_lshlrev_b32_e32 v53, 4, v1
	v_addc_co_u32_e32 v94, vcc, 0, v7, vcc
	s_movk_i32 s12, 0x80
	s_mov_b32 s13, 0x30303030
	v_mul_u32_u24_e32 v95, 0x84, v0
	v_mov_b32_e32 v96, v0
	v_mov_b32_e32 v7, 0
	;; [unrolled: 1-line block ×4, first 2 shown]
	s_branch .LBB211_6
.LBB211_4:                              ;   in Loop: Header=BB211_6 Depth=1
	s_or_b64 exec, exec, s[4:5]
	s_waitcnt lgkmcnt(0)
	s_barrier
	ds_read_b128 v[1:4], v51
	ds_read_b128 v[104:107], v51 offset:16
	ds_read_b128 v[108:111], v51 offset:32
	;; [unrolled: 1-line block ×3, first 2 shown]
	ds_read_b32 v97, v43
	ds_read2_b32 v[11:12], v95 offset0:16 offset1:17
	ds_read2_b32 v[13:14], v95 offset0:18 offset1:19
	ds_read2_b32 v[15:16], v95 offset0:20 offset1:21
	ds_read_b32 v98, v46 offset:128
	ds_read2_b32 v[17:18], v95 offset0:22 offset1:23
	ds_read_b32 v99, v48 offset:256
	s_waitcnt lgkmcnt(5)
	v_and_b32_e32 v9, 0xf0f0f0f, v11
	v_lshrrev_b32_e32 v11, 4, v11
	v_and_b32_e32 v10, 0xf0f0f0f, v12
	v_and_b32_e32 v11, 0xf0f0f0f, v11
	v_lshrrev_b32_e32 v12, 4, v12
	v_dot4_i32_i8 v11, v11, v108, 0
	v_and_b32_e32 v12, 0xf0f0f0f, v12
	v_dot4_i32_i8 v11, v12, v109, v11
	s_waitcnt lgkmcnt(4)
	v_lshrrev_b32_e32 v12, 4, v13
	v_and_b32_e32 v12, 0xf0f0f0f, v12
	v_dot4_i32_i8 v9, v9, v1, 0
	v_dot4_i32_i8 v11, v12, v110, v11
	v_lshrrev_b32_e32 v12, 4, v14
	v_dot4_i32_i8 v9, v10, v2, v9
	v_and_b32_e32 v10, 0xf0f0f0f, v13
	v_and_b32_e32 v12, 0xf0f0f0f, v12
	v_dot4_i32_i8 v9, v10, v3, v9
	v_and_b32_e32 v10, 0xf0f0f0f, v14
	v_dot4_i32_i8 v11, v12, v111, v11
	s_waitcnt lgkmcnt(3)
	v_lshrrev_b32_e32 v12, 4, v15
	v_dot4_i32_i8 v9, v10, v4, v9
	v_and_b32_e32 v10, 0xf0f0f0f, v15
	v_and_b32_e32 v12, 0xf0f0f0f, v12
	v_add_u32_e32 v13, 0x10c0, v95
	v_dot4_i32_i8 v9, v10, v104, v9
	v_and_b32_e32 v10, 0xf0f0f0f, v16
	v_dot4_i32_i8 v11, v12, v112, v11
	v_lshrrev_b32_e32 v12, 4, v16
	ds_read2_b32 v[15:16], v13 offset1:1
	v_and_b32_e32 v12, 0xf0f0f0f, v12
	v_dot4_i32_i8 v11, v12, v113, v11
	s_waitcnt lgkmcnt(2)
	v_lshrrev_b32_e32 v12, 4, v17
	v_dot4_i32_i8 v9, v10, v105, v9
	s_waitcnt lgkmcnt(0)
	v_and_b32_e32 v13, 0xf0f0f0f, v15
	v_dot4_i32_i8 v13, v13, v1, 0
	v_and_b32_e32 v14, 0xf0f0f0f, v16
	v_and_b32_e32 v10, 0xf0f0f0f, v17
	v_and_b32_e32 v12, 0xf0f0f0f, v12
	v_dot4_i32_i8 v13, v14, v2, v13
	v_add_u32_e32 v14, 0x10c8, v95
	v_dot4_i32_i8 v9, v10, v106, v9
	v_and_b32_e32 v10, 0xf0f0f0f, v18
	v_dot4_i32_i8 v11, v12, v114, v11
	v_lshrrev_b32_e32 v12, 4, v18
	ds_read2_b32 v[17:18], v14 offset1:1
	ds_read_b32 v100, v50 offset:384
	v_lshrrev_b32_e32 v15, 4, v15
	v_and_b32_e32 v15, 0xf0f0f0f, v15
	v_lshrrev_b32_e32 v16, 4, v16
	s_waitcnt lgkmcnt(1)
	v_and_b32_e32 v14, 0xf0f0f0f, v17
	v_dot4_i32_i8 v13, v14, v3, v13
	v_and_b32_e32 v14, 0xf0f0f0f, v18
	v_dot4_i32_i8 v13, v14, v4, v13
	v_add_u32_e32 v14, 0x10d0, v95
	ds_read2_b32 v[19:20], v14 offset1:1
	v_dot4_i32_i8 v15, v15, v108, 0
	v_and_b32_e32 v16, 0xf0f0f0f, v16
	v_dot4_i32_i8 v15, v16, v109, v15
	v_lshrrev_b32_e32 v16, 4, v17
	v_and_b32_e32 v16, 0xf0f0f0f, v16
	v_dot4_i32_i8 v15, v16, v110, v15
	v_lshrrev_b32_e32 v16, 4, v18
	s_waitcnt lgkmcnt(0)
	v_and_b32_e32 v14, 0xf0f0f0f, v19
	v_and_b32_e32 v16, 0xf0f0f0f, v16
	v_dot4_i32_i8 v13, v14, v104, v13
	v_and_b32_e32 v14, 0xf0f0f0f, v20
	v_dot4_i32_i8 v15, v16, v111, v15
	v_lshrrev_b32_e32 v16, 4, v19
	v_dot4_i32_i8 v13, v14, v105, v13
	v_add_u32_e32 v14, 0x10d8, v95
	v_and_b32_e32 v16, 0xf0f0f0f, v16
	v_add_u32_e32 v17, 0x2140, v95
	ds_read2_b32 v[25:26], v14 offset1:1
	v_dot4_i32_i8 v15, v16, v112, v15
	v_lshrrev_b32_e32 v16, 4, v20
	ds_read2_b32 v[19:20], v17 offset1:1
	v_and_b32_e32 v16, 0xf0f0f0f, v16
	v_dot4_i32_i8 v15, v16, v113, v15
	s_waitcnt lgkmcnt(1)
	v_lshrrev_b32_e32 v16, 4, v25
	v_and_b32_e32 v14, 0xf0f0f0f, v25
	s_waitcnt lgkmcnt(0)
	v_and_b32_e32 v17, 0xf0f0f0f, v19
	v_dot4_i32_i8 v17, v17, v1, 0
	v_and_b32_e32 v18, 0xf0f0f0f, v20
	v_and_b32_e32 v16, 0xf0f0f0f, v16
	v_dot4_i32_i8 v17, v18, v2, v17
	v_add_u32_e32 v18, 0x2148, v95
	v_dot4_i32_i8 v13, v14, v106, v13
	v_and_b32_e32 v14, 0xf0f0f0f, v26
	v_dot4_i32_i8 v15, v16, v114, v15
	v_lshrrev_b32_e32 v16, 4, v26
	ds_read2_b32 v[25:26], v18 offset1:1
	v_lshrrev_b32_e32 v19, 4, v19
	v_and_b32_e32 v19, 0xf0f0f0f, v19
	v_lshrrev_b32_e32 v20, 4, v20
	v_dot4_i32_i8 v19, v19, v108, 0
	s_waitcnt lgkmcnt(0)
	v_and_b32_e32 v18, 0xf0f0f0f, v25
	v_dot4_i32_i8 v17, v18, v3, v17
	v_and_b32_e32 v18, 0xf0f0f0f, v26
	v_dot4_i32_i8 v17, v18, v4, v17
	v_add_u32_e32 v18, 0x2150, v95
	ds_read2_b32 v[116:117], v18 offset1:1
	v_and_b32_e32 v20, 0xf0f0f0f, v20
	v_dot4_i32_i8 v19, v20, v109, v19
	v_lshrrev_b32_e32 v20, 4, v25
	v_and_b32_e32 v20, 0xf0f0f0f, v20
	v_dot4_i32_i8 v19, v20, v110, v19
	v_lshrrev_b32_e32 v20, 4, v26
	s_waitcnt lgkmcnt(0)
	v_and_b32_e32 v18, 0xf0f0f0f, v116
	v_and_b32_e32 v20, 0xf0f0f0f, v20
	v_dot4_i32_i8 v17, v18, v104, v17
	v_and_b32_e32 v18, 0xf0f0f0f, v117
	v_dot4_i32_i8 v19, v20, v111, v19
	v_lshrrev_b32_e32 v20, 4, v116
	v_dot4_i32_i8 v17, v18, v105, v17
	v_add_u32_e32 v18, 0x2158, v95
	v_and_b32_e32 v20, 0xf0f0f0f, v20
	v_add_u32_e32 v25, 0x31c0, v95
	ds_read2_b32 v[118:119], v18 offset1:1
	v_dot4_i32_i8 v19, v20, v112, v19
	v_lshrrev_b32_e32 v20, 4, v117
	ds_read2_b32 v[116:117], v25 offset1:1
	v_and_b32_e32 v20, 0xf0f0f0f, v20
	v_dot4_i32_i8 v19, v20, v113, v19
	v_dot4_i32_i8 v9, v10, v107, v9
	;; [unrolled: 1-line block ×3, first 2 shown]
	s_waitcnt lgkmcnt(0)
	v_and_b32_e32 v25, 0xf0f0f0f, v116
	v_dot4_i32_i8 v1, v25, v1, 0
	v_and_b32_e32 v25, 0xf0f0f0f, v117
	v_dot4_i32_i8 v25, v25, v2, v1
	v_add_u32_e32 v1, 0x31c8, v95
	ds_read2_b32 v[1:2], v1 offset1:1
	v_lshrrev_b32_e32 v20, 4, v118
	v_and_b32_e32 v18, 0xf0f0f0f, v118
	v_and_b32_e32 v20, 0xf0f0f0f, v20
	v_dot4_i32_i8 v17, v18, v106, v17
	s_waitcnt lgkmcnt(0)
	v_and_b32_e32 v26, 0xf0f0f0f, v1
	v_dot4_i32_i8 v3, v26, v3, v25
	v_and_b32_e32 v25, 0xf0f0f0f, v2
	v_dot4_i32_i8 v25, v25, v4, v3
	v_add_u32_e32 v3, 0x31d0, v95
	ds_read2_b32 v[3:4], v3 offset1:1
	v_and_b32_e32 v18, 0xf0f0f0f, v119
	v_dot4_i32_i8 v19, v20, v114, v19
	v_lshrrev_b32_e32 v20, 4, v119
	v_dot4_i32_i8 v17, v18, v107, v17
	s_waitcnt lgkmcnt(0)
	v_and_b32_e32 v26, 0xf0f0f0f, v3
	v_dot4_i32_i8 v25, v26, v104, v25
	v_and_b32_e32 v26, 0xf0f0f0f, v4
	v_dot4_i32_i8 v25, v26, v105, v25
	v_add_u32_e32 v26, 0x31d8, v95
	ds_read2_b32 v[118:119], v26 offset1:1
	v_lshrrev_b32_e32 v1, 4, v1
	v_and_b32_e32 v1, 0xf0f0f0f, v1
	v_lshrrev_b32_e32 v2, 4, v2
	v_and_b32_e32 v2, 0xf0f0f0f, v2
	s_waitcnt lgkmcnt(0)
	v_and_b32_e32 v26, 0xf0f0f0f, v118
	v_dot4_i32_i8 v25, v26, v106, v25
	v_and_b32_e32 v26, 0xf0f0f0f, v119
	v_lshrrev_b32_e32 v106, 4, v116
	v_dot4_i32_i8 v105, v26, v107, v25
	v_and_b32_e32 v106, 0xf0f0f0f, v106
	v_lshrrev_b32_e32 v107, 4, v117
	v_dot4_i32_i8 v106, v106, v108, 0
	v_and_b32_e32 v107, 0xf0f0f0f, v107
	v_dot4_i32_i8 v106, v107, v109, v106
	v_dot4_i32_i8 v1, v1, v110, v106
	ds_read2_b32 v[27:28], v42 offset0:1 offset1:3
	v_dot4_i32_i8 v1, v2, v111, v1
	v_lshrrev_b32_e32 v2, 4, v3
	v_and_b32_e32 v2, 0xf0f0f0f, v2
	v_dot4_i32_i8 v1, v2, v112, v1
	v_lshrrev_b32_e32 v2, 4, v4
	v_and_b32_e32 v2, 0xf0f0f0f, v2
	;; [unrolled: 3-line block ×3, first 2 shown]
	v_and_b32_e32 v2, 0xf0f0f0f, v2
	s_waitcnt lgkmcnt(0)
	v_and_b32_e32 v106, 0xff, v27
	v_dot4_i32_i8 v12, v12, v115, v11
	v_dot4_i32_i8 v1, v2, v114, v1
	v_lshrrev_b32_e32 v2, 4, v119
	v_bfe_u32 v107, v27, 8, 8
	v_mul_lo_u32 v9, v9, v106
	v_and_b32_e32 v2, 0xf0f0f0f, v2
	v_mul_lo_u32 v12, v12, v107
	v_dot4_i32_i8 v113, v2, v115, v1
	ds_read_b128 v[1:4], v53 offset:20560
	v_cvt_f32_i32_e32 v9, v9
	v_cvt_f32_f16_sdwa v101, v97 dst_sel:DWORD dst_unused:UNUSED_PAD src0_sel:WORD_1
	v_cvt_f32_i32_e32 v12, v12
	v_cvt_f32_ubyte0_e32 v10, v28
	ds_read2_b32 v[29:30], v45 offset0:1 offset1:3
	v_cvt_f32_ubyte1_e32 v11, v28
	s_waitcnt lgkmcnt(1)
	v_fma_mix_f32 v10, v1, v10, 0 op_sel:[1,0,0] op_sel_hi:[1,0,0]
	v_fma_mix_f32 v9, v1, v9, 0 op_sel_hi:[1,0,0]
	v_fma_mix_f32 v10, v2, v11, v10 op_sel:[1,0,0] op_sel_hi:[1,0,0]
	v_fma_mix_f32 v9, v2, v12, v9 op_sel_hi:[1,0,0]
	v_mul_f32_e32 v10, v10, v101
	v_fma_mix_f32 v9, v9, v97, -v10 op_sel_hi:[0,1,0]
	v_and_b32_e32 v16, 0xf0f0f0f, v16
	v_add_f32_e32 v111, v6, v9
	s_waitcnt lgkmcnt(0)
	v_and_b32_e32 v9, 0xff, v29
	v_dot4_i32_i8 v16, v16, v115, v15
	v_bfe_u32 v10, v29, 8, 8
	v_mul_lo_u32 v9, v13, v9
	v_mul_lo_u32 v10, v16, v10
	v_cvt_f32_f16_sdwa v102, v98 dst_sel:DWORD dst_unused:UNUSED_PAD src0_sel:WORD_1
	v_cvt_f32_ubyte0_e32 v14, v30
	v_cvt_f32_i32_e32 v9, v9
	v_cvt_f32_i32_e32 v10, v10
	ds_read2_b32 v[31:32], v47 offset0:1 offset1:3
	v_cvt_f32_ubyte1_e32 v15, v30
	v_fma_mix_f32 v6, v1, v14, 0 op_sel:[1,0,0] op_sel_hi:[1,0,0]
	v_fma_mix_f32 v9, v1, v9, 0 op_sel_hi:[1,0,0]
	v_fma_mix_f32 v6, v2, v15, v6 op_sel:[1,0,0] op_sel_hi:[1,0,0]
	v_fma_mix_f32 v9, v2, v10, v9 op_sel_hi:[1,0,0]
	v_mul_f32_e32 v6, v6, v102
	v_fma_mix_f32 v6, v9, v98, -v6 op_sel_hi:[0,1,0]
	v_and_b32_e32 v20, 0xf0f0f0f, v20
	v_add_f32_e32 v109, v7, v6
	s_waitcnt lgkmcnt(0)
	v_and_b32_e32 v7, 0xff, v31
	v_dot4_i32_i8 v20, v20, v115, v19
	v_bfe_u32 v9, v31, 8, 8
	v_mul_lo_u32 v7, v17, v7
	v_mul_lo_u32 v9, v20, v9
	v_cvt_f32_f16_sdwa v103, v99 dst_sel:DWORD dst_unused:UNUSED_PAD src0_sel:WORD_1
	v_cvt_f32_ubyte0_e32 v18, v32
	v_cvt_f32_i32_e32 v7, v7
	v_cvt_f32_i32_e32 v9, v9
	ds_read2_b32 v[25:26], v49 offset0:1 offset1:3
	v_cvt_f32_ubyte1_e32 v19, v32
	v_fma_mix_f32 v6, v1, v18, 0 op_sel:[1,0,0] op_sel_hi:[1,0,0]
	v_fma_mix_f32 v7, v1, v7, 0 op_sel_hi:[1,0,0]
	v_fma_mix_f32 v6, v2, v19, v6 op_sel:[1,0,0] op_sel_hi:[1,0,0]
	v_fma_mix_f32 v7, v2, v9, v7 op_sel_hi:[1,0,0]
	v_mul_f32_e32 v6, v6, v103
	v_fma_mix_f32 v6, v7, v99, -v6 op_sel_hi:[0,1,0]
	v_add_f32_e32 v107, v8, v6
	s_waitcnt lgkmcnt(0)
	v_and_b32_e32 v6, 0xff, v25
	v_mul_lo_u32 v6, v105, v6
	v_bfe_u32 v7, v25, 8, 8
	v_mul_lo_u32 v7, v113, v7
	v_cvt_f32_ubyte0_e32 v104, v26
	v_cvt_f32_i32_e32 v6, v6
	v_lshrrev_b32_e32 v112, 24, v27
	v_cvt_f32_i32_e32 v7, v7
	v_lshrrev_b32_e32 v110, 24, v29
	v_fma_mix_f32 v6, v1, v6, 0 op_sel_hi:[1,0,0]
	v_fma_mix_f32 v1, v1, v104, 0 op_sel:[1,0,0] op_sel_hi:[1,0,0]
	v_cvt_f32_f16_sdwa v104, v100 dst_sel:DWORD dst_unused:UNUSED_PAD src0_sel:WORD_1
	v_fma_mix_f32 v6, v2, v7, v6 op_sel_hi:[1,0,0]
	v_cvt_f32_ubyte1_e32 v7, v26
	v_fma_mix_f32 v1, v2, v7, v1 op_sel:[1,0,0] op_sel_hi:[1,0,0]
	v_mul_f32_e32 v1, v1, v104
	v_fma_mix_f32 v1, v6, v100, -v1 op_sel_hi:[0,1,0]
	v_add_f32_e32 v105, v5, v1
	ds_read_b128 v[17:20], v51 offset:64
	ds_read_b128 v[13:16], v51 offset:80
	ds_read_b128 v[9:12], v51 offset:96
	ds_read_b128 v[5:8], v51 offset:112
	ds_read2_b32 v[1:2], v95 offset0:24 offset1:25
	ds_read2_b32 v[115:116], v95 offset0:26 offset1:27
	;; [unrolled: 1-line block ×4, first 2 shown]
	v_lshrrev_b32_e32 v108, 24, v31
	s_waitcnt lgkmcnt(3)
	v_and_b32_e32 v113, 0xf0f0f0f, v1
	v_lshrrev_b32_e32 v1, 4, v1
	v_and_b32_e32 v114, 0xf0f0f0f, v2
	v_and_b32_e32 v1, 0xf0f0f0f, v1
	v_lshrrev_b32_e32 v2, 4, v2
	v_dot4_i32_i8 v1, v1, v9, 0
	v_and_b32_e32 v2, 0xf0f0f0f, v2
	v_dot4_i32_i8 v1, v2, v10, v1
	s_waitcnt lgkmcnt(2)
	v_lshrrev_b32_e32 v2, 4, v115
	v_and_b32_e32 v2, 0xf0f0f0f, v2
	v_dot4_i32_i8 v1, v2, v11, v1
	v_lshrrev_b32_e32 v2, 4, v116
	v_and_b32_e32 v2, 0xf0f0f0f, v2
	v_dot4_i32_i8 v1, v2, v12, v1
	s_waitcnt lgkmcnt(1)
	v_lshrrev_b32_e32 v2, 4, v117
	v_and_b32_e32 v2, 0xf0f0f0f, v2
	v_dot4_i32_i8 v1, v2, v5, v1
	v_lshrrev_b32_e32 v2, 4, v118
	;; [unrolled: 7-line block ×3, first 2 shown]
	v_dot4_i32_i8 v113, v113, v17, 0
	v_and_b32_e32 v2, 0xf0f0f0f, v2
	v_dot4_i32_i8 v113, v114, v18, v113
	v_and_b32_e32 v114, 0xf0f0f0f, v115
	v_dot4_i32_i8 v115, v2, v8, v1
	v_add_u32_e32 v1, 0x10e0, v95
	ds_read2_b32 v[1:2], v1 offset1:1
	v_dot4_i32_i8 v113, v114, v19, v113
	v_and_b32_e32 v114, 0xf0f0f0f, v116
	v_dot4_i32_i8 v113, v114, v20, v113
	v_and_b32_e32 v114, 0xf0f0f0f, v117
	s_waitcnt lgkmcnt(0)
	v_and_b32_e32 v116, 0xf0f0f0f, v1
	v_dot4_i32_i8 v116, v116, v17, 0
	v_and_b32_e32 v117, 0xf0f0f0f, v2
	v_dot4_i32_i8 v113, v114, v13, v113
	;; [unrolled: 2-line block ×3, first 2 shown]
	v_add_u32_e32 v117, 0x10e8, v95
	v_dot4_i32_i8 v113, v114, v14, v113
	v_and_b32_e32 v114, 0xf0f0f0f, v119
	ds_read2_b32 v[118:119], v117 offset1:1
	v_dot4_i32_i8 v113, v114, v15, v113
	v_and_b32_e32 v114, 0xf0f0f0f, v120
	v_lshrrev_b32_e32 v1, 4, v1
	v_and_b32_e32 v1, 0xf0f0f0f, v1
	s_waitcnt lgkmcnt(0)
	v_and_b32_e32 v117, 0xf0f0f0f, v118
	v_dot4_i32_i8 v116, v117, v19, v116
	v_and_b32_e32 v117, 0xf0f0f0f, v119
	v_dot4_i32_i8 v116, v117, v20, v116
	v_add_u32_e32 v117, 0x10f0, v95
	ds_read2_b32 v[120:121], v117 offset1:1
	v_lshrrev_b32_e32 v2, 4, v2
	v_dot4_i32_i8 v1, v1, v9, 0
	v_and_b32_e32 v2, 0xf0f0f0f, v2
	v_dot4_i32_i8 v1, v2, v10, v1
	s_waitcnt lgkmcnt(0)
	v_and_b32_e32 v117, 0xf0f0f0f, v120
	v_lshrrev_b32_e32 v2, 4, v118
	v_dot4_i32_i8 v116, v117, v13, v116
	v_and_b32_e32 v117, 0xf0f0f0f, v121
	v_and_b32_e32 v2, 0xf0f0f0f, v2
	v_dot4_i32_i8 v116, v117, v14, v116
	v_add_u32_e32 v117, 0x10f8, v95
	v_dot4_i32_i8 v1, v2, v11, v1
	v_lshrrev_b32_e32 v2, 4, v119
	ds_read2_b32 v[122:123], v117 offset1:1
	v_and_b32_e32 v2, 0xf0f0f0f, v2
	v_dot4_i32_i8 v1, v2, v12, v1
	v_lshrrev_b32_e32 v2, 4, v120
	v_and_b32_e32 v2, 0xf0f0f0f, v2
	v_dot4_i32_i8 v1, v2, v5, v1
	v_lshrrev_b32_e32 v2, 4, v121
	v_and_b32_e32 v2, 0xf0f0f0f, v2
	v_dot4_i32_i8 v1, v2, v6, v1
	s_waitcnt lgkmcnt(0)
	v_lshrrev_b32_e32 v2, 4, v122
	v_and_b32_e32 v2, 0xf0f0f0f, v2
	v_and_b32_e32 v117, 0xf0f0f0f, v122
	v_dot4_i32_i8 v1, v2, v7, v1
	v_lshrrev_b32_e32 v2, 4, v123
	v_dot4_i32_i8 v116, v117, v15, v116
	v_and_b32_e32 v117, 0xf0f0f0f, v123
	v_and_b32_e32 v2, 0xf0f0f0f, v2
	v_dot4_i32_i8 v116, v117, v16, v116
	v_cvt_f32_ubyte2_e32 v117, v30
	v_dot4_i32_i8 v2, v2, v8, v1
	v_cvt_f32_ubyte3_e32 v1, v30
	v_add_u32_e32 v30, 0x2160, v95
	ds_read2_b32 v[120:121], v30 offset1:1
	v_cvt_f32_ubyte2_e32 v119, v32
	v_dot4_i32_i8 v113, v114, v16, v113
	v_mul_lo_u32 v2, v2, v110
	v_cvt_f32_ubyte2_e32 v114, v28
	s_waitcnt lgkmcnt(0)
	v_and_b32_e32 v30, 0xf0f0f0f, v120
	v_dot4_i32_i8 v30, v30, v17, 0
	v_and_b32_e32 v118, 0xf0f0f0f, v121
	v_dot4_i32_i8 v30, v118, v18, v30
	v_add_u32_e32 v118, 0x2168, v95
	ds_read2_b32 v[122:123], v118 offset1:1
	v_cvt_f32_ubyte3_e32 v28, v28
	v_cvt_f32_i32_e32 v2, v2
	v_lshrrev_b32_e32 v106, 24, v25
	s_waitcnt lgkmcnt(0)
	v_and_b32_e32 v118, 0xf0f0f0f, v122
	v_dot4_i32_i8 v30, v118, v19, v30
	v_and_b32_e32 v118, 0xf0f0f0f, v123
	v_dot4_i32_i8 v30, v118, v20, v30
	v_add_u32_e32 v118, 0x2170, v95
	ds_read2_b32 v[124:125], v118 offset1:1
	s_waitcnt lgkmcnt(0)
	v_and_b32_e32 v118, 0xf0f0f0f, v124
	v_dot4_i32_i8 v30, v118, v13, v30
	v_and_b32_e32 v118, 0xf0f0f0f, v125
	v_dot4_i32_i8 v30, v118, v14, v30
	v_add_u32_e32 v118, 0x2178, v95
	ds_read2_b32 v[126:127], v118 offset1:1
	s_waitcnt lgkmcnt(0)
	v_and_b32_e32 v118, 0xf0f0f0f, v126
	v_dot4_i32_i8 v30, v118, v15, v30
	v_and_b32_e32 v118, 0xf0f0f0f, v127
	v_dot4_i32_i8 v118, v118, v16, v30
	v_lshrrev_b32_e32 v30, 4, v120
	v_and_b32_e32 v30, 0xf0f0f0f, v30
	v_lshrrev_b32_e32 v120, 4, v121
	v_dot4_i32_i8 v30, v30, v9, 0
	v_and_b32_e32 v120, 0xf0f0f0f, v120
	v_dot4_i32_i8 v30, v120, v10, v30
	v_lshrrev_b32_e32 v120, 4, v122
	v_and_b32_e32 v120, 0xf0f0f0f, v120
	v_dot4_i32_i8 v30, v120, v11, v30
	v_lshrrev_b32_e32 v120, 4, v123
	;; [unrolled: 3-line block ×6, first 2 shown]
	v_and_b32_e32 v120, 0xf0f0f0f, v120
	v_dot4_i32_i8 v120, v120, v8, v30
	v_cvt_f32_ubyte3_e32 v30, v32
	v_add_u32_e32 v32, 0x31e0, v95
	ds_read2_b32 v[121:122], v32 offset1:1
	s_waitcnt lgkmcnt(0)
	v_and_b32_e32 v32, 0xf0f0f0f, v121
	v_dot4_i32_i8 v17, v32, v17, 0
	v_and_b32_e32 v32, 0xf0f0f0f, v122
	v_dot4_i32_i8 v32, v32, v18, v17
	v_add_u32_e32 v17, 0x31e8, v95
	ds_read2_b32 v[17:18], v17 offset1:1
	s_waitcnt lgkmcnt(0)
	v_and_b32_e32 v123, 0xf0f0f0f, v17
	v_dot4_i32_i8 v19, v123, v19, v32
	v_and_b32_e32 v32, 0xf0f0f0f, v18
	v_dot4_i32_i8 v32, v32, v20, v19
	;; [unrolled: 7-line block ×3, first 2 shown]
	v_add_u32_e32 v13, 0x31f8, v95
	ds_read2_b32 v[13:14], v13 offset1:1
	s_waitcnt lgkmcnt(0)
	s_barrier
	v_and_b32_e32 v123, 0xf0f0f0f, v13
	v_dot4_i32_i8 v15, v123, v15, v32
	v_and_b32_e32 v32, 0xf0f0f0f, v14
	v_dot4_i32_i8 v15, v32, v16, v15
	v_lshrrev_b32_e32 v32, 4, v121
	v_and_b32_e32 v32, 0xf0f0f0f, v32
	v_dot4_i32_i8 v9, v32, v9, 0
	v_lshrrev_b32_e32 v32, 4, v122
	;; [unrolled: 3-line block ×8, first 2 shown]
	v_bfe_u32 v7, v27, 16, 8
	v_and_b32_e32 v6, 0xf0f0f0f, v6
	v_mul_lo_u32 v7, v113, v7
	v_dot4_i32_i8 v5, v6, v8, v5
	v_mul_lo_u32 v8, v115, v112
	v_fma_mix_f32 v6, v3, v114, 0 op_sel:[1,0,0] op_sel_hi:[1,0,0]
	v_cvt_f32_i32_e32 v7, v7
	v_fma_mix_f32 v6, v4, v28, v6 op_sel:[1,0,0] op_sel_hi:[1,0,0]
	v_cvt_f32_i32_e32 v8, v8
	v_mul_f32_e32 v6, v6, v101
	v_fma_mix_f32 v7, v3, v7, 0 op_sel_hi:[1,0,0]
	v_cvt_f32_ubyte2_e32 v16, v26
	v_fma_mix_f32 v7, v4, v8, v7 op_sel_hi:[1,0,0]
	v_bfe_u32 v8, v29, 16, 8
	v_mul_lo_u32 v8, v116, v8
	v_fma_mix_f32 v6, v7, v97, -v6 op_sel_hi:[0,1,0]
	v_fma_mix_f32 v7, v3, v117, 0 op_sel:[1,0,0] op_sel_hi:[1,0,0]
	v_fma_mix_f32 v1, v4, v1, v7 op_sel:[1,0,0] op_sel_hi:[1,0,0]
	v_cvt_f32_i32_e32 v8, v8
	v_mul_f32_e32 v1, v1, v102
	v_add_f32_e32 v6, v111, v6
	v_fma_mix_f32 v8, v3, v8, 0 op_sel_hi:[1,0,0]
	v_fma_mix_f32 v2, v4, v2, v8 op_sel_hi:[1,0,0]
	v_fma_mix_f32 v1, v2, v98, -v1 op_sel_hi:[0,1,0]
	v_bfe_u32 v2, v31, 16, 8
	v_mul_lo_u32 v2, v118, v2
	v_mul_lo_u32 v8, v120, v108
	v_add_f32_e32 v7, v109, v1
	v_fma_mix_f32 v1, v3, v119, 0 op_sel:[1,0,0] op_sel_hi:[1,0,0]
	v_cvt_f32_i32_e32 v2, v2
	v_cvt_f32_i32_e32 v8, v8
	v_fma_mix_f32 v1, v4, v30, v1 op_sel:[1,0,0] op_sel_hi:[1,0,0]
	v_mul_f32_e32 v1, v1, v103
	v_fma_mix_f32 v2, v3, v2, 0 op_sel_hi:[1,0,0]
	v_fma_mix_f32 v2, v4, v8, v2 op_sel_hi:[1,0,0]
	v_fma_mix_f32 v1, v2, v99, -v1 op_sel_hi:[0,1,0]
	v_add_f32_e32 v8, v107, v1
	v_bfe_u32 v1, v25, 16, 8
	v_mul_lo_u32 v1, v15, v1
	v_mul_lo_u32 v2, v5, v106
	v_cvt_f32_i32_e32 v1, v1
	v_cvt_f32_i32_e32 v2, v2
	v_fma_mix_f32 v1, v3, v1, 0 op_sel_hi:[1,0,0]
	v_fma_mix_f32 v3, v3, v16, 0 op_sel:[1,0,0] op_sel_hi:[1,0,0]
	v_fma_mix_f32 v1, v4, v2, v1 op_sel_hi:[1,0,0]
	v_cvt_f32_ubyte3_e32 v2, v26
	v_fma_mix_f32 v2, v4, v2, v3 op_sel:[1,0,0] op_sel_hi:[1,0,0]
	v_mul_f32_e32 v2, v2, v104
	v_fma_mix_f32 v1, v1, v100, -v2 op_sel_hi:[0,1,0]
	v_add_f32_e32 v5, v105, v1
.LBB211_5:                              ;   in Loop: Header=BB211_6 Depth=1
	v_add_co_u32_e32 v55, vcc, 0x90, v55
	v_addc_co_u32_e32 v56, vcc, 0, v56, vcc
	v_add_co_u32_e32 v57, vcc, 0x90, v57
	v_addc_co_u32_e32 v58, vcc, 0, v58, vcc
	;; [unrolled: 2-line block ×20, first 2 shown]
	s_add_i32 s23, s23, -1
	s_addk_i32 s12, 0x100
	v_add_co_u32_e32 v93, vcc, 0x90, v93
	v_add_u32_e32 v44, 8, v44
	v_add_u32_e32 v41, 8, v41
	;; [unrolled: 1-line block ×3, first 2 shown]
	s_cmp_eq_u32 s23, 0
	v_addc_co_u32_e32 v94, vcc, 0, v94, vcc
	s_cbranch_scc1 .LBB211_17
.LBB211_6:                              ; =>This Inner Loop Header: Depth=1
	v_mov_b32_e32 v3, s24
	v_add_co_u32_e32 v1, vcc, s18, v55
	v_addc_co_u32_e32 v2, vcc, v56, v3, vcc
	global_load_dword v4, v[1:2], off
	v_add_co_u32_e32 v1, vcc, s18, v57
	v_addc_co_u32_e32 v2, vcc, v58, v3, vcc
	global_load_dword v9, v[1:2], off
	;; [unrolled: 3-line block ×21, first 2 shown]
	v_add_u32_e32 v2, 0x420, v34
	s_waitcnt vmcnt(19)
	ds_write_b32 v2, v9
	v_add_u32_e32 v2, 0x840, v34
	s_waitcnt vmcnt(18)
	ds_write_b32 v2, v10
	;; [unrolled: 3-line block ×6, first 2 shown]
	v_add_u32_e32 v2, 0x1ce0, v34
	ds_write_b32 v34, v4
	s_waitcnt vmcnt(13)
	ds_write_b32 v2, v15
	v_add_u32_e32 v2, 0x2100, v34
	s_add_i32 s4, s12, 0xffffff80
	s_cmp_lt_i32 s4, s19
	s_waitcnt vmcnt(12)
	ds_write_b32 v2, v16
	v_add_u32_e32 v2, 0x2520, v34
	s_waitcnt vmcnt(11)
	ds_write_b32 v2, v17
	v_add_u32_e32 v2, 0x2940, v34
	;; [unrolled: 3-line block ×7, first 2 shown]
	s_waitcnt vmcnt(5)
	ds_write_b32 v2, v27
	s_waitcnt vmcnt(4)
	ds_write_b32 v35, v28
	s_waitcnt vmcnt(3)
	v_ashrrev_i32_e32 v2, v36, v29
	v_and_b32_e32 v2, 0xf0f0f0f, v2
	s_waitcnt vmcnt(2)
	v_ashrrev_i32_e32 v3, v37, v30
	v_and_or_b32 v2, v3, s13, v2
	ds_write_b32 v38, v2
	s_waitcnt vmcnt(1)
	v_ashrrev_i32_e32 v2, v36, v31
	v_and_b32_e32 v2, 0xf0f0f0f, v2
	s_waitcnt vmcnt(0)
	v_ashrrev_i32_e32 v1, v37, v1
	v_and_or_b32 v1, v1, s13, v2
	ds_write_b32 v39, v1
	s_cbranch_scc0 .LBB211_5
; %bb.7:                                ;   in Loop: Header=BB211_6 Depth=1
	v_cmp_gt_i32_e32 vcc, s9, v41
	s_and_b64 s[20:21], s[2:3], vcc
	s_and_saveexec_b64 s[4:5], s[20:21]
	s_cbranch_execz .LBB211_9
; %bb.8:                                ;   in Loop: Header=BB211_6 Depth=1
	v_add_u32_e32 v1, v54, v41
	v_mad_i64_i32 v[1:2], s[20:21], v1, 36, v[21:22]
	global_load_dword v1, v[1:2], off offset:4
	s_waitcnt vmcnt(0)
	ds_write_b32 v52, v1
.LBB211_9:                              ;   in Loop: Header=BB211_6 Depth=1
	s_or_b64 exec, exec, s[4:5]
	v_cmp_gt_i32_e32 vcc, s9, v96
	s_and_b64 s[20:21], s[6:7], vcc
	s_and_saveexec_b64 s[4:5], s[20:21]
	s_cbranch_execz .LBB211_11
; %bb.10:                               ;   in Loop: Header=BB211_6 Depth=1
	v_add_u32_e32 v1, v54, v96
	v_mad_i64_i32 v[1:2], s[20:21], v1, 36, s[14:15]
	global_load_dword v1, v[1:2], off
	v_add_u32_e32 v2, v40, v53
	s_waitcnt vmcnt(0)
	ds_write_b32 v2, v1
.LBB211_11:                             ;   in Loop: Header=BB211_6 Depth=1
	s_or_b64 exec, exec, s[4:5]
	s_waitcnt lgkmcnt(0)
	s_barrier
	ds_read_b128 v[1:4], v51
	ds_read_b128 v[104:107], v51 offset:16
	ds_read_b128 v[108:111], v51 offset:32
	;; [unrolled: 1-line block ×3, first 2 shown]
	ds_read_b32 v97, v43
	ds_read2_b32 v[11:12], v95 offset1:1
	ds_read2_b32 v[13:14], v95 offset0:2 offset1:3
	ds_read2_b32 v[15:16], v95 offset0:4 offset1:5
	ds_read_b32 v98, v46 offset:128
	ds_read2_b32 v[17:18], v95 offset0:6 offset1:7
	ds_read_b32 v99, v48 offset:256
	s_waitcnt lgkmcnt(5)
	v_and_b32_e32 v9, 0xf0f0f0f, v11
	v_lshrrev_b32_e32 v11, 4, v11
	v_and_b32_e32 v10, 0xf0f0f0f, v12
	v_and_b32_e32 v11, 0xf0f0f0f, v11
	v_lshrrev_b32_e32 v12, 4, v12
	v_dot4_i32_i8 v11, v11, v108, 0
	v_and_b32_e32 v12, 0xf0f0f0f, v12
	v_dot4_i32_i8 v11, v12, v109, v11
	s_waitcnt lgkmcnt(4)
	v_lshrrev_b32_e32 v12, 4, v13
	v_and_b32_e32 v12, 0xf0f0f0f, v12
	v_dot4_i32_i8 v9, v9, v1, 0
	v_dot4_i32_i8 v11, v12, v110, v11
	v_lshrrev_b32_e32 v12, 4, v14
	v_dot4_i32_i8 v9, v10, v2, v9
	v_and_b32_e32 v10, 0xf0f0f0f, v13
	v_and_b32_e32 v12, 0xf0f0f0f, v12
	v_dot4_i32_i8 v9, v10, v3, v9
	v_and_b32_e32 v10, 0xf0f0f0f, v14
	v_dot4_i32_i8 v11, v12, v111, v11
	s_waitcnt lgkmcnt(3)
	v_lshrrev_b32_e32 v12, 4, v15
	v_dot4_i32_i8 v9, v10, v4, v9
	v_and_b32_e32 v10, 0xf0f0f0f, v15
	v_and_b32_e32 v12, 0xf0f0f0f, v12
	v_add_u32_e32 v13, 0x1080, v95
	v_dot4_i32_i8 v9, v10, v104, v9
	v_and_b32_e32 v10, 0xf0f0f0f, v16
	v_dot4_i32_i8 v11, v12, v112, v11
	v_lshrrev_b32_e32 v12, 4, v16
	ds_read2_b32 v[15:16], v13 offset1:1
	v_and_b32_e32 v12, 0xf0f0f0f, v12
	v_dot4_i32_i8 v11, v12, v113, v11
	s_waitcnt lgkmcnt(2)
	v_lshrrev_b32_e32 v12, 4, v17
	v_dot4_i32_i8 v9, v10, v105, v9
	s_waitcnt lgkmcnt(0)
	v_and_b32_e32 v13, 0xf0f0f0f, v15
	v_dot4_i32_i8 v13, v13, v1, 0
	v_and_b32_e32 v14, 0xf0f0f0f, v16
	v_and_b32_e32 v10, 0xf0f0f0f, v17
	;; [unrolled: 1-line block ×3, first 2 shown]
	v_dot4_i32_i8 v13, v14, v2, v13
	v_add_u32_e32 v14, 0x1088, v95
	v_dot4_i32_i8 v9, v10, v106, v9
	v_and_b32_e32 v10, 0xf0f0f0f, v18
	v_dot4_i32_i8 v11, v12, v114, v11
	v_lshrrev_b32_e32 v12, 4, v18
	ds_read2_b32 v[17:18], v14 offset1:1
	ds_read_b32 v100, v50 offset:384
	v_lshrrev_b32_e32 v15, 4, v15
	v_and_b32_e32 v15, 0xf0f0f0f, v15
	v_lshrrev_b32_e32 v16, 4, v16
	s_waitcnt lgkmcnt(1)
	v_and_b32_e32 v14, 0xf0f0f0f, v17
	v_dot4_i32_i8 v13, v14, v3, v13
	v_and_b32_e32 v14, 0xf0f0f0f, v18
	v_dot4_i32_i8 v13, v14, v4, v13
	v_add_u32_e32 v14, 0x1090, v95
	ds_read2_b32 v[19:20], v14 offset1:1
	v_dot4_i32_i8 v15, v15, v108, 0
	v_and_b32_e32 v16, 0xf0f0f0f, v16
	v_dot4_i32_i8 v15, v16, v109, v15
	v_lshrrev_b32_e32 v16, 4, v17
	v_and_b32_e32 v16, 0xf0f0f0f, v16
	v_dot4_i32_i8 v15, v16, v110, v15
	v_lshrrev_b32_e32 v16, 4, v18
	s_waitcnt lgkmcnt(0)
	v_and_b32_e32 v14, 0xf0f0f0f, v19
	v_and_b32_e32 v16, 0xf0f0f0f, v16
	v_dot4_i32_i8 v13, v14, v104, v13
	v_and_b32_e32 v14, 0xf0f0f0f, v20
	v_dot4_i32_i8 v15, v16, v111, v15
	v_lshrrev_b32_e32 v16, 4, v19
	v_dot4_i32_i8 v13, v14, v105, v13
	v_add_u32_e32 v14, 0x1098, v95
	v_and_b32_e32 v16, 0xf0f0f0f, v16
	v_add_u32_e32 v17, 0x2100, v95
	ds_read2_b32 v[25:26], v14 offset1:1
	v_dot4_i32_i8 v15, v16, v112, v15
	v_lshrrev_b32_e32 v16, 4, v20
	ds_read2_b32 v[19:20], v17 offset1:1
	v_and_b32_e32 v16, 0xf0f0f0f, v16
	v_dot4_i32_i8 v15, v16, v113, v15
	s_waitcnt lgkmcnt(1)
	v_lshrrev_b32_e32 v16, 4, v25
	v_and_b32_e32 v14, 0xf0f0f0f, v25
	s_waitcnt lgkmcnt(0)
	v_and_b32_e32 v17, 0xf0f0f0f, v19
	v_dot4_i32_i8 v17, v17, v1, 0
	v_and_b32_e32 v18, 0xf0f0f0f, v20
	v_and_b32_e32 v16, 0xf0f0f0f, v16
	v_dot4_i32_i8 v17, v18, v2, v17
	v_add_u32_e32 v18, 0x2108, v95
	v_dot4_i32_i8 v13, v14, v106, v13
	v_and_b32_e32 v14, 0xf0f0f0f, v26
	v_dot4_i32_i8 v15, v16, v114, v15
	v_lshrrev_b32_e32 v16, 4, v26
	ds_read2_b32 v[25:26], v18 offset1:1
	v_lshrrev_b32_e32 v19, 4, v19
	v_and_b32_e32 v19, 0xf0f0f0f, v19
	v_lshrrev_b32_e32 v20, 4, v20
	v_dot4_i32_i8 v19, v19, v108, 0
	s_waitcnt lgkmcnt(0)
	v_and_b32_e32 v18, 0xf0f0f0f, v25
	v_dot4_i32_i8 v17, v18, v3, v17
	v_and_b32_e32 v18, 0xf0f0f0f, v26
	v_dot4_i32_i8 v17, v18, v4, v17
	v_add_u32_e32 v18, 0x2110, v95
	ds_read2_b32 v[116:117], v18 offset1:1
	v_and_b32_e32 v20, 0xf0f0f0f, v20
	v_dot4_i32_i8 v19, v20, v109, v19
	v_lshrrev_b32_e32 v20, 4, v25
	v_and_b32_e32 v20, 0xf0f0f0f, v20
	v_dot4_i32_i8 v19, v20, v110, v19
	v_lshrrev_b32_e32 v20, 4, v26
	s_waitcnt lgkmcnt(0)
	v_and_b32_e32 v18, 0xf0f0f0f, v116
	v_and_b32_e32 v20, 0xf0f0f0f, v20
	v_dot4_i32_i8 v17, v18, v104, v17
	v_and_b32_e32 v18, 0xf0f0f0f, v117
	v_dot4_i32_i8 v19, v20, v111, v19
	v_lshrrev_b32_e32 v20, 4, v116
	v_dot4_i32_i8 v17, v18, v105, v17
	v_add_u32_e32 v18, 0x2118, v95
	v_and_b32_e32 v20, 0xf0f0f0f, v20
	v_add_u32_e32 v25, 0x3180, v95
	ds_read2_b32 v[118:119], v18 offset1:1
	v_dot4_i32_i8 v19, v20, v112, v19
	v_lshrrev_b32_e32 v20, 4, v117
	ds_read2_b32 v[116:117], v25 offset1:1
	v_and_b32_e32 v20, 0xf0f0f0f, v20
	v_dot4_i32_i8 v19, v20, v113, v19
	v_dot4_i32_i8 v9, v10, v107, v9
	;; [unrolled: 1-line block ×3, first 2 shown]
	s_waitcnt lgkmcnt(0)
	v_and_b32_e32 v25, 0xf0f0f0f, v116
	v_dot4_i32_i8 v1, v25, v1, 0
	v_and_b32_e32 v25, 0xf0f0f0f, v117
	v_dot4_i32_i8 v25, v25, v2, v1
	v_add_u32_e32 v1, 0x3188, v95
	ds_read2_b32 v[1:2], v1 offset1:1
	v_lshrrev_b32_e32 v20, 4, v118
	v_and_b32_e32 v18, 0xf0f0f0f, v118
	v_and_b32_e32 v20, 0xf0f0f0f, v20
	v_dot4_i32_i8 v17, v18, v106, v17
	s_waitcnt lgkmcnt(0)
	v_and_b32_e32 v26, 0xf0f0f0f, v1
	v_dot4_i32_i8 v3, v26, v3, v25
	v_and_b32_e32 v25, 0xf0f0f0f, v2
	v_dot4_i32_i8 v25, v25, v4, v3
	v_add_u32_e32 v3, 0x3190, v95
	ds_read2_b32 v[3:4], v3 offset1:1
	v_and_b32_e32 v18, 0xf0f0f0f, v119
	v_dot4_i32_i8 v19, v20, v114, v19
	v_lshrrev_b32_e32 v20, 4, v119
	v_dot4_i32_i8 v17, v18, v107, v17
	s_waitcnt lgkmcnt(0)
	v_and_b32_e32 v26, 0xf0f0f0f, v3
	v_dot4_i32_i8 v25, v26, v104, v25
	v_and_b32_e32 v26, 0xf0f0f0f, v4
	v_dot4_i32_i8 v25, v26, v105, v25
	v_add_u32_e32 v26, 0x3198, v95
	ds_read2_b32 v[118:119], v26 offset1:1
	v_lshrrev_b32_e32 v1, 4, v1
	v_and_b32_e32 v1, 0xf0f0f0f, v1
	v_lshrrev_b32_e32 v2, 4, v2
	v_and_b32_e32 v2, 0xf0f0f0f, v2
	s_waitcnt lgkmcnt(0)
	v_and_b32_e32 v26, 0xf0f0f0f, v118
	v_dot4_i32_i8 v25, v26, v106, v25
	v_and_b32_e32 v26, 0xf0f0f0f, v119
	v_lshrrev_b32_e32 v106, 4, v116
	v_dot4_i32_i8 v105, v26, v107, v25
	v_and_b32_e32 v106, 0xf0f0f0f, v106
	v_lshrrev_b32_e32 v107, 4, v117
	v_dot4_i32_i8 v106, v106, v108, 0
	v_and_b32_e32 v107, 0xf0f0f0f, v107
	v_dot4_i32_i8 v106, v107, v109, v106
	v_dot4_i32_i8 v1, v1, v110, v106
	ds_read2_b32 v[27:28], v42 offset1:2
	v_dot4_i32_i8 v1, v2, v111, v1
	v_lshrrev_b32_e32 v2, 4, v3
	v_and_b32_e32 v2, 0xf0f0f0f, v2
	v_dot4_i32_i8 v1, v2, v112, v1
	v_lshrrev_b32_e32 v2, 4, v4
	v_and_b32_e32 v2, 0xf0f0f0f, v2
	;; [unrolled: 3-line block ×3, first 2 shown]
	v_and_b32_e32 v2, 0xf0f0f0f, v2
	s_waitcnt lgkmcnt(0)
	v_and_b32_e32 v106, 0xff, v27
	v_dot4_i32_i8 v12, v12, v115, v11
	v_dot4_i32_i8 v1, v2, v114, v1
	v_lshrrev_b32_e32 v2, 4, v119
	v_bfe_u32 v107, v27, 8, 8
	v_mul_lo_u32 v9, v9, v106
	v_and_b32_e32 v2, 0xf0f0f0f, v2
	v_mul_lo_u32 v12, v12, v107
	v_dot4_i32_i8 v113, v2, v115, v1
	ds_read_b128 v[1:4], v53 offset:20560
	v_cvt_f32_i32_e32 v9, v9
	v_cvt_f32_f16_sdwa v101, v97 dst_sel:DWORD dst_unused:UNUSED_PAD src0_sel:WORD_1
	v_cvt_f32_i32_e32 v12, v12
	v_cvt_f32_ubyte0_e32 v10, v28
	ds_read2_b32 v[29:30], v45 offset1:2
	v_cvt_f32_ubyte1_e32 v11, v28
	s_waitcnt lgkmcnt(1)
	v_fma_mix_f32 v10, v1, v10, 0 op_sel:[1,0,0] op_sel_hi:[1,0,0]
	v_fma_mix_f32 v9, v1, v9, 0 op_sel_hi:[1,0,0]
	v_fma_mix_f32 v10, v2, v11, v10 op_sel:[1,0,0] op_sel_hi:[1,0,0]
	v_fma_mix_f32 v9, v2, v12, v9 op_sel_hi:[1,0,0]
	v_mul_f32_e32 v10, v10, v101
	v_fma_mix_f32 v9, v9, v97, -v10 op_sel_hi:[0,1,0]
	v_and_b32_e32 v16, 0xf0f0f0f, v16
	v_add_f32_e32 v111, v6, v9
	s_waitcnt lgkmcnt(0)
	v_and_b32_e32 v9, 0xff, v29
	v_dot4_i32_i8 v16, v16, v115, v15
	v_bfe_u32 v10, v29, 8, 8
	v_mul_lo_u32 v9, v13, v9
	v_mul_lo_u32 v10, v16, v10
	v_cvt_f32_f16_sdwa v102, v98 dst_sel:DWORD dst_unused:UNUSED_PAD src0_sel:WORD_1
	v_cvt_f32_ubyte0_e32 v14, v30
	v_cvt_f32_i32_e32 v9, v9
	v_cvt_f32_i32_e32 v10, v10
	ds_read2_b32 v[31:32], v47 offset1:2
	v_cvt_f32_ubyte1_e32 v15, v30
	v_fma_mix_f32 v6, v1, v14, 0 op_sel:[1,0,0] op_sel_hi:[1,0,0]
	v_fma_mix_f32 v9, v1, v9, 0 op_sel_hi:[1,0,0]
	v_fma_mix_f32 v6, v2, v15, v6 op_sel:[1,0,0] op_sel_hi:[1,0,0]
	v_fma_mix_f32 v9, v2, v10, v9 op_sel_hi:[1,0,0]
	v_mul_f32_e32 v6, v6, v102
	v_fma_mix_f32 v6, v9, v98, -v6 op_sel_hi:[0,1,0]
	v_and_b32_e32 v20, 0xf0f0f0f, v20
	v_add_f32_e32 v109, v7, v6
	s_waitcnt lgkmcnt(0)
	v_and_b32_e32 v7, 0xff, v31
	v_dot4_i32_i8 v20, v20, v115, v19
	v_bfe_u32 v9, v31, 8, 8
	v_mul_lo_u32 v7, v17, v7
	v_mul_lo_u32 v9, v20, v9
	v_cvt_f32_f16_sdwa v103, v99 dst_sel:DWORD dst_unused:UNUSED_PAD src0_sel:WORD_1
	v_cvt_f32_ubyte0_e32 v18, v32
	v_cvt_f32_i32_e32 v7, v7
	v_cvt_f32_i32_e32 v9, v9
	ds_read2_b32 v[25:26], v49 offset1:2
	v_cvt_f32_ubyte1_e32 v19, v32
	v_fma_mix_f32 v6, v1, v18, 0 op_sel:[1,0,0] op_sel_hi:[1,0,0]
	v_fma_mix_f32 v7, v1, v7, 0 op_sel_hi:[1,0,0]
	v_fma_mix_f32 v6, v2, v19, v6 op_sel:[1,0,0] op_sel_hi:[1,0,0]
	v_fma_mix_f32 v7, v2, v9, v7 op_sel_hi:[1,0,0]
	v_mul_f32_e32 v6, v6, v103
	v_fma_mix_f32 v6, v7, v99, -v6 op_sel_hi:[0,1,0]
	v_add_f32_e32 v107, v8, v6
	s_waitcnt lgkmcnt(0)
	v_and_b32_e32 v6, 0xff, v25
	v_mul_lo_u32 v6, v105, v6
	v_bfe_u32 v7, v25, 8, 8
	v_mul_lo_u32 v7, v113, v7
	v_cvt_f32_ubyte0_e32 v104, v26
	v_cvt_f32_i32_e32 v6, v6
	v_lshrrev_b32_e32 v112, 24, v27
	v_cvt_f32_i32_e32 v7, v7
	v_lshrrev_b32_e32 v110, 24, v29
	v_fma_mix_f32 v6, v1, v6, 0 op_sel_hi:[1,0,0]
	v_fma_mix_f32 v1, v1, v104, 0 op_sel:[1,0,0] op_sel_hi:[1,0,0]
	v_cvt_f32_f16_sdwa v104, v100 dst_sel:DWORD dst_unused:UNUSED_PAD src0_sel:WORD_1
	v_fma_mix_f32 v6, v2, v7, v6 op_sel_hi:[1,0,0]
	v_cvt_f32_ubyte1_e32 v7, v26
	v_fma_mix_f32 v1, v2, v7, v1 op_sel:[1,0,0] op_sel_hi:[1,0,0]
	v_mul_f32_e32 v1, v1, v104
	v_fma_mix_f32 v1, v6, v100, -v1 op_sel_hi:[0,1,0]
	v_add_f32_e32 v105, v5, v1
	ds_read_b128 v[17:20], v51 offset:64
	ds_read_b128 v[13:16], v51 offset:80
	;; [unrolled: 1-line block ×4, first 2 shown]
	ds_read2_b32 v[1:2], v95 offset0:8 offset1:9
	ds_read2_b32 v[115:116], v95 offset0:10 offset1:11
	;; [unrolled: 1-line block ×4, first 2 shown]
	v_lshrrev_b32_e32 v108, 24, v31
	s_waitcnt lgkmcnt(3)
	v_and_b32_e32 v113, 0xf0f0f0f, v1
	v_lshrrev_b32_e32 v1, 4, v1
	v_and_b32_e32 v114, 0xf0f0f0f, v2
	v_and_b32_e32 v1, 0xf0f0f0f, v1
	v_lshrrev_b32_e32 v2, 4, v2
	v_dot4_i32_i8 v1, v1, v9, 0
	v_and_b32_e32 v2, 0xf0f0f0f, v2
	v_dot4_i32_i8 v1, v2, v10, v1
	s_waitcnt lgkmcnt(2)
	v_lshrrev_b32_e32 v2, 4, v115
	v_and_b32_e32 v2, 0xf0f0f0f, v2
	v_dot4_i32_i8 v1, v2, v11, v1
	v_lshrrev_b32_e32 v2, 4, v116
	v_and_b32_e32 v2, 0xf0f0f0f, v2
	v_dot4_i32_i8 v1, v2, v12, v1
	s_waitcnt lgkmcnt(1)
	v_lshrrev_b32_e32 v2, 4, v117
	v_and_b32_e32 v2, 0xf0f0f0f, v2
	v_dot4_i32_i8 v1, v2, v5, v1
	v_lshrrev_b32_e32 v2, 4, v118
	v_and_b32_e32 v2, 0xf0f0f0f, v2
	v_dot4_i32_i8 v1, v2, v6, v1
	s_waitcnt lgkmcnt(0)
	v_lshrrev_b32_e32 v2, 4, v119
	v_and_b32_e32 v2, 0xf0f0f0f, v2
	v_dot4_i32_i8 v1, v2, v7, v1
	v_lshrrev_b32_e32 v2, 4, v120
	v_dot4_i32_i8 v113, v113, v17, 0
	v_and_b32_e32 v2, 0xf0f0f0f, v2
	v_dot4_i32_i8 v113, v114, v18, v113
	v_and_b32_e32 v114, 0xf0f0f0f, v115
	v_dot4_i32_i8 v115, v2, v8, v1
	v_add_u32_e32 v1, 0x10a0, v95
	ds_read2_b32 v[1:2], v1 offset1:1
	v_dot4_i32_i8 v113, v114, v19, v113
	v_and_b32_e32 v114, 0xf0f0f0f, v116
	v_dot4_i32_i8 v113, v114, v20, v113
	v_and_b32_e32 v114, 0xf0f0f0f, v117
	s_waitcnt lgkmcnt(0)
	v_and_b32_e32 v116, 0xf0f0f0f, v1
	v_dot4_i32_i8 v116, v116, v17, 0
	v_and_b32_e32 v117, 0xf0f0f0f, v2
	v_dot4_i32_i8 v113, v114, v13, v113
	;; [unrolled: 2-line block ×3, first 2 shown]
	v_add_u32_e32 v117, 0x10a8, v95
	v_dot4_i32_i8 v113, v114, v14, v113
	v_and_b32_e32 v114, 0xf0f0f0f, v119
	ds_read2_b32 v[118:119], v117 offset1:1
	v_dot4_i32_i8 v113, v114, v15, v113
	v_and_b32_e32 v114, 0xf0f0f0f, v120
	v_lshrrev_b32_e32 v1, 4, v1
	v_and_b32_e32 v1, 0xf0f0f0f, v1
	s_waitcnt lgkmcnt(0)
	v_and_b32_e32 v117, 0xf0f0f0f, v118
	v_dot4_i32_i8 v116, v117, v19, v116
	v_and_b32_e32 v117, 0xf0f0f0f, v119
	v_dot4_i32_i8 v116, v117, v20, v116
	v_add_u32_e32 v117, 0x10b0, v95
	ds_read2_b32 v[120:121], v117 offset1:1
	v_lshrrev_b32_e32 v2, 4, v2
	v_dot4_i32_i8 v1, v1, v9, 0
	v_and_b32_e32 v2, 0xf0f0f0f, v2
	v_dot4_i32_i8 v1, v2, v10, v1
	s_waitcnt lgkmcnt(0)
	v_and_b32_e32 v117, 0xf0f0f0f, v120
	v_lshrrev_b32_e32 v2, 4, v118
	v_dot4_i32_i8 v116, v117, v13, v116
	v_and_b32_e32 v117, 0xf0f0f0f, v121
	v_and_b32_e32 v2, 0xf0f0f0f, v2
	v_dot4_i32_i8 v116, v117, v14, v116
	v_add_u32_e32 v117, 0x10b8, v95
	v_dot4_i32_i8 v1, v2, v11, v1
	v_lshrrev_b32_e32 v2, 4, v119
	ds_read2_b32 v[122:123], v117 offset1:1
	v_and_b32_e32 v2, 0xf0f0f0f, v2
	v_dot4_i32_i8 v1, v2, v12, v1
	v_lshrrev_b32_e32 v2, 4, v120
	v_and_b32_e32 v2, 0xf0f0f0f, v2
	v_dot4_i32_i8 v1, v2, v5, v1
	v_lshrrev_b32_e32 v2, 4, v121
	v_and_b32_e32 v2, 0xf0f0f0f, v2
	v_dot4_i32_i8 v1, v2, v6, v1
	s_waitcnt lgkmcnt(0)
	v_lshrrev_b32_e32 v2, 4, v122
	v_and_b32_e32 v2, 0xf0f0f0f, v2
	v_and_b32_e32 v117, 0xf0f0f0f, v122
	v_dot4_i32_i8 v1, v2, v7, v1
	v_lshrrev_b32_e32 v2, 4, v123
	v_dot4_i32_i8 v116, v117, v15, v116
	v_and_b32_e32 v117, 0xf0f0f0f, v123
	v_and_b32_e32 v2, 0xf0f0f0f, v2
	v_dot4_i32_i8 v116, v117, v16, v116
	v_cvt_f32_ubyte2_e32 v117, v30
	v_dot4_i32_i8 v2, v2, v8, v1
	v_cvt_f32_ubyte3_e32 v1, v30
	v_add_u32_e32 v30, 0x2120, v95
	ds_read2_b32 v[120:121], v30 offset1:1
	v_cvt_f32_ubyte2_e32 v119, v32
	v_dot4_i32_i8 v113, v114, v16, v113
	v_mul_lo_u32 v2, v2, v110
	v_cvt_f32_ubyte2_e32 v114, v28
	s_waitcnt lgkmcnt(0)
	v_and_b32_e32 v30, 0xf0f0f0f, v120
	v_dot4_i32_i8 v30, v30, v17, 0
	v_and_b32_e32 v118, 0xf0f0f0f, v121
	v_dot4_i32_i8 v30, v118, v18, v30
	v_add_u32_e32 v118, 0x2128, v95
	ds_read2_b32 v[122:123], v118 offset1:1
	v_cvt_f32_ubyte3_e32 v28, v28
	v_cvt_f32_i32_e32 v2, v2
	v_lshrrev_b32_e32 v106, 24, v25
	s_cmp_ge_i32 s12, s19
	s_waitcnt lgkmcnt(0)
	v_and_b32_e32 v118, 0xf0f0f0f, v122
	v_dot4_i32_i8 v30, v118, v19, v30
	v_and_b32_e32 v118, 0xf0f0f0f, v123
	v_dot4_i32_i8 v30, v118, v20, v30
	v_add_u32_e32 v118, 0x2130, v95
	ds_read2_b32 v[124:125], v118 offset1:1
	s_waitcnt lgkmcnt(0)
	v_and_b32_e32 v118, 0xf0f0f0f, v124
	v_dot4_i32_i8 v30, v118, v13, v30
	v_and_b32_e32 v118, 0xf0f0f0f, v125
	v_dot4_i32_i8 v30, v118, v14, v30
	v_add_u32_e32 v118, 0x2138, v95
	ds_read2_b32 v[126:127], v118 offset1:1
	s_waitcnt lgkmcnt(0)
	v_and_b32_e32 v118, 0xf0f0f0f, v126
	v_dot4_i32_i8 v30, v118, v15, v30
	v_and_b32_e32 v118, 0xf0f0f0f, v127
	v_dot4_i32_i8 v118, v118, v16, v30
	v_lshrrev_b32_e32 v30, 4, v120
	v_and_b32_e32 v30, 0xf0f0f0f, v30
	v_lshrrev_b32_e32 v120, 4, v121
	v_dot4_i32_i8 v30, v30, v9, 0
	v_and_b32_e32 v120, 0xf0f0f0f, v120
	v_dot4_i32_i8 v30, v120, v10, v30
	v_lshrrev_b32_e32 v120, 4, v122
	v_and_b32_e32 v120, 0xf0f0f0f, v120
	v_dot4_i32_i8 v30, v120, v11, v30
	v_lshrrev_b32_e32 v120, 4, v123
	;; [unrolled: 3-line block ×6, first 2 shown]
	v_and_b32_e32 v120, 0xf0f0f0f, v120
	v_dot4_i32_i8 v120, v120, v8, v30
	v_cvt_f32_ubyte3_e32 v30, v32
	v_add_u32_e32 v32, 0x31a0, v95
	ds_read2_b32 v[121:122], v32 offset1:1
	s_waitcnt lgkmcnt(0)
	v_and_b32_e32 v32, 0xf0f0f0f, v121
	v_dot4_i32_i8 v17, v32, v17, 0
	v_and_b32_e32 v32, 0xf0f0f0f, v122
	v_dot4_i32_i8 v32, v32, v18, v17
	v_add_u32_e32 v17, 0x31a8, v95
	ds_read2_b32 v[17:18], v17 offset1:1
	s_waitcnt lgkmcnt(0)
	v_and_b32_e32 v123, 0xf0f0f0f, v17
	v_dot4_i32_i8 v19, v123, v19, v32
	v_and_b32_e32 v32, 0xf0f0f0f, v18
	v_dot4_i32_i8 v32, v32, v20, v19
	;; [unrolled: 7-line block ×3, first 2 shown]
	v_add_u32_e32 v13, 0x31b8, v95
	ds_read2_b32 v[13:14], v13 offset1:1
	s_waitcnt lgkmcnt(0)
	s_barrier
	v_and_b32_e32 v123, 0xf0f0f0f, v13
	v_dot4_i32_i8 v15, v123, v15, v32
	v_and_b32_e32 v32, 0xf0f0f0f, v14
	v_dot4_i32_i8 v15, v32, v16, v15
	v_lshrrev_b32_e32 v32, 4, v121
	v_and_b32_e32 v32, 0xf0f0f0f, v32
	v_dot4_i32_i8 v9, v32, v9, 0
	v_lshrrev_b32_e32 v32, 4, v122
	;; [unrolled: 3-line block ×8, first 2 shown]
	v_bfe_u32 v7, v27, 16, 8
	v_and_b32_e32 v6, 0xf0f0f0f, v6
	v_mul_lo_u32 v7, v113, v7
	v_dot4_i32_i8 v5, v6, v8, v5
	v_mul_lo_u32 v8, v115, v112
	v_fma_mix_f32 v6, v3, v114, 0 op_sel:[1,0,0] op_sel_hi:[1,0,0]
	v_cvt_f32_i32_e32 v7, v7
	v_fma_mix_f32 v6, v4, v28, v6 op_sel:[1,0,0] op_sel_hi:[1,0,0]
	v_cvt_f32_i32_e32 v8, v8
	v_mul_f32_e32 v6, v6, v101
	v_fma_mix_f32 v7, v3, v7, 0 op_sel_hi:[1,0,0]
	v_cvt_f32_ubyte2_e32 v16, v26
	v_fma_mix_f32 v7, v4, v8, v7 op_sel_hi:[1,0,0]
	v_bfe_u32 v8, v29, 16, 8
	v_mul_lo_u32 v8, v116, v8
	v_fma_mix_f32 v6, v7, v97, -v6 op_sel_hi:[0,1,0]
	v_fma_mix_f32 v7, v3, v117, 0 op_sel:[1,0,0] op_sel_hi:[1,0,0]
	v_fma_mix_f32 v1, v4, v1, v7 op_sel:[1,0,0] op_sel_hi:[1,0,0]
	v_cvt_f32_i32_e32 v8, v8
	v_mul_f32_e32 v1, v1, v102
	v_add_f32_e32 v6, v111, v6
	v_fma_mix_f32 v8, v3, v8, 0 op_sel_hi:[1,0,0]
	v_fma_mix_f32 v2, v4, v2, v8 op_sel_hi:[1,0,0]
	v_fma_mix_f32 v1, v2, v98, -v1 op_sel_hi:[0,1,0]
	v_bfe_u32 v2, v31, 16, 8
	v_mul_lo_u32 v2, v118, v2
	v_mul_lo_u32 v8, v120, v108
	v_add_f32_e32 v7, v109, v1
	v_fma_mix_f32 v1, v3, v119, 0 op_sel:[1,0,0] op_sel_hi:[1,0,0]
	v_cvt_f32_i32_e32 v2, v2
	v_cvt_f32_i32_e32 v8, v8
	v_fma_mix_f32 v1, v4, v30, v1 op_sel:[1,0,0] op_sel_hi:[1,0,0]
	v_mul_f32_e32 v1, v1, v103
	v_fma_mix_f32 v2, v3, v2, 0 op_sel_hi:[1,0,0]
	v_fma_mix_f32 v2, v4, v8, v2 op_sel_hi:[1,0,0]
	v_fma_mix_f32 v1, v2, v99, -v1 op_sel_hi:[0,1,0]
	v_add_f32_e32 v8, v107, v1
	v_bfe_u32 v1, v25, 16, 8
	v_mul_lo_u32 v1, v15, v1
	v_mul_lo_u32 v2, v5, v106
	v_cvt_f32_i32_e32 v1, v1
	v_cvt_f32_i32_e32 v2, v2
	v_fma_mix_f32 v1, v3, v1, 0 op_sel_hi:[1,0,0]
	v_fma_mix_f32 v3, v3, v16, 0 op_sel:[1,0,0] op_sel_hi:[1,0,0]
	v_fma_mix_f32 v1, v4, v2, v1 op_sel_hi:[1,0,0]
	v_cvt_f32_ubyte3_e32 v2, v26
	v_fma_mix_f32 v2, v4, v2, v3 op_sel:[1,0,0] op_sel_hi:[1,0,0]
	v_mul_f32_e32 v2, v2, v104
	v_fma_mix_f32 v1, v1, v100, -v2 op_sel_hi:[0,1,0]
	v_add_f32_e32 v5, v105, v1
	s_cbranch_scc1 .LBB211_5
; %bb.12:                               ;   in Loop: Header=BB211_6 Depth=1
	v_cmp_gt_i32_e32 vcc, s9, v44
	s_and_b64 s[20:21], s[2:3], vcc
	s_and_saveexec_b64 s[4:5], s[20:21]
	s_cbranch_execz .LBB211_14
; %bb.13:                               ;   in Loop: Header=BB211_6 Depth=1
	v_add_u32_e32 v1, v54, v44
	v_mad_i64_i32 v[1:2], s[20:21], v1, 36, v[21:22]
	global_load_dword v1, v[1:2], off offset:4
	s_waitcnt vmcnt(0)
	ds_write_b32 v52, v1
.LBB211_14:                             ;   in Loop: Header=BB211_6 Depth=1
	s_or_b64 exec, exec, s[4:5]
	s_and_saveexec_b64 s[4:5], s[0:1]
	s_cbranch_execz .LBB211_4
; %bb.15:                               ;   in Loop: Header=BB211_6 Depth=1
	v_add_u32_e32 v1, 4, v96
	v_cmp_gt_i32_e32 vcc, s9, v1
	s_and_b64 s[20:21], s[2:3], vcc
	s_and_b64 exec, exec, s[20:21]
	s_cbranch_execz .LBB211_4
; %bb.16:                               ;   in Loop: Header=BB211_6 Depth=1
	v_ashrrev_i32_e32 v1, 31, v96
	v_ashrrev_i32_e32 v2, 31, v54
	v_add_co_u32_e32 v3, vcc, v54, v96
	v_addc_co_u32_e32 v4, vcc, v2, v1, vcc
	v_mad_u64_u32 v[1:2], s[20:21], v3, 36, s[14:15]
	v_mad_i32_i24 v2, v4, 36, v2
	global_load_dword v1, v[1:2], off offset:144
	v_add_u32_e32 v2, v40, v53
	s_waitcnt vmcnt(0)
	ds_write_b32 v2, v1
	s_branch .LBB211_4
.LBB211_17:
	s_mul_i32 s0, s11, s8
	s_waitcnt vmcnt(0)
	v_cmp_gt_i32_e32 vcc, s0, v33
	s_and_saveexec_b64 s[0:1], vcc
	s_cbranch_execz .LBB211_26
; %bb.18:
	v_mul_lo_u32 v1, v33, s10
	v_add_u32_e32 v0, s22, v0
	v_cmp_gt_u32_e32 vcc, s10, v0
	s_and_saveexec_b64 s[0:1], vcc
	s_cbranch_execz .LBB211_20
; %bb.19:
	v_add_u32_e32 v2, v1, v0
	v_mov_b32_e32 v3, 0
	v_lshlrev_b64 v[2:3], 1, v[2:3]
	v_cvt_f16_f32_e32 v6, v6
	v_mov_b32_e32 v4, s17
	v_add_co_u32_e32 v2, vcc, s16, v2
	v_addc_co_u32_e32 v3, vcc, v4, v3, vcc
	global_store_short v[2:3], v6, off
.LBB211_20:
	s_or_b64 exec, exec, s[0:1]
	v_add_u32_e32 v2, 32, v0
	v_cmp_gt_u32_e32 vcc, s10, v2
	s_and_saveexec_b64 s[0:1], vcc
	s_cbranch_execz .LBB211_22
; %bb.21:
	v_add_u32_e32 v2, v1, v2
	v_mov_b32_e32 v3, 0
	v_lshlrev_b64 v[2:3], 1, v[2:3]
	v_cvt_f16_f32_e32 v6, v7
	v_mov_b32_e32 v4, s17
	v_add_co_u32_e32 v2, vcc, s16, v2
	v_addc_co_u32_e32 v3, vcc, v4, v3, vcc
	global_store_short v[2:3], v6, off
.LBB211_22:
	s_or_b64 exec, exec, s[0:1]
	;; [unrolled: 15-line block ×3, first 2 shown]
	v_add_u32_e32 v0, 0x60, v0
	v_cmp_gt_u32_e32 vcc, s10, v0
	s_and_b64 exec, exec, vcc
	s_cbranch_execz .LBB211_26
; %bb.25:
	v_add_u32_e32 v0, v1, v0
	v_mov_b32_e32 v1, 0
	v_lshlrev_b64 v[0:1], 1, v[0:1]
	v_cvt_f16_f32_e32 v3, v5
	v_mov_b32_e32 v2, s17
	v_add_co_u32_e32 v0, vcc, s16, v0
	v_addc_co_u32_e32 v1, vcc, v2, v1, vcc
	global_store_short v[0:1], v3, off
.LBB211_26:
	s_endpgm
	.section	.rodata,"a",@progbits
	.p2align	6, 0x0
	.amdhsa_kernel _ZL8moe_q4_KIN3c104HalfELb0EEvPKvS3_PT_PKiS7_S7_iiiiiii
		.amdhsa_group_segment_fixed_size 20688
		.amdhsa_private_segment_fixed_size 0
		.amdhsa_kernarg_size 76
		.amdhsa_user_sgpr_count 6
		.amdhsa_user_sgpr_private_segment_buffer 1
		.amdhsa_user_sgpr_dispatch_ptr 0
		.amdhsa_user_sgpr_queue_ptr 0
		.amdhsa_user_sgpr_kernarg_segment_ptr 1
		.amdhsa_user_sgpr_dispatch_id 0
		.amdhsa_user_sgpr_flat_scratch_init 0
		.amdhsa_user_sgpr_private_segment_size 0
		.amdhsa_uses_dynamic_stack 0
		.amdhsa_system_sgpr_private_segment_wavefront_offset 0
		.amdhsa_system_sgpr_workgroup_id_x 1
		.amdhsa_system_sgpr_workgroup_id_y 1
		.amdhsa_system_sgpr_workgroup_id_z 0
		.amdhsa_system_sgpr_workgroup_info 0
		.amdhsa_system_vgpr_workitem_id 1
		.amdhsa_next_free_vgpr 128
		.amdhsa_next_free_sgpr 98
		.amdhsa_reserve_vcc 1
		.amdhsa_reserve_flat_scratch 0
		.amdhsa_float_round_mode_32 0
		.amdhsa_float_round_mode_16_64 0
		.amdhsa_float_denorm_mode_32 3
		.amdhsa_float_denorm_mode_16_64 3
		.amdhsa_dx10_clamp 1
		.amdhsa_ieee_mode 1
		.amdhsa_fp16_overflow 0
		.amdhsa_exception_fp_ieee_invalid_op 0
		.amdhsa_exception_fp_denorm_src 0
		.amdhsa_exception_fp_ieee_div_zero 0
		.amdhsa_exception_fp_ieee_overflow 0
		.amdhsa_exception_fp_ieee_underflow 0
		.amdhsa_exception_fp_ieee_inexact 0
		.amdhsa_exception_int_div_zero 0
	.end_amdhsa_kernel
	.section	.text._ZL8moe_q4_KIN3c104HalfELb0EEvPKvS3_PT_PKiS7_S7_iiiiiii,"axG",@progbits,_ZL8moe_q4_KIN3c104HalfELb0EEvPKvS3_PT_PKiS7_S7_iiiiiii,comdat
.Lfunc_end211:
	.size	_ZL8moe_q4_KIN3c104HalfELb0EEvPKvS3_PT_PKiS7_S7_iiiiiii, .Lfunc_end211-_ZL8moe_q4_KIN3c104HalfELb0EEvPKvS3_PT_PKiS7_S7_iiiiiii
                                        ; -- End function
	.set _ZL8moe_q4_KIN3c104HalfELb0EEvPKvS3_PT_PKiS7_S7_iiiiiii.num_vgpr, 128
	.set _ZL8moe_q4_KIN3c104HalfELb0EEvPKvS3_PT_PKiS7_S7_iiiiiii.num_agpr, 0
	.set _ZL8moe_q4_KIN3c104HalfELb0EEvPKvS3_PT_PKiS7_S7_iiiiiii.numbered_sgpr, 26
	.set _ZL8moe_q4_KIN3c104HalfELb0EEvPKvS3_PT_PKiS7_S7_iiiiiii.num_named_barrier, 0
	.set _ZL8moe_q4_KIN3c104HalfELb0EEvPKvS3_PT_PKiS7_S7_iiiiiii.private_seg_size, 0
	.set _ZL8moe_q4_KIN3c104HalfELb0EEvPKvS3_PT_PKiS7_S7_iiiiiii.uses_vcc, 1
	.set _ZL8moe_q4_KIN3c104HalfELb0EEvPKvS3_PT_PKiS7_S7_iiiiiii.uses_flat_scratch, 0
	.set _ZL8moe_q4_KIN3c104HalfELb0EEvPKvS3_PT_PKiS7_S7_iiiiiii.has_dyn_sized_stack, 0
	.set _ZL8moe_q4_KIN3c104HalfELb0EEvPKvS3_PT_PKiS7_S7_iiiiiii.has_recursion, 0
	.set _ZL8moe_q4_KIN3c104HalfELb0EEvPKvS3_PT_PKiS7_S7_iiiiiii.has_indirect_call, 0
	.section	.AMDGPU.csdata,"",@progbits
; Kernel info:
; codeLenInByte = 11220
; TotalNumSgprs: 30
; NumVgprs: 128
; ScratchSize: 0
; MemoryBound: 0
; FloatMode: 240
; IeeeMode: 1
; LDSByteSize: 20688 bytes/workgroup (compile time only)
; SGPRBlocks: 12
; VGPRBlocks: 31
; NumSGPRsForWavesPerEU: 102
; NumVGPRsForWavesPerEU: 128
; Occupancy: 2
; WaveLimiterHint : 1
; COMPUTE_PGM_RSRC2:SCRATCH_EN: 0
; COMPUTE_PGM_RSRC2:USER_SGPR: 6
; COMPUTE_PGM_RSRC2:TRAP_HANDLER: 0
; COMPUTE_PGM_RSRC2:TGID_X_EN: 1
; COMPUTE_PGM_RSRC2:TGID_Y_EN: 1
; COMPUTE_PGM_RSRC2:TGID_Z_EN: 0
; COMPUTE_PGM_RSRC2:TIDIG_COMP_CNT: 1
	.section	.text._ZL8moe_q4_KIN3c104HalfELb1EEvPKvS3_PT_PKiS7_S7_iiiiiii,"axG",@progbits,_ZL8moe_q4_KIN3c104HalfELb1EEvPKvS3_PT_PKiS7_S7_iiiiiii,comdat
	.globl	_ZL8moe_q4_KIN3c104HalfELb1EEvPKvS3_PT_PKiS7_S7_iiiiiii ; -- Begin function _ZL8moe_q4_KIN3c104HalfELb1EEvPKvS3_PT_PKiS7_S7_iiiiiii
	.p2align	8
	.type	_ZL8moe_q4_KIN3c104HalfELb1EEvPKvS3_PT_PKiS7_S7_iiiiiii,@function
_ZL8moe_q4_KIN3c104HalfELb1EEvPKvS3_PT_PKiS7_S7_iiiiiii: ; @_ZL8moe_q4_KIN3c104HalfELb1EEvPKvS3_PT_PKiS7_S7_iiiiiii
; %bb.0:
	s_mov_b64 s[30:31], s[2:3]
	s_mov_b64 s[28:29], s[0:1]
	s_load_dwordx4 s[0:3], s[4:5], 0x18
	s_add_u32 s28, s28, s8
	s_mov_b32 s8, s7
	s_mov_b32 s9, 0
	s_addc_u32 s29, s29, 0
	s_lshl_b64 s[10:11], s[8:9], 2
	s_waitcnt lgkmcnt(0)
	s_add_u32 s2, s2, s10
	s_addc_u32 s3, s3, s11
	s_load_dword s2, s[2:3], 0x0
	s_waitcnt lgkmcnt(0)
	s_cmpk_gt_u32 s2, 0xff
	s_cbranch_scc1 .LBB212_27
; %bb.1:
	s_load_dwordx2 s[10:11], s[4:5], 0x28
	s_lshl_b32 s3, s8, 3
	s_waitcnt lgkmcnt(0)
	s_load_dword s7, s[10:11], 0x0
	s_waitcnt lgkmcnt(0)
	s_cmp_gt_u32 s3, s7
	s_cbranch_scc1 .LBB212_27
; %bb.2:
	v_add_u32_e32 v4, s3, v1
	v_mov_b32_e32 v5, 0
	v_lshlrev_b64 v[2:3], 2, v[4:5]
	v_mov_b32_e32 v111, v0
	v_mov_b32_e32 v0, s1
	v_add_co_u32_e32 v2, vcc, s0, v2
	v_addc_co_u32_e32 v3, vcc, v0, v3, vcc
	global_load_dword v45, v[2:3], off
	s_load_dwordx8 s[8:15], s[4:5], 0x30
	s_load_dwordx2 s[16:17], s[4:5], 0x10
	s_waitcnt lgkmcnt(0)
	s_lshl_b32 s15, s6, 7
	v_mov_b32_e32 v8, v5
	v_mov_b32_e32 v7, v5
	s_cmpk_lt_i32 s9, 0x100
	v_mov_b32_e32 v6, v5
	s_cbranch_scc1 .LBB212_18
; %bb.3:
	s_ashr_i32 s0, s9, 31
	s_lshr_b32 s0, s0, 24
	s_add_i32 s0, s9, s0
	s_ashr_i32 s22, s0, 8
	s_not_b32 s0, s15
	s_add_i32 s10, s10, s0
	v_lshlrev_b32_e32 v2, 2, v111
	v_min_i32_e32 v0, s10, v1
	s_movk_i32 s0, 0x84
	v_mad_u64_u32 v[3:4], s[18:19], v0, s0, v[2:3]
	buffer_store_dword v3, off, s[28:31], 0 ; 4-byte Folded Spill
	s_nop 0
	buffer_store_dword v4, off, s[28:31], 0 offset:4 ; 4-byte Folded Spill
	v_mul_lo_u32 v22, v0, s22
	v_add_u32_e32 v0, 8, v1
	v_min_i32_e32 v0, s10, v0
	s_movk_i32 s1, 0x4e40
	v_mul_lo_u32 v40, v0, s22
	v_and_b32_e32 v15, 3, v111
	v_lshlrev_b32_e32 v12, 2, v15
	v_lshrrev_b32_e32 v51, 3, v111
	v_mov_b32_e32 v41, 0x4200
	v_lshrrev_b32_e32 v21, 5, v111
	v_add_u32_e32 v35, 64, v111
	v_lshrrev_b32_e32 v33, 3, v35
	v_lshl_add_u32 v35, v35, 2, v33
	v_lshl_add_u32 v35, v35, 2, v41
	s_mul_i32 s3, s22, s15
	s_mul_i32 s20, s3, 0x90
	s_mul_hi_i32 s21, s3, 0x90
	s_movk_i32 s23, 0x90
	s_load_dwordx4 s[4:7], s[4:5], 0x0
	v_and_b32_e32 v44, 28, v2
	v_and_b32_e32 v5, 0x7c, v2
	s_mul_i32 s8, s2, s8
	v_lshlrev_b32_e32 v68, 4, v1
	v_mul_u32_u24_e32 v110, 0x84, v111
	v_mad_u64_u32 v[3:4], s[18:19], v0, s0, v[2:3]
	buffer_store_dword v3, off, s[28:31], 0 offset:8 ; 4-byte Folded Spill
	s_nop 0
	buffer_store_dword v4, off, s[28:31], 0 offset:12 ; 4-byte Folded Spill
	v_add_u32_e32 v3, 24, v1
	v_min_i32_e32 v8, s10, v3
	v_add_u32_e32 v3, 32, v1
	v_min_i32_e32 v10, s10, v3
	;; [unrolled: 2-line block ×13, first 2 shown]
	v_lshl_add_u32 v3, v1, 5, v111
	v_and_b32_e32 v3, 0x7f, v3
	v_min_i32_e32 v19, s10, v3
	v_ashrrev_i32_e32 v3, 31, v19
	v_lshrrev_b32_e32 v3, 27, v3
	v_add_u32_e32 v3, v19, v3
	v_ashrrev_i32_e32 v3, 5, v3
	v_lshlrev_b32_e32 v3, 2, v3
	v_lshlrev_b32_e32 v4, 2, v19
	v_add3_u32 v50, v3, v4, s1
	v_lshrrev_b32_e32 v3, 2, v111
	v_lshl_add_u32 v3, v1, 3, v3
	v_and_b32_e32 v3, 0x7f, v3
	v_min_i32_e32 v6, s10, v3
	v_ashrrev_i32_e32 v4, 31, v6
	v_lshrrev_b32_e32 v4, 29, v4
	v_add_u32_e32 v4, v6, v4
	v_add_u32_e32 v0, 16, v1
	v_ashrrev_i32_e32 v4, 3, v4
	v_xor_b32_e32 v3, 64, v3
	v_min_i32_e32 v0, s10, v0
	v_lshlrev_b32_e32 v4, 2, v4
	s_movk_i32 s18, 0x4200
	v_min_i32_e32 v9, s10, v3
	s_abs_i32 s10, s14
	v_add3_u32 v7, v4, v12, s18
	v_ashrrev_i32_e32 v3, 31, v9
	v_cvt_f32_u32_e32 v4, s10
	v_lshrrev_b32_e32 v3, 29, v3
	v_add_u32_e32 v3, v9, v3
	v_ashrrev_i32_e32 v3, 3, v3
	v_lshlrev_b32_e32 v3, 2, v3
	v_rcp_iflag_f32_e32 v4, v4
	v_add3_u32 v12, v3, v12, s18
	v_add_u32_e32 v3, v51, v2
	v_lshl_add_u32 v3, v3, 2, v41
	buffer_store_dword v3, off, s[28:31], 0 offset:16 ; 4-byte Folded Spill
	v_lshlrev_b32_e32 v3, 2, v21
	v_add3_u32 v3, v2, v3, s1
	v_mul_f32_e32 v4, 0x4f7ffffe, v4
	buffer_store_dword v3, off, s[28:31], 0 offset:20 ; 4-byte Folded Spill
	v_add_u32_e32 v3, 32, v111
	v_cvt_u32_f32_e32 v4, v4
	v_lshrrev_b32_e32 v54, 3, v3
	v_lshl_add_u32 v3, v3, 2, v54
	v_lshl_add_u32 v3, v3, 2, v41
	s_sub_i32 s18, 0, s10
	buffer_store_dword v3, off, s[28:31], 0 offset:24 ; 4-byte Folded Spill
	v_mul_lo_u32 v3, s18, v4
	buffer_store_dword v35, off, s[28:31], 0 offset:28 ; 4-byte Folded Spill
	s_waitcnt vmcnt(8)
	v_sub_u32_e32 v35, 0, v45
	v_max_i32_e32 v42, v45, v35
	v_mul_hi_u32 v3, v4, v3
	v_mul_lo_u32 v46, v0, s22
	v_mul_lo_u32 v48, v8, s22
	v_mul_lo_u32 v52, v10, s22
	v_add_u32_e32 v3, v4, v3
	v_mul_hi_u32 v3, v42, v3
	v_add_u32_e32 v4, 0x60, v111
	v_lshrrev_b32_e32 v35, 3, v4
	v_lshl_add_u32 v4, v4, 2, v35
	v_mul_lo_u32 v43, v3, s10
	v_lshl_add_u32 v4, v4, 2, v41
	buffer_store_dword v4, off, s[28:31], 0 offset:32 ; 4-byte Folded Spill
	buffer_store_dword v45, off, s[28:31], 0 offset:68 ; 4-byte Folded Spill
	v_xor_b32_e32 v4, s14, v45
	v_ashrrev_i32_e32 v41, 31, v4
	v_sub_u32_e32 v4, v42, v43
	v_add_u32_e32 v42, 1, v3
	v_cmp_le_u32_e32 vcc, s10, v4
	v_cndmask_b32_e32 v3, v3, v42, vcc
	v_subrev_u32_e32 v42, s10, v4
	v_cndmask_b32_e32 v4, v4, v42, vcc
	v_add_u32_e32 v42, 1, v3
	v_cmp_le_u32_e32 vcc, s10, v4
	v_cndmask_b32_e32 v3, v3, v42, vcc
	v_xor_b32_e32 v42, v3, v41
	v_mov_b32_e32 v3, s20
	v_mov_b32_e32 v4, s21
	v_mad_u64_u32 v[3:4], s[18:19], v21, s23, v[3:4]
	v_sub_u32_e32 v41, v42, v41
	s_waitcnt lgkmcnt(0)
	v_mov_b32_e32 v21, s7
	v_mad_i64_i32 v[42:43], s[18:19], v22, s23, v[3:4]
	v_add_co_u32_e32 v44, vcc, s6, v44
	v_addc_co_u32_e32 v45, vcc, 0, v21, vcc
	buffer_store_dword v44, off, s[28:31], 0 offset:48 ; 4-byte Folded Spill
	s_nop 0
	buffer_store_dword v45, off, s[28:31], 0 offset:52 ; 4-byte Folded Spill
	v_add_co_u32_e32 v21, vcc, v42, v5
	v_mad_i64_i32 v[44:45], s[18:19], v40, s23, v[3:4]
	v_addc_co_u32_e32 v22, vcc, 0, v43, vcc
	v_mov_b32_e32 v43, s5
	v_add_co_u32_e32 v42, vcc, s4, v21
	v_addc_co_u32_e32 v43, vcc, v43, v22, vcc
	v_add_co_u32_e32 v21, vcc, v44, v5
	v_mad_i64_i32 v[46:47], s[18:19], v46, s23, v[3:4]
	v_addc_co_u32_e32 v22, vcc, 0, v45, vcc
	v_mov_b32_e32 v40, s5
	v_add_co_u32_e32 v44, vcc, s4, v21
	v_addc_co_u32_e32 v45, vcc, v40, v22, vcc
	v_add_co_u32_e32 v21, vcc, v46, v5
	v_mad_i64_i32 v[48:49], s[18:19], v48, s23, v[3:4]
	v_addc_co_u32_e32 v22, vcc, 0, v47, vcc
	v_add_co_u32_e32 v46, vcc, s4, v21
	v_addc_co_u32_e32 v47, vcc, v40, v22, vcc
	v_mul_lo_u32 v55, v11, s22
	v_add_co_u32_e32 v21, vcc, v48, v5
	v_mad_i64_i32 v[52:53], s[18:19], v52, s23, v[3:4]
	v_addc_co_u32_e32 v22, vcc, 0, v49, vcc
	v_add_co_u32_e32 v48, vcc, s4, v21
	v_addc_co_u32_e32 v49, vcc, v40, v22, vcc
	v_add_co_u32_e32 v21, vcc, v52, v5
	v_mad_i64_i32 v[55:56], s[18:19], v55, s23, v[3:4]
	v_mul_lo_u32 v37, v13, s22
	v_addc_co_u32_e32 v22, vcc, 0, v53, vcc
	v_add_co_u32_e32 v52, vcc, s4, v21
	v_addc_co_u32_e32 v53, vcc, v40, v22, vcc
	v_add_co_u32_e32 v21, vcc, v55, v5
	v_mul_lo_u32 v36, v14, s22
	v_addc_co_u32_e32 v22, vcc, 0, v56, vcc
	v_mad_i64_i32 v[55:56], s[18:19], v37, s23, v[3:4]
	v_add_co_u32_e32 v61, vcc, s4, v21
	v_addc_co_u32_e32 v67, vcc, v40, v22, vcc
	v_add_co_u32_e32 v21, vcc, v55, v5
	v_mad_i64_i32 v[36:37], s[18:19], v36, s23, v[3:4]
	v_mul_lo_u32 v34, v16, s22
	v_addc_co_u32_e32 v22, vcc, 0, v56, vcc
	v_add_co_u32_e32 v82, vcc, s4, v21
	v_addc_co_u32_e32 v83, vcc, v40, v22, vcc
	v_add_co_u32_e32 v21, vcc, v36, v5
	v_addc_co_u32_e32 v22, vcc, 0, v37, vcc
	v_mad_i64_i32 v[36:37], s[18:19], v34, s23, v[3:4]
	v_mul_lo_u32 v32, v17, s22
	v_add_co_u32_e32 v21, vcc, s4, v21
	v_addc_co_u32_e32 v22, vcc, v40, v22, vcc
	v_add_co_u32_e32 v34, vcc, v36, v5
	v_mul_lo_u32 v31, v18, s22
	v_addc_co_u32_e32 v40, vcc, 0, v37, vcc
	v_mad_i64_i32 v[36:37], s[18:19], v32, s23, v[3:4]
	v_mov_b32_e32 v55, s5
	v_add_co_u32_e32 v56, vcc, s4, v34
	v_addc_co_u32_e32 v55, vcc, v55, v40, vcc
	v_mul_lo_u32 v30, v20, s22
	v_add_co_u32_e32 v34, vcc, v36, v5
	v_mad_i64_i32 v[31:32], s[18:19], v31, s23, v[3:4]
	v_addc_co_u32_e32 v36, vcc, 0, v37, vcc
	v_mov_b32_e32 v37, s5
	v_add_co_u32_e32 v57, vcc, s4, v34
	v_addc_co_u32_e32 v58, vcc, v37, v36, vcc
	v_mul_lo_u32 v29, v23, s22
	v_add_co_u32_e32 v34, vcc, v31, v5
	v_mad_i64_i32 v[30:31], s[18:19], v30, s23, v[3:4]
	v_addc_co_u32_e32 v32, vcc, 0, v32, vcc
	;; [unrolled: 7-line block ×4, first 2 shown]
	v_mul_lo_u32 v26, v9, s22
	v_mov_b32_e32 v32, s5
	v_add_co_u32_e32 v94, vcc, s4, v31
	v_addc_co_u32_e32 v95, vcc, v32, v30, vcc
	v_add_co_u32_e32 v31, vcc, v28, v5
	v_mad_i64_i32 v[27:28], s[18:19], v27, s23, 0
	v_addc_co_u32_e32 v32, vcc, 0, v29, vcc
	v_mad_i64_i32 v[29:30], s[18:19], v26, s23, 0
	v_mul_lo_u32 v25, v38, s22
	v_mov_b32_e32 v34, s21
	v_add_co_u32_e32 v63, vcc, s20, v27
	v_addc_co_u32_e32 v64, vcc, v34, v28, vcc
	v_mov_b32_e32 v26, s21
	v_add_co_u32_e32 v65, vcc, s20, v29
	v_addc_co_u32_e32 v66, vcc, v26, v30, vcc
	v_mad_i64_i32 v[25:26], s[18:19], v25, s23, v[3:4]
	v_mov_b32_e32 v27, s5
	v_add_co_u32_e32 v96, vcc, s4, v31
	v_addc_co_u32_e32 v97, vcc, v27, v32, vcc
	v_add_co_u32_e32 v40, vcc, v25, v5
	v_and_b32_e32 v25, 60, v54
	v_add3_u32 v25, v2, v25, s1
	buffer_store_dword v25, off, s[28:31], 0 offset:36 ; 4-byte Folded Spill
	v_and_b32_e32 v25, 60, v33
	v_add3_u32 v25, v2, v25, s1
	buffer_store_dword v25, off, s[28:31], 0 offset:40 ; 4-byte Folded Spill
	v_and_b32_e32 v25, 60, v35
	v_add3_u32 v25, v2, v25, s1
	v_addc_co_u32_e32 v62, vcc, 0, v26, vcc
	buffer_store_dword v25, off, s[28:31], 0 offset:44 ; 4-byte Folded Spill
	v_mad_u64_u32 v[25:26], s[18:19], v0, s0, v[2:3]
	v_mad_u64_u32 v[26:27], s[18:19], v8, s0, v[2:3]
	v_mad_u64_u32 v[27:28], s[18:19], v10, s0, v[2:3]
	v_mad_u64_u32 v[28:29], s[18:19], v11, s0, v[2:3]
	v_mad_u64_u32 v[29:30], s[18:19], v13, s0, v[2:3]
	v_mad_u64_u32 v[30:31], s[18:19], v14, s0, v[2:3]
	v_mad_u64_u32 v[31:32], s[18:19], v16, s0, v[2:3]
	v_mad_u64_u32 v[32:33], s[18:19], v17, s0, v[2:3]
	v_mad_u64_u32 v[33:34], s[18:19], v18, s0, v[2:3]
	v_add_u32_e32 v8, 0x5050, v2
	v_mad_u64_u32 v[34:35], s[18:19], v20, s0, v[2:3]
	buffer_store_dword v8, off, s[28:31], 0 offset:60 ; 4-byte Folded Spill
	v_mul_lo_u32 v8, v39, s22
	v_mad_u64_u32 v[35:36], s[18:19], v23, s0, v[2:3]
	v_mad_u64_u32 v[36:37], s[18:19], v24, s0, v[2:3]
	;; [unrolled: 1-line block ×3, first 2 shown]
	v_and_b32_e32 v0, 4, v2
	v_mad_u64_u32 v[38:39], s[0:1], v39, s0, v[2:3]
	v_mad_i64_i32 v[2:3], s[0:1], v8, s23, v[3:4]
	s_ashr_i32 s0, s12, 31
	v_mov_b32_e32 v4, s5
	v_add_co_u32_e32 v8, vcc, s4, v40
	s_lshr_b32 s0, s0, 27
	v_addc_co_u32_e32 v4, vcc, v4, v62, vcc
	s_add_i32 s0, s12, s0
	v_add_co_u32_e32 v2, vcc, v2, v5
	s_ashr_i32 s10, s0, 5
	v_cmp_gt_u32_e64 s[0:1], 4, v111
	v_cmp_gt_i32_e64 s[2:3], s11, v41
	v_addc_co_u32_e32 v3, vcc, 0, v3, vcc
	s_ashr_i32 s12, s8, 31
	v_mul_lo_u32 v11, v19, s22
	s_and_b64 s[18:19], s[0:1], s[2:3]
	v_mov_b32_e32 v5, s5
	v_add_co_u32_e32 v10, vcc, s4, v2
	s_add_u32 s20, s4, s20
	v_addc_co_u32_e32 v5, vcc, v5, v3, vcc
	s_addc_u32 s21, s5, s21
	v_mov_b32_e32 v2, s20
	v_mov_b32_e32 v3, s21
	v_mad_i64_i32 v[39:40], s[20:21], v11, s23, v[2:3]
	v_add_u32_e32 v2, 0xfe, v15
	v_and_b32_e32 v2, 0xff, v2
	v_cmp_gt_u32_e32 vcc, 2, v15
	v_cndmask_b32_e32 v2, v2, v15, vcc
	v_cmp_lt_u32_e32 vcc, 1, v15
	v_cndmask_b32_e32 v62, 0, v0, vcc
	v_cndmask_b32_e64 v0, 0, 1, vcc
	v_lshlrev_b32_e32 v0, 2, v0
	v_or_b32_e32 v3, v63, v0
	v_mov_b32_e32 v11, s5
	v_add_co_u32_e32 v3, vcc, s4, v3
	v_addc_co_u32_e32 v11, vcc, v11, v64, vcc
	v_cmp_ne_u32_e32 vcc, 0, v15
	v_addc_co_u32_e32 v13, vcc, 0, v2, vcc
	v_lshlrev_b32_e32 v13, 2, v13
	v_add_co_u32_e32 v14, vcc, v63, v13
	v_addc_co_u32_e32 v15, vcc, 0, v64, vcc
	v_mov_b32_e32 v16, s5
	v_add_co_u32_e32 v14, vcc, s4, v14
	v_addc_co_u32_e32 v15, vcc, v16, v15, vcc
	v_or_b32_e32 v0, v65, v0
	v_add_co_u32_e32 v0, vcc, s4, v0
	v_addc_co_u32_e32 v16, vcc, v16, v66, vcc
	v_add_co_u32_e32 v13, vcc, v65, v13
	v_addc_co_u32_e32 v17, vcc, 0, v66, vcc
	v_mov_b32_e32 v18, s5
	v_add_co_u32_e32 v13, vcc, s4, v13
	v_addc_co_u32_e32 v17, vcc, v18, v17, vcc
	v_add_co_u32_e32 v70, vcc, 16, v42
	v_addc_co_u32_e32 v71, vcc, 0, v43, vcc
	;; [unrolled: 2-line block ×19, first 2 shown]
	v_mul_lo_u32 v69, v41, s10
	v_add_co_u32_e32 v106, vcc, 4, v0
	v_lshlrev_b32_e32 v6, 4, v6
	v_lshlrev_b32_e32 v65, 1, v2
	v_mov_b32_e32 v2, 0x4a40
	v_addc_co_u32_e32 v107, vcc, 0, v16, vcc
	v_add_u32_e32 v63, v7, v6
	v_lshlrev_b32_e32 v6, 4, v9
	v_lshl_add_u32 v66, v1, 7, v2
	v_and_b32_e32 v2, 31, v111
	v_add_co_u32_e32 v108, vcc, 4, v13
	v_add_u32_e32 v64, v12, v6
	v_lshl_add_u32 v2, v2, 2, v66
	v_addc_co_u32_e32 v109, vcc, 0, v17, vcc
	s_movk_i32 s20, 0x80
	s_mov_b32 s21, 0x30303030
	v_mov_b32_e32 v6, 0
	v_mov_b32_e32 v7, 0
	v_mov_b32_e32 v8, 0
	v_mov_b32_e32 v5, 0
	buffer_store_dword v2, off, s[28:31], 0 offset:56 ; 4-byte Folded Spill
	buffer_store_dword v111, off, s[28:31], 0 offset:64 ; 4-byte Folded Spill
	s_branch .LBB212_6
.LBB212_4:                              ;   in Loop: Header=BB212_6 Depth=1
	s_or_b64 exec, exec, s[4:5]
	s_waitcnt lgkmcnt(0)
	s_barrier
	ds_read_b128 v[0:3], v66
	ds_read_b128 v[55:58], v66 offset:16
	ds_read_b128 v[119:122], v66 offset:32
	;; [unrolled: 1-line block ×3, first 2 shown]
	buffer_load_dword v4, off, s[28:31], 0 offset:20 ; 4-byte Folded Reload
	s_waitcnt vmcnt(0)
	ds_read_b32 v112, v4
	ds_read2_b32 v[11:12], v110 offset0:16 offset1:17
	ds_read2_b32 v[13:14], v110 offset0:18 offset1:19
	;; [unrolled: 1-line block ×4, first 2 shown]
	s_waitcnt lgkmcnt(4)
	v_cvt_f32_f16_sdwa v116, v112 dst_sel:DWORD dst_unused:UNUSED_PAD src0_sel:WORD_1
	s_waitcnt lgkmcnt(3)
	v_and_b32_e32 v4, 0xf0f0f0f, v11
	v_dot4_i32_i8 v4, v4, v0, 0
	v_and_b32_e32 v9, 0xf0f0f0f, v12
	v_dot4_i32_i8 v4, v9, v1, v4
	s_waitcnt lgkmcnt(2)
	v_and_b32_e32 v9, 0xf0f0f0f, v13
	v_dot4_i32_i8 v4, v9, v2, v4
	v_and_b32_e32 v9, 0xf0f0f0f, v14
	v_dot4_i32_i8 v4, v9, v3, v4
	;; [unrolled: 5-line block ×4, first 2 shown]
	buffer_load_dword v4, off, s[28:31], 0 offset:16 ; 4-byte Folded Reload
	s_waitcnt vmcnt(0)
	ds_read2_b32 v[43:44], v4 offset0:1 offset1:3
	v_lshrrev_b32_e32 v4, 4, v11
	v_and_b32_e32 v4, 0xf0f0f0f, v4
	v_lshrrev_b32_e32 v11, 4, v12
	v_dot4_i32_i8 v4, v4, v119, 0
	v_and_b32_e32 v11, 0xf0f0f0f, v11
	v_dot4_i32_i8 v4, v11, v120, v4
	v_lshrrev_b32_e32 v11, 4, v13
	v_and_b32_e32 v11, 0xf0f0f0f, v11
	v_dot4_i32_i8 v4, v11, v121, v4
	v_lshrrev_b32_e32 v11, 4, v14
	;; [unrolled: 3-line block ×6, first 2 shown]
	v_and_b32_e32 v11, 0xf0f0f0f, v11
	v_dot4_i32_i8 v12, v11, v126, v4
	buffer_load_dword v4, off, s[28:31], 0 offset:36 ; 4-byte Folded Reload
	s_waitcnt lgkmcnt(0)
	v_cvt_f32_ubyte0_e32 v10, v44
	v_cvt_f32_ubyte1_e32 v11, v44
	v_lshrrev_b32_e32 v127, 24, v43
	s_waitcnt vmcnt(0)
	ds_read_b32 v113, v4 offset:128
	v_add_u32_e32 v4, 0x10c0, v110
	ds_read2_b32 v[15:16], v4 offset1:1
	s_waitcnt lgkmcnt(1)
	v_cvt_f32_f16_sdwa v117, v113 dst_sel:DWORD dst_unused:UNUSED_PAD src0_sel:WORD_1
	s_waitcnt lgkmcnt(0)
	v_and_b32_e32 v4, 0xf0f0f0f, v15
	v_dot4_i32_i8 v4, v4, v0, 0
	v_and_b32_e32 v13, 0xf0f0f0f, v16
	v_dot4_i32_i8 v4, v13, v1, v4
	v_add_u32_e32 v13, 0x10c8, v110
	ds_read2_b32 v[17:18], v13 offset1:1
	s_waitcnt lgkmcnt(0)
	v_and_b32_e32 v13, 0xf0f0f0f, v17
	v_dot4_i32_i8 v4, v13, v2, v4
	v_and_b32_e32 v13, 0xf0f0f0f, v18
	v_dot4_i32_i8 v4, v13, v3, v4
	v_add_u32_e32 v13, 0x10d0, v110
	ds_read2_b32 v[19:20], v13 offset1:1
	;; [unrolled: 7-line block ×3, first 2 shown]
	s_waitcnt lgkmcnt(0)
	v_and_b32_e32 v13, 0xf0f0f0f, v21
	v_dot4_i32_i8 v4, v13, v57, v4
	v_and_b32_e32 v13, 0xf0f0f0f, v22
	v_dot4_i32_i8 v13, v13, v58, v4
	buffer_load_dword v4, off, s[28:31], 0 offset:24 ; 4-byte Folded Reload
	s_waitcnt vmcnt(0)
	ds_read2_b32 v[45:46], v4 offset0:1 offset1:3
	v_lshrrev_b32_e32 v4, 4, v15
	v_and_b32_e32 v4, 0xf0f0f0f, v4
	v_lshrrev_b32_e32 v15, 4, v16
	v_dot4_i32_i8 v4, v4, v119, 0
	v_and_b32_e32 v15, 0xf0f0f0f, v15
	v_dot4_i32_i8 v4, v15, v120, v4
	v_lshrrev_b32_e32 v15, 4, v17
	v_and_b32_e32 v15, 0xf0f0f0f, v15
	v_dot4_i32_i8 v4, v15, v121, v4
	v_lshrrev_b32_e32 v15, 4, v18
	;; [unrolled: 3-line block ×6, first 2 shown]
	v_and_b32_e32 v15, 0xf0f0f0f, v15
	v_dot4_i32_i8 v16, v15, v126, v4
	buffer_load_dword v4, off, s[28:31], 0 offset:40 ; 4-byte Folded Reload
	s_waitcnt lgkmcnt(0)
	v_cvt_f32_ubyte0_e32 v14, v46
	v_cvt_f32_ubyte1_e32 v15, v46
	s_waitcnt vmcnt(0)
	ds_read_b32 v114, v4 offset:256
	v_add_u32_e32 v4, 0x2140, v110
	ds_read2_b32 v[19:20], v4 offset1:1
	s_waitcnt lgkmcnt(1)
	v_cvt_f32_f16_sdwa v118, v114 dst_sel:DWORD dst_unused:UNUSED_PAD src0_sel:WORD_1
	s_waitcnt lgkmcnt(0)
	v_and_b32_e32 v4, 0xf0f0f0f, v19
	v_dot4_i32_i8 v4, v4, v0, 0
	v_and_b32_e32 v17, 0xf0f0f0f, v20
	v_dot4_i32_i8 v4, v17, v1, v4
	v_add_u32_e32 v17, 0x2148, v110
	ds_read2_b32 v[21:22], v17 offset1:1
	s_waitcnt lgkmcnt(0)
	v_and_b32_e32 v17, 0xf0f0f0f, v21
	v_dot4_i32_i8 v4, v17, v2, v4
	v_and_b32_e32 v17, 0xf0f0f0f, v22
	v_dot4_i32_i8 v4, v17, v3, v4
	v_add_u32_e32 v17, 0x2150, v110
	ds_read2_b32 v[23:24], v17 offset1:1
	;; [unrolled: 7-line block ×3, first 2 shown]
	s_waitcnt lgkmcnt(0)
	v_and_b32_e32 v17, 0xf0f0f0f, v41
	v_dot4_i32_i8 v4, v17, v57, v4
	v_and_b32_e32 v17, 0xf0f0f0f, v42
	v_dot4_i32_i8 v17, v17, v58, v4
	buffer_load_dword v4, off, s[28:31], 0 offset:28 ; 4-byte Folded Reload
	s_waitcnt vmcnt(0)
	ds_read2_b32 v[47:48], v4 offset0:1 offset1:3
	v_lshrrev_b32_e32 v4, 4, v19
	v_and_b32_e32 v4, 0xf0f0f0f, v4
	v_lshrrev_b32_e32 v19, 4, v20
	v_dot4_i32_i8 v4, v4, v119, 0
	v_and_b32_e32 v19, 0xf0f0f0f, v19
	v_dot4_i32_i8 v4, v19, v120, v4
	v_lshrrev_b32_e32 v19, 4, v21
	v_and_b32_e32 v19, 0xf0f0f0f, v19
	v_dot4_i32_i8 v4, v19, v121, v4
	v_lshrrev_b32_e32 v19, 4, v22
	;; [unrolled: 3-line block ×6, first 2 shown]
	v_and_b32_e32 v19, 0xf0f0f0f, v19
	v_dot4_i32_i8 v20, v19, v126, v4
	buffer_load_dword v4, off, s[28:31], 0 offset:44 ; 4-byte Folded Reload
	s_waitcnt lgkmcnt(0)
	v_cvt_f32_ubyte0_e32 v18, v48
	v_cvt_f32_ubyte1_e32 v19, v48
	s_waitcnt vmcnt(0)
	ds_read_b32 v115, v4 offset:384
	v_add_u32_e32 v4, 0x31c0, v110
	ds_read2_b32 v[21:22], v4 offset1:1
	s_waitcnt lgkmcnt(0)
	v_and_b32_e32 v4, 0xf0f0f0f, v21
	v_dot4_i32_i8 v0, v4, v0, 0
	v_and_b32_e32 v4, 0xf0f0f0f, v22
	v_dot4_i32_i8 v4, v4, v1, v0
	v_add_u32_e32 v0, 0x31c8, v110
	ds_read2_b32 v[0:1], v0 offset1:1
	s_waitcnt lgkmcnt(0)
	v_and_b32_e32 v23, 0xf0f0f0f, v0
	v_dot4_i32_i8 v2, v23, v2, v4
	v_and_b32_e32 v4, 0xf0f0f0f, v1
	v_dot4_i32_i8 v4, v4, v3, v2
	v_add_u32_e32 v2, 0x31d0, v110
	ds_read2_b32 v[2:3], v2 offset1:1
	v_lshrrev_b32_e32 v0, 4, v0
	v_and_b32_e32 v0, 0xf0f0f0f, v0
	v_lshrrev_b32_e32 v1, 4, v1
	v_and_b32_e32 v1, 0xf0f0f0f, v1
	s_waitcnt lgkmcnt(0)
	v_and_b32_e32 v23, 0xf0f0f0f, v2
	v_dot4_i32_i8 v4, v23, v55, v4
	v_and_b32_e32 v23, 0xf0f0f0f, v3
	v_dot4_i32_i8 v4, v23, v56, v4
	v_add_u32_e32 v23, 0x31d8, v110
	ds_read2_b32 v[23:24], v23 offset1:1
	s_waitcnt lgkmcnt(0)
	v_and_b32_e32 v41, 0xf0f0f0f, v23
	v_dot4_i32_i8 v4, v41, v57, v4
	v_and_b32_e32 v41, 0xf0f0f0f, v24
	v_dot4_i32_i8 v61, v41, v58, v4
	buffer_load_dword v4, off, s[28:31], 0 offset:32 ; 4-byte Folded Reload
	s_waitcnt vmcnt(0)
	ds_read2_b32 v[41:42], v4 offset0:1 offset1:3
	v_lshrrev_b32_e32 v4, 4, v21
	v_and_b32_e32 v4, 0xf0f0f0f, v4
	v_lshrrev_b32_e32 v21, 4, v22
	v_dot4_i32_i8 v4, v4, v119, 0
	v_and_b32_e32 v21, 0xf0f0f0f, v21
	v_dot4_i32_i8 v4, v21, v120, v4
	v_dot4_i32_i8 v0, v0, v121, v4
	;; [unrolled: 1-line block ×3, first 2 shown]
	v_lshrrev_b32_e32 v1, 4, v2
	v_and_b32_e32 v1, 0xf0f0f0f, v1
	v_dot4_i32_i8 v0, v1, v123, v0
	v_lshrrev_b32_e32 v1, 4, v3
	v_and_b32_e32 v1, 0xf0f0f0f, v1
	v_dot4_i32_i8 v0, v1, v124, v0
	;; [unrolled: 3-line block ×4, first 2 shown]
	ds_read_b128 v[1:4], v68 offset:20560
	v_bfe_u32 v21, v43, 8, 8
	v_cvt_f32_f16_sdwa v119, v115 dst_sel:DWORD dst_unused:UNUSED_PAD src0_sel:WORD_1
	s_waitcnt lgkmcnt(1)
	v_cvt_f32_ubyte0_e32 v49, v42
	v_lshrrev_b32_e32 v125, 24, v45
	s_waitcnt lgkmcnt(0)
	v_fma_mix_f32 v0, v1, v10, 0 op_sel:[1,0,0] op_sel_hi:[1,0,0]
	v_and_b32_e32 v10, 0xff, v43
	v_mul_lo_u32 v9, v9, v10
	v_mul_lo_u32 v10, v12, v21
	v_fma_mix_f32 v0, v2, v11, v0 op_sel:[1,0,0] op_sel_hi:[1,0,0]
	v_mul_f32_e32 v0, v0, v116
	v_cvt_f32_i32_e32 v9, v9
	v_cvt_f32_i32_e32 v10, v10
	v_lshrrev_b32_e32 v123, 24, v47
	v_lshrrev_b32_e32 v121, 24, v41
	v_fma_mix_f32 v9, v1, v9, 0 op_sel_hi:[1,0,0]
	v_fma_mix_f32 v9, v2, v10, v9 op_sel_hi:[1,0,0]
	v_fma_mix_f32 v0, v9, v112, -v0 op_sel_hi:[0,1,0]
	v_add_f32_e32 v126, v6, v0
	v_and_b32_e32 v6, 0xff, v45
	v_bfe_u32 v9, v45, 8, 8
	v_mul_lo_u32 v6, v13, v6
	v_mul_lo_u32 v9, v16, v9
	v_fma_mix_f32 v0, v1, v14, 0 op_sel:[1,0,0] op_sel_hi:[1,0,0]
	v_fma_mix_f32 v0, v2, v15, v0 op_sel:[1,0,0] op_sel_hi:[1,0,0]
	v_cvt_f32_i32_e32 v6, v6
	v_cvt_f32_i32_e32 v9, v9
	v_mul_f32_e32 v0, v0, v117
	v_fma_mix_f32 v6, v1, v6, 0 op_sel_hi:[1,0,0]
	v_fma_mix_f32 v6, v2, v9, v6 op_sel_hi:[1,0,0]
	v_fma_mix_f32 v0, v6, v113, -v0 op_sel_hi:[0,1,0]
	v_and_b32_e32 v6, 0xff, v47
	v_add_f32_e32 v124, v7, v0
	v_bfe_u32 v7, v47, 8, 8
	v_mul_lo_u32 v6, v17, v6
	v_mul_lo_u32 v7, v20, v7
	v_fma_mix_f32 v0, v1, v18, 0 op_sel:[1,0,0] op_sel_hi:[1,0,0]
	v_fma_mix_f32 v0, v2, v19, v0 op_sel:[1,0,0] op_sel_hi:[1,0,0]
	v_cvt_f32_i32_e32 v6, v6
	v_cvt_f32_i32_e32 v7, v7
	v_mul_f32_e32 v0, v0, v118
	v_fma_mix_f32 v6, v1, v6, 0 op_sel_hi:[1,0,0]
	v_fma_mix_f32 v6, v2, v7, v6 op_sel_hi:[1,0,0]
	v_fma_mix_f32 v0, v6, v114, -v0 op_sel_hi:[0,1,0]
	v_add_f32_e32 v122, v8, v0
	v_and_b32_e32 v0, 0xff, v41
	v_bfe_u32 v6, v41, 8, 8
	v_mul_lo_u32 v0, v61, v0
	v_mul_lo_u32 v6, v67, v6
	v_cvt_f32_ubyte2_e32 v61, v44
	v_cvt_f32_ubyte3_e32 v44, v44
	v_cvt_f32_i32_e32 v0, v0
	v_cvt_f32_i32_e32 v6, v6
	v_fma_mix_f32 v0, v1, v0, 0 op_sel_hi:[1,0,0]
	v_fma_mix_f32 v1, v1, v49, 0 op_sel:[1,0,0] op_sel_hi:[1,0,0]
	v_fma_mix_f32 v0, v2, v6, v0 op_sel_hi:[1,0,0]
	v_cvt_f32_ubyte1_e32 v6, v42
	v_fma_mix_f32 v1, v2, v6, v1 op_sel:[1,0,0] op_sel_hi:[1,0,0]
	v_mul_f32_e32 v1, v1, v119
	v_fma_mix_f32 v0, v0, v115, -v1 op_sel_hi:[0,1,0]
	v_add_f32_e32 v120, v5, v0
	ds_read_b128 v[17:20], v66 offset:64
	ds_read_b128 v[13:16], v66 offset:80
	;; [unrolled: 1-line block ×4, first 2 shown]
	ds_read2_b32 v[0:1], v110 offset0:24 offset1:25
	ds_read2_b32 v[52:53], v110 offset0:30 offset1:31
	s_waitcnt lgkmcnt(1)
	v_and_b32_e32 v2, 0xf0f0f0f, v0
	v_dot4_i32_i8 v2, v2, v17, 0
	v_and_b32_e32 v21, 0xf0f0f0f, v1
	v_dot4_i32_i8 v2, v21, v18, v2
	ds_read2_b32 v[21:22], v110 offset0:26 offset1:27
	v_lshrrev_b32_e32 v0, 4, v0
	v_and_b32_e32 v0, 0xf0f0f0f, v0
	v_lshrrev_b32_e32 v1, 4, v1
	v_dot4_i32_i8 v0, v0, v9, 0
	s_waitcnt lgkmcnt(0)
	v_and_b32_e32 v23, 0xf0f0f0f, v21
	v_dot4_i32_i8 v2, v23, v19, v2
	v_and_b32_e32 v23, 0xf0f0f0f, v22
	v_dot4_i32_i8 v2, v23, v20, v2
	ds_read2_b32 v[23:24], v110 offset0:28 offset1:29
	v_and_b32_e32 v1, 0xf0f0f0f, v1
	v_dot4_i32_i8 v0, v1, v10, v0
	v_lshrrev_b32_e32 v1, 4, v21
	v_and_b32_e32 v1, 0xf0f0f0f, v1
	v_dot4_i32_i8 v0, v1, v11, v0
	v_lshrrev_b32_e32 v1, 4, v22
	v_and_b32_e32 v1, 0xf0f0f0f, v1
	v_dot4_i32_i8 v0, v1, v12, v0
	s_waitcnt lgkmcnt(0)
	v_lshrrev_b32_e32 v1, 4, v23
	v_and_b32_e32 v1, 0xf0f0f0f, v1
	v_dot4_i32_i8 v0, v1, v5, v0
	v_lshrrev_b32_e32 v1, 4, v24
	v_and_b32_e32 v1, 0xf0f0f0f, v1
	v_dot4_i32_i8 v0, v1, v6, v0
	v_lshrrev_b32_e32 v1, 4, v52
	v_and_b32_e32 v49, 0xf0f0f0f, v23
	v_and_b32_e32 v1, 0xf0f0f0f, v1
	v_dot4_i32_i8 v2, v49, v13, v2
	v_and_b32_e32 v49, 0xf0f0f0f, v24
	v_dot4_i32_i8 v0, v1, v7, v0
	v_lshrrev_b32_e32 v1, 4, v53
	v_dot4_i32_i8 v2, v49, v14, v2
	v_and_b32_e32 v49, 0xf0f0f0f, v52
	v_and_b32_e32 v1, 0xf0f0f0f, v1
	v_dot4_i32_i8 v2, v49, v15, v2
	v_and_b32_e32 v49, 0xf0f0f0f, v53
	v_dot4_i32_i8 v67, v1, v8, v0
	v_add_u32_e32 v0, 0x10e0, v110
	v_dot4_i32_i8 v49, v49, v16, v2
	ds_read2_b32 v[1:2], v0 offset1:1
	v_cvt_f32_ubyte2_e32 v24, v46
	s_waitcnt lgkmcnt(0)
	v_and_b32_e32 v0, 0xf0f0f0f, v1
	v_dot4_i32_i8 v0, v0, v17, 0
	v_and_b32_e32 v21, 0xf0f0f0f, v2
	v_dot4_i32_i8 v0, v21, v18, v0
	v_add_u32_e32 v21, 0x10e8, v110
	ds_read2_b32 v[21:22], v21 offset1:1
	s_waitcnt lgkmcnt(0)
	v_and_b32_e32 v23, 0xf0f0f0f, v21
	v_dot4_i32_i8 v0, v23, v19, v0
	v_and_b32_e32 v23, 0xf0f0f0f, v22
	v_dot4_i32_i8 v0, v23, v20, v0
	v_add_u32_e32 v23, 0x10f0, v110
	ds_read2_b32 v[52:53], v23 offset1:1
	;; [unrolled: 7-line block ×3, first 2 shown]
	s_waitcnt lgkmcnt(0)
	v_and_b32_e32 v23, 0xf0f0f0f, v55
	v_dot4_i32_i8 v0, v23, v15, v0
	v_and_b32_e32 v23, 0xf0f0f0f, v56
	v_dot4_i32_i8 v23, v23, v16, v0
	v_lshrrev_b32_e32 v0, 4, v1
	v_and_b32_e32 v0, 0xf0f0f0f, v0
	v_lshrrev_b32_e32 v1, 4, v2
	v_dot4_i32_i8 v0, v0, v9, 0
	v_and_b32_e32 v1, 0xf0f0f0f, v1
	v_dot4_i32_i8 v0, v1, v10, v0
	v_lshrrev_b32_e32 v1, 4, v21
	v_and_b32_e32 v1, 0xf0f0f0f, v1
	v_dot4_i32_i8 v0, v1, v11, v0
	v_lshrrev_b32_e32 v1, 4, v22
	;; [unrolled: 3-line block ×6, first 2 shown]
	v_and_b32_e32 v1, 0xf0f0f0f, v1
	v_dot4_i32_i8 v2, v1, v8, v0
	v_add_u32_e32 v0, 0x2160, v110
	ds_read2_b32 v[21:22], v0 offset1:1
	v_cvt_f32_ubyte3_e32 v1, v46
	v_mul_lo_u32 v2, v2, v125
	s_waitcnt lgkmcnt(0)
	v_and_b32_e32 v0, 0xf0f0f0f, v21
	v_dot4_i32_i8 v0, v0, v17, 0
	v_and_b32_e32 v46, 0xf0f0f0f, v22
	v_dot4_i32_i8 v0, v46, v18, v0
	v_add_u32_e32 v46, 0x2168, v110
	ds_read2_b32 v[55:56], v46 offset1:1
	v_lshrrev_b32_e32 v21, 4, v21
	v_and_b32_e32 v21, 0xf0f0f0f, v21
	v_lshrrev_b32_e32 v22, 4, v22
	v_dot4_i32_i8 v21, v21, v9, 0
	s_waitcnt lgkmcnt(0)
	v_and_b32_e32 v46, 0xf0f0f0f, v55
	v_dot4_i32_i8 v0, v46, v19, v0
	v_and_b32_e32 v46, 0xf0f0f0f, v56
	v_dot4_i32_i8 v0, v46, v20, v0
	v_add_u32_e32 v46, 0x2170, v110
	ds_read2_b32 v[57:58], v46 offset1:1
	v_and_b32_e32 v22, 0xf0f0f0f, v22
	v_dot4_i32_i8 v21, v22, v10, v21
	v_lshrrev_b32_e32 v22, 4, v55
	v_and_b32_e32 v22, 0xf0f0f0f, v22
	s_waitcnt lgkmcnt(0)
	v_and_b32_e32 v46, 0xf0f0f0f, v57
	v_dot4_i32_i8 v0, v46, v13, v0
	v_and_b32_e32 v46, 0xf0f0f0f, v58
	v_dot4_i32_i8 v0, v46, v14, v0
	v_add_u32_e32 v46, 0x2178, v110
	v_dot4_i32_i8 v21, v22, v11, v21
	v_lshrrev_b32_e32 v22, 4, v56
	ds_read2_b32 v[59:60], v46 offset1:1
	v_and_b32_e32 v22, 0xf0f0f0f, v22
	v_dot4_i32_i8 v21, v22, v12, v21
	v_lshrrev_b32_e32 v22, 4, v57
	v_and_b32_e32 v22, 0xf0f0f0f, v22
	v_dot4_i32_i8 v21, v22, v5, v21
	v_lshrrev_b32_e32 v22, 4, v58
	v_and_b32_e32 v22, 0xf0f0f0f, v22
	v_dot4_i32_i8 v21, v22, v6, v21
	s_waitcnt lgkmcnt(0)
	v_lshrrev_b32_e32 v22, 4, v59
	v_and_b32_e32 v22, 0xf0f0f0f, v22
	v_dot4_i32_i8 v21, v22, v7, v21
	v_lshrrev_b32_e32 v22, 4, v60
	v_and_b32_e32 v22, 0xf0f0f0f, v22
	v_dot4_i32_i8 v53, v22, v8, v21
	v_add_u32_e32 v21, 0x31e0, v110
	ds_read2_b32 v[21:22], v21 offset1:1
	v_and_b32_e32 v46, 0xf0f0f0f, v59
	v_dot4_i32_i8 v0, v46, v15, v0
	v_and_b32_e32 v46, 0xf0f0f0f, v60
	v_dot4_i32_i8 v52, v46, v16, v0
	v_cvt_f32_ubyte2_e32 v0, v48
	v_cvt_f32_ubyte3_e32 v46, v48
	s_waitcnt lgkmcnt(0)
	v_and_b32_e32 v48, 0xf0f0f0f, v21
	v_dot4_i32_i8 v17, v48, v17, 0
	v_and_b32_e32 v48, 0xf0f0f0f, v22
	v_dot4_i32_i8 v48, v48, v18, v17
	v_add_u32_e32 v17, 0x31e8, v110
	ds_read2_b32 v[17:18], v17 offset1:1
	v_lshrrev_b32_e32 v21, 4, v21
	v_and_b32_e32 v21, 0xf0f0f0f, v21
	v_dot4_i32_i8 v9, v21, v9, 0
	v_lshrrev_b32_e32 v21, 4, v22
	s_waitcnt lgkmcnt(0)
	v_and_b32_e32 v55, 0xf0f0f0f, v17
	v_dot4_i32_i8 v19, v55, v19, v48
	v_and_b32_e32 v48, 0xf0f0f0f, v18
	v_dot4_i32_i8 v48, v48, v20, v19
	v_add_u32_e32 v19, 0x31f0, v110
	ds_read2_b32 v[19:20], v19 offset1:1
	v_and_b32_e32 v21, 0xf0f0f0f, v21
	v_dot4_i32_i8 v9, v21, v10, v9
	v_lshrrev_b32_e32 v10, 4, v17
	v_and_b32_e32 v10, 0xf0f0f0f, v10
	s_waitcnt lgkmcnt(0)
	v_and_b32_e32 v55, 0xf0f0f0f, v19
	v_dot4_i32_i8 v13, v55, v13, v48
	v_and_b32_e32 v48, 0xf0f0f0f, v20
	v_dot4_i32_i8 v48, v48, v14, v13
	v_add_u32_e32 v13, 0x31f8, v110
	v_dot4_i32_i8 v9, v10, v11, v9
	v_lshrrev_b32_e32 v10, 4, v18
	ds_read2_b32 v[13:14], v13 offset1:1
	v_and_b32_e32 v10, 0xf0f0f0f, v10
	v_dot4_i32_i8 v9, v10, v12, v9
	v_lshrrev_b32_e32 v10, 4, v19
	v_and_b32_e32 v10, 0xf0f0f0f, v10
	v_dot4_i32_i8 v5, v10, v5, v9
	v_lshrrev_b32_e32 v9, 4, v20
	v_and_b32_e32 v9, 0xf0f0f0f, v9
	v_dot4_i32_i8 v5, v9, v6, v5
	s_waitcnt lgkmcnt(0)
	v_lshrrev_b32_e32 v6, 4, v13
	v_and_b32_e32 v6, 0xf0f0f0f, v6
	v_dot4_i32_i8 v5, v6, v7, v5
	v_lshrrev_b32_e32 v6, 4, v14
	v_bfe_u32 v7, v43, 16, 8
	v_and_b32_e32 v6, 0xf0f0f0f, v6
	v_mul_lo_u32 v7, v49, v7
	v_dot4_i32_i8 v5, v6, v8, v5
	v_mul_lo_u32 v8, v67, v127
	v_fma_mix_f32 v6, v3, v61, 0 op_sel:[1,0,0] op_sel_hi:[1,0,0]
	v_cvt_f32_i32_e32 v7, v7
	v_fma_mix_f32 v6, v4, v44, v6 op_sel:[1,0,0] op_sel_hi:[1,0,0]
	v_cvt_f32_i32_e32 v8, v8
	v_cvt_f32_i32_e32 v2, v2
	v_fma_mix_f32 v7, v3, v7, 0 op_sel_hi:[1,0,0]
	v_mul_f32_e32 v6, v6, v116
	v_fma_mix_f32 v7, v4, v8, v7 op_sel_hi:[1,0,0]
	v_bfe_u32 v8, v45, 16, 8
	v_mul_lo_u32 v8, v23, v8
	v_fma_mix_f32 v6, v7, v112, -v6 op_sel_hi:[0,1,0]
	v_fma_mix_f32 v7, v3, v24, 0 op_sel:[1,0,0] op_sel_hi:[1,0,0]
	v_fma_mix_f32 v1, v4, v1, v7 op_sel:[1,0,0] op_sel_hi:[1,0,0]
	v_cvt_f32_i32_e32 v8, v8
	v_mul_f32_e32 v1, v1, v117
	v_fma_mix_f32 v0, v3, v0, 0 op_sel:[1,0,0] op_sel_hi:[1,0,0]
	v_fma_mix_f32 v0, v4, v46, v0 op_sel:[1,0,0] op_sel_hi:[1,0,0]
	v_fma_mix_f32 v8, v3, v8, 0 op_sel_hi:[1,0,0]
	v_fma_mix_f32 v2, v4, v2, v8 op_sel_hi:[1,0,0]
	v_fma_mix_f32 v1, v2, v113, -v1 op_sel_hi:[0,1,0]
	v_add_f32_e32 v7, v124, v1
	v_bfe_u32 v1, v47, 16, 8
	v_mul_lo_u32 v1, v52, v1
	v_mul_lo_u32 v2, v53, v123
	v_and_b32_e32 v55, 0xf0f0f0f, v13
	v_mul_f32_e32 v0, v0, v118
	v_cvt_f32_i32_e32 v1, v1
	v_cvt_f32_i32_e32 v2, v2
	v_dot4_i32_i8 v15, v55, v15, v48
	v_and_b32_e32 v48, 0xf0f0f0f, v14
	v_fma_mix_f32 v1, v3, v1, 0 op_sel_hi:[1,0,0]
	v_fma_mix_f32 v1, v4, v2, v1 op_sel_hi:[1,0,0]
	v_fma_mix_f32 v0, v1, v114, -v0 op_sel_hi:[0,1,0]
	v_dot4_i32_i8 v15, v48, v16, v15
	v_add_f32_e32 v8, v122, v0
	v_bfe_u32 v0, v41, 16, 8
	v_mul_lo_u32 v0, v15, v0
	v_mul_lo_u32 v1, v5, v121
	v_cvt_f32_ubyte2_e32 v16, v42
	v_fma_mix_f32 v2, v3, v16, 0 op_sel:[1,0,0] op_sel_hi:[1,0,0]
	v_cvt_f32_i32_e32 v0, v0
	v_cvt_f32_i32_e32 v1, v1
	v_add_f32_e32 v6, v126, v6
	v_fma_mix_f32 v0, v3, v0, 0 op_sel_hi:[1,0,0]
	v_fma_mix_f32 v0, v4, v1, v0 op_sel_hi:[1,0,0]
	v_cvt_f32_ubyte3_e32 v1, v42
	v_fma_mix_f32 v1, v4, v1, v2 op_sel:[1,0,0] op_sel_hi:[1,0,0]
	v_mul_f32_e32 v1, v1, v119
	v_fma_mix_f32 v0, v0, v115, -v1 op_sel_hi:[0,1,0]
	v_add_f32_e32 v5, v120, v0
	s_barrier
.LBB212_5:                              ;   in Loop: Header=BB212_6 Depth=1
	v_add_co_u32_e32 v70, vcc, 0x90, v70
	v_addc_co_u32_e32 v71, vcc, 0, v71, vcc
	v_add_co_u32_e32 v72, vcc, 0x90, v72
	v_addc_co_u32_e32 v73, vcc, 0, v73, vcc
	;; [unrolled: 2-line block ×20, first 2 shown]
	s_add_i32 s22, s22, -1
	s_addk_i32 s20, 0x100
	v_add_co_u32_e32 v108, vcc, 0x90, v108
	v_add_u32_e32 v54, 8, v54
	v_add_u32_e32 v51, 8, v51
	;; [unrolled: 1-line block ×3, first 2 shown]
	s_cmp_eq_u32 s22, 0
	v_addc_co_u32_e32 v109, vcc, 0, v109, vcc
	s_cbranch_scc1 .LBB212_17
.LBB212_6:                              ; =>This Inner Loop Header: Depth=1
	v_mov_b32_e32 v2, s12
	v_add_co_u32_e32 v0, vcc, s8, v70
	v_addc_co_u32_e32 v1, vcc, v71, v2, vcc
	global_load_dword v3, v[0:1], off
	v_add_co_u32_e32 v0, vcc, s8, v72
	v_addc_co_u32_e32 v1, vcc, v73, v2, vcc
	global_load_dword v4, v[0:1], off
	;; [unrolled: 3-line block ×21, first 2 shown]
	s_nop 0
	buffer_load_dword v1, off, s[28:31], 0  ; 4-byte Folded Reload
	buffer_load_dword v2, off, s[28:31], 0 offset:4 ; 4-byte Folded Reload
	s_add_i32 s4, s20, 0xffffff80
	s_cmp_lt_i32 s4, s9
	s_waitcnt vmcnt(1)
	ds_write_b32 v1, v3
	buffer_load_dword v1, off, s[28:31], 0 offset:8 ; 4-byte Folded Reload
	buffer_load_dword v2, off, s[28:31], 0 offset:12 ; 4-byte Folded Reload
	s_waitcnt vmcnt(0)
	v_ashrrev_i32_e32 v2, v65, v41
	v_ashrrev_i32_e32 v0, v65, v0
	ds_write_b32 v1, v4
	ds_write_b32 v25, v9
	;; [unrolled: 1-line block ×16, first 2 shown]
	v_ashrrev_i32_e32 v1, v62, v24
	v_and_b32_e32 v1, 0xf0f0f0f, v1
	v_and_or_b32 v1, v2, s21, v1
	ds_write_b32 v63, v1
	v_ashrrev_i32_e32 v1, v62, v42
	v_and_b32_e32 v1, 0xf0f0f0f, v1
	v_and_or_b32 v0, v0, s21, v1
	ds_write_b32 v64, v0
	s_cbranch_scc0 .LBB212_5
; %bb.7:                                ;   in Loop: Header=BB212_6 Depth=1
	v_cmp_gt_i32_e32 vcc, s10, v51
	s_and_b64 s[24:25], s[2:3], vcc
	s_and_saveexec_b64 s[4:5], s[24:25]
	s_cbranch_execz .LBB212_9
; %bb.8:                                ;   in Loop: Header=BB212_6 Depth=1
	buffer_load_dword v1, off, s[28:31], 0 offset:48 ; 4-byte Folded Reload
	buffer_load_dword v2, off, s[28:31], 0 offset:52 ; 4-byte Folded Reload
	v_add_u32_e32 v0, v69, v51
	s_waitcnt vmcnt(0)
	v_mad_i64_i32 v[0:1], s[24:25], v0, 36, v[1:2]
	global_load_dword v0, v[0:1], off offset:4
	s_nop 0
	buffer_load_dword v1, off, s[28:31], 0 offset:56 ; 4-byte Folded Reload
	s_waitcnt vmcnt(0)
	ds_write_b32 v1, v0
.LBB212_9:                              ;   in Loop: Header=BB212_6 Depth=1
	s_or_b64 exec, exec, s[4:5]
	v_cmp_gt_i32_e32 vcc, s10, v111
	s_and_b64 s[24:25], s[18:19], vcc
	s_and_saveexec_b64 s[4:5], s[24:25]
	s_cbranch_execz .LBB212_11
; %bb.10:                               ;   in Loop: Header=BB212_6 Depth=1
	v_add_u32_e32 v0, v69, v111
	v_mad_i64_i32 v[0:1], s[24:25], v0, 36, s[6:7]
	global_load_dword v0, v[0:1], off
	s_nop 0
	buffer_load_dword v1, off, s[28:31], 0 offset:60 ; 4-byte Folded Reload
	s_waitcnt vmcnt(0)
	v_add_u32_e32 v1, v1, v68
	ds_write_b32 v1, v0
.LBB212_11:                             ;   in Loop: Header=BB212_6 Depth=1
	s_or_b64 exec, exec, s[4:5]
	s_waitcnt lgkmcnt(0)
	s_barrier
	ds_read_b128 v[0:3], v66
	ds_read_b128 v[119:122], v66 offset:16
	ds_read_b128 v[123:126], v66 offset:32
	;; [unrolled: 1-line block ×3, first 2 shown]
	buffer_load_dword v4, off, s[28:31], 0 offset:20 ; 4-byte Folded Reload
	s_cmp_ge_i32 s20, s9
	s_waitcnt vmcnt(0)
	ds_read_b32 v112, v4
	ds_read2_b32 v[11:12], v110 offset1:1
	ds_read2_b32 v[13:14], v110 offset0:2 offset1:3
	ds_read2_b32 v[15:16], v110 offset0:4 offset1:5
	;; [unrolled: 1-line block ×3, first 2 shown]
	s_waitcnt lgkmcnt(4)
	v_cvt_f32_f16_sdwa v116, v112 dst_sel:DWORD dst_unused:UNUSED_PAD src0_sel:WORD_1
	s_waitcnt lgkmcnt(3)
	v_and_b32_e32 v4, 0xf0f0f0f, v11
	v_dot4_i32_i8 v4, v4, v0, 0
	v_and_b32_e32 v9, 0xf0f0f0f, v12
	v_dot4_i32_i8 v4, v9, v1, v4
	s_waitcnt lgkmcnt(2)
	v_and_b32_e32 v9, 0xf0f0f0f, v13
	v_dot4_i32_i8 v4, v9, v2, v4
	v_and_b32_e32 v9, 0xf0f0f0f, v14
	v_dot4_i32_i8 v4, v9, v3, v4
	;; [unrolled: 5-line block ×4, first 2 shown]
	buffer_load_dword v4, off, s[28:31], 0 offset:16 ; 4-byte Folded Reload
	s_waitcnt vmcnt(0)
	ds_read2_b32 v[43:44], v4 offset1:2
	v_lshrrev_b32_e32 v4, 4, v11
	v_and_b32_e32 v4, 0xf0f0f0f, v4
	v_lshrrev_b32_e32 v11, 4, v12
	v_dot4_i32_i8 v4, v4, v123, 0
	v_and_b32_e32 v11, 0xf0f0f0f, v11
	v_dot4_i32_i8 v4, v11, v124, v4
	v_lshrrev_b32_e32 v11, 4, v13
	v_and_b32_e32 v11, 0xf0f0f0f, v11
	v_dot4_i32_i8 v4, v11, v125, v4
	v_lshrrev_b32_e32 v11, 4, v14
	;; [unrolled: 3-line block ×6, first 2 shown]
	v_and_b32_e32 v11, 0xf0f0f0f, v11
	v_dot4_i32_i8 v12, v11, v58, v4
	buffer_load_dword v4, off, s[28:31], 0 offset:36 ; 4-byte Folded Reload
	s_waitcnt lgkmcnt(0)
	v_cvt_f32_ubyte0_e32 v10, v44
	v_cvt_f32_ubyte1_e32 v11, v44
	v_lshrrev_b32_e32 v127, 24, v43
	s_waitcnt vmcnt(0)
	ds_read_b32 v113, v4 offset:128
	v_add_u32_e32 v4, 0x1080, v110
	ds_read2_b32 v[15:16], v4 offset1:1
	s_waitcnt lgkmcnt(1)
	v_cvt_f32_f16_sdwa v117, v113 dst_sel:DWORD dst_unused:UNUSED_PAD src0_sel:WORD_1
	s_waitcnt lgkmcnt(0)
	v_and_b32_e32 v4, 0xf0f0f0f, v15
	v_dot4_i32_i8 v4, v4, v0, 0
	v_and_b32_e32 v13, 0xf0f0f0f, v16
	v_dot4_i32_i8 v4, v13, v1, v4
	v_add_u32_e32 v13, 0x1088, v110
	ds_read2_b32 v[17:18], v13 offset1:1
	s_waitcnt lgkmcnt(0)
	v_and_b32_e32 v13, 0xf0f0f0f, v17
	v_dot4_i32_i8 v4, v13, v2, v4
	v_and_b32_e32 v13, 0xf0f0f0f, v18
	v_dot4_i32_i8 v4, v13, v3, v4
	v_add_u32_e32 v13, 0x1090, v110
	ds_read2_b32 v[19:20], v13 offset1:1
	;; [unrolled: 7-line block ×3, first 2 shown]
	s_waitcnt lgkmcnt(0)
	v_and_b32_e32 v13, 0xf0f0f0f, v23
	v_dot4_i32_i8 v4, v13, v121, v4
	v_and_b32_e32 v13, 0xf0f0f0f, v24
	v_dot4_i32_i8 v13, v13, v122, v4
	buffer_load_dword v4, off, s[28:31], 0 offset:24 ; 4-byte Folded Reload
	s_waitcnt vmcnt(0)
	ds_read2_b32 v[45:46], v4 offset1:2
	v_lshrrev_b32_e32 v4, 4, v15
	v_and_b32_e32 v4, 0xf0f0f0f, v4
	v_lshrrev_b32_e32 v15, 4, v16
	v_dot4_i32_i8 v4, v4, v123, 0
	v_and_b32_e32 v15, 0xf0f0f0f, v15
	v_dot4_i32_i8 v4, v15, v124, v4
	v_lshrrev_b32_e32 v15, 4, v17
	v_and_b32_e32 v15, 0xf0f0f0f, v15
	v_dot4_i32_i8 v4, v15, v125, v4
	v_lshrrev_b32_e32 v15, 4, v18
	;; [unrolled: 3-line block ×6, first 2 shown]
	v_and_b32_e32 v15, 0xf0f0f0f, v15
	v_dot4_i32_i8 v16, v15, v58, v4
	buffer_load_dword v4, off, s[28:31], 0 offset:40 ; 4-byte Folded Reload
	s_waitcnt lgkmcnt(0)
	v_cvt_f32_ubyte0_e32 v14, v46
	v_cvt_f32_ubyte1_e32 v15, v46
	s_waitcnt vmcnt(0)
	ds_read_b32 v114, v4 offset:256
	v_add_u32_e32 v4, 0x2100, v110
	ds_read2_b32 v[19:20], v4 offset1:1
	s_waitcnt lgkmcnt(1)
	v_cvt_f32_f16_sdwa v118, v114 dst_sel:DWORD dst_unused:UNUSED_PAD src0_sel:WORD_1
	s_waitcnt lgkmcnt(0)
	v_and_b32_e32 v4, 0xf0f0f0f, v19
	v_dot4_i32_i8 v4, v4, v0, 0
	v_and_b32_e32 v17, 0xf0f0f0f, v20
	v_dot4_i32_i8 v4, v17, v1, v4
	v_add_u32_e32 v17, 0x2108, v110
	ds_read2_b32 v[23:24], v17 offset1:1
	s_waitcnt lgkmcnt(0)
	v_and_b32_e32 v17, 0xf0f0f0f, v23
	v_dot4_i32_i8 v4, v17, v2, v4
	v_and_b32_e32 v17, 0xf0f0f0f, v24
	v_dot4_i32_i8 v4, v17, v3, v4
	v_add_u32_e32 v17, 0x2110, v110
	ds_read2_b32 v[41:42], v17 offset1:1
	;; [unrolled: 7-line block ×3, first 2 shown]
	s_waitcnt lgkmcnt(0)
	v_and_b32_e32 v17, 0xf0f0f0f, v52
	v_dot4_i32_i8 v4, v17, v121, v4
	v_and_b32_e32 v17, 0xf0f0f0f, v53
	v_dot4_i32_i8 v17, v17, v122, v4
	buffer_load_dword v4, off, s[28:31], 0 offset:28 ; 4-byte Folded Reload
	s_waitcnt vmcnt(0)
	ds_read2_b32 v[47:48], v4 offset1:2
	v_lshrrev_b32_e32 v4, 4, v19
	v_and_b32_e32 v4, 0xf0f0f0f, v4
	v_lshrrev_b32_e32 v19, 4, v20
	v_dot4_i32_i8 v4, v4, v123, 0
	v_and_b32_e32 v19, 0xf0f0f0f, v19
	v_dot4_i32_i8 v4, v19, v124, v4
	v_lshrrev_b32_e32 v19, 4, v23
	v_and_b32_e32 v19, 0xf0f0f0f, v19
	v_dot4_i32_i8 v4, v19, v125, v4
	v_lshrrev_b32_e32 v19, 4, v24
	;; [unrolled: 3-line block ×6, first 2 shown]
	v_and_b32_e32 v19, 0xf0f0f0f, v19
	v_dot4_i32_i8 v20, v19, v58, v4
	buffer_load_dword v4, off, s[28:31], 0 offset:44 ; 4-byte Folded Reload
	s_waitcnt lgkmcnt(0)
	v_cvt_f32_ubyte0_e32 v18, v48
	v_cvt_f32_ubyte1_e32 v19, v48
	s_waitcnt vmcnt(0)
	ds_read_b32 v115, v4 offset:384
	v_add_u32_e32 v4, 0x3180, v110
	ds_read2_b32 v[23:24], v4 offset1:1
	s_waitcnt lgkmcnt(0)
	v_and_b32_e32 v4, 0xf0f0f0f, v23
	v_dot4_i32_i8 v0, v4, v0, 0
	v_and_b32_e32 v4, 0xf0f0f0f, v24
	v_dot4_i32_i8 v4, v4, v1, v0
	v_add_u32_e32 v0, 0x3188, v110
	ds_read2_b32 v[0:1], v0 offset1:1
	s_waitcnt lgkmcnt(0)
	v_and_b32_e32 v21, 0xf0f0f0f, v0
	v_dot4_i32_i8 v2, v21, v2, v4
	v_and_b32_e32 v4, 0xf0f0f0f, v1
	v_dot4_i32_i8 v4, v4, v3, v2
	v_add_u32_e32 v2, 0x3190, v110
	ds_read2_b32 v[2:3], v2 offset1:1
	v_lshrrev_b32_e32 v0, 4, v0
	v_and_b32_e32 v0, 0xf0f0f0f, v0
	v_lshrrev_b32_e32 v1, 4, v1
	v_and_b32_e32 v1, 0xf0f0f0f, v1
	s_waitcnt lgkmcnt(0)
	v_and_b32_e32 v21, 0xf0f0f0f, v2
	v_dot4_i32_i8 v4, v21, v119, v4
	v_and_b32_e32 v21, 0xf0f0f0f, v3
	v_dot4_i32_i8 v4, v21, v120, v4
	v_add_u32_e32 v21, 0x3198, v110
	ds_read2_b32 v[52:53], v21 offset1:1
	v_cvt_f32_f16_sdwa v119, v115 dst_sel:DWORD dst_unused:UNUSED_PAD src0_sel:WORD_1
	s_waitcnt lgkmcnt(0)
	v_and_b32_e32 v21, 0xf0f0f0f, v52
	v_dot4_i32_i8 v4, v21, v121, v4
	v_and_b32_e32 v21, 0xf0f0f0f, v53
	v_dot4_i32_i8 v61, v21, v122, v4
	buffer_load_dword v4, off, s[28:31], 0 offset:32 ; 4-byte Folded Reload
	v_lshrrev_b32_e32 v21, 4, v24
	v_and_b32_e32 v21, 0xf0f0f0f, v21
	s_waitcnt vmcnt(0)
	ds_read2_b32 v[41:42], v4 offset1:2
	v_lshrrev_b32_e32 v4, 4, v23
	v_and_b32_e32 v4, 0xf0f0f0f, v4
	v_dot4_i32_i8 v4, v4, v123, 0
	v_dot4_i32_i8 v4, v21, v124, v4
	v_dot4_i32_i8 v0, v0, v125, v4
	v_dot4_i32_i8 v0, v1, v126, v0
	v_lshrrev_b32_e32 v1, 4, v2
	v_and_b32_e32 v1, 0xf0f0f0f, v1
	v_dot4_i32_i8 v0, v1, v55, v0
	v_lshrrev_b32_e32 v1, 4, v3
	v_and_b32_e32 v1, 0xf0f0f0f, v1
	v_dot4_i32_i8 v0, v1, v56, v0
	;; [unrolled: 3-line block ×4, first 2 shown]
	ds_read_b128 v[1:4], v68 offset:20560
	v_bfe_u32 v21, v43, 8, 8
	s_waitcnt lgkmcnt(1)
	v_cvt_f32_ubyte0_e32 v49, v42
	v_lshrrev_b32_e32 v125, 24, v45
	v_lshrrev_b32_e32 v123, 24, v47
	s_waitcnt lgkmcnt(0)
	v_fma_mix_f32 v0, v1, v10, 0 op_sel:[1,0,0] op_sel_hi:[1,0,0]
	v_and_b32_e32 v10, 0xff, v43
	v_mul_lo_u32 v9, v9, v10
	v_mul_lo_u32 v10, v12, v21
	v_fma_mix_f32 v0, v2, v11, v0 op_sel:[1,0,0] op_sel_hi:[1,0,0]
	v_mul_f32_e32 v0, v0, v116
	v_cvt_f32_i32_e32 v9, v9
	v_cvt_f32_i32_e32 v10, v10
	v_lshrrev_b32_e32 v121, 24, v41
	v_fma_mix_f32 v9, v1, v9, 0 op_sel_hi:[1,0,0]
	v_fma_mix_f32 v9, v2, v10, v9 op_sel_hi:[1,0,0]
	v_fma_mix_f32 v0, v9, v112, -v0 op_sel_hi:[0,1,0]
	v_add_f32_e32 v126, v6, v0
	v_and_b32_e32 v6, 0xff, v45
	v_bfe_u32 v9, v45, 8, 8
	v_mul_lo_u32 v6, v13, v6
	v_mul_lo_u32 v9, v16, v9
	v_fma_mix_f32 v0, v1, v14, 0 op_sel:[1,0,0] op_sel_hi:[1,0,0]
	v_fma_mix_f32 v0, v2, v15, v0 op_sel:[1,0,0] op_sel_hi:[1,0,0]
	v_cvt_f32_i32_e32 v6, v6
	v_cvt_f32_i32_e32 v9, v9
	v_mul_f32_e32 v0, v0, v117
	v_fma_mix_f32 v6, v1, v6, 0 op_sel_hi:[1,0,0]
	v_fma_mix_f32 v6, v2, v9, v6 op_sel_hi:[1,0,0]
	v_fma_mix_f32 v0, v6, v113, -v0 op_sel_hi:[0,1,0]
	v_and_b32_e32 v6, 0xff, v47
	v_add_f32_e32 v124, v7, v0
	v_bfe_u32 v7, v47, 8, 8
	v_mul_lo_u32 v6, v17, v6
	v_mul_lo_u32 v7, v20, v7
	v_fma_mix_f32 v0, v1, v18, 0 op_sel:[1,0,0] op_sel_hi:[1,0,0]
	v_fma_mix_f32 v0, v2, v19, v0 op_sel:[1,0,0] op_sel_hi:[1,0,0]
	v_cvt_f32_i32_e32 v6, v6
	v_cvt_f32_i32_e32 v7, v7
	v_mul_f32_e32 v0, v0, v118
	v_fma_mix_f32 v6, v1, v6, 0 op_sel_hi:[1,0,0]
	v_fma_mix_f32 v6, v2, v7, v6 op_sel_hi:[1,0,0]
	v_fma_mix_f32 v0, v6, v114, -v0 op_sel_hi:[0,1,0]
	v_add_f32_e32 v122, v8, v0
	v_and_b32_e32 v0, 0xff, v41
	v_bfe_u32 v6, v41, 8, 8
	v_mul_lo_u32 v0, v61, v0
	v_mul_lo_u32 v6, v67, v6
	v_cvt_f32_ubyte2_e32 v61, v44
	v_cvt_f32_ubyte3_e32 v44, v44
	v_cvt_f32_i32_e32 v0, v0
	v_cvt_f32_i32_e32 v6, v6
	v_fma_mix_f32 v0, v1, v0, 0 op_sel_hi:[1,0,0]
	v_fma_mix_f32 v1, v1, v49, 0 op_sel:[1,0,0] op_sel_hi:[1,0,0]
	v_fma_mix_f32 v0, v2, v6, v0 op_sel_hi:[1,0,0]
	v_cvt_f32_ubyte1_e32 v6, v42
	v_fma_mix_f32 v1, v2, v6, v1 op_sel:[1,0,0] op_sel_hi:[1,0,0]
	v_mul_f32_e32 v1, v1, v119
	v_fma_mix_f32 v0, v0, v115, -v1 op_sel_hi:[0,1,0]
	v_add_f32_e32 v120, v5, v0
	ds_read_b128 v[17:20], v66 offset:64
	ds_read_b128 v[13:16], v66 offset:80
	;; [unrolled: 1-line block ×4, first 2 shown]
	ds_read2_b32 v[0:1], v110 offset0:8 offset1:9
	ds_read2_b32 v[23:24], v110 offset0:10 offset1:11
	;; [unrolled: 1-line block ×4, first 2 shown]
	s_waitcnt lgkmcnt(3)
	v_and_b32_e32 v2, 0xf0f0f0f, v0
	v_lshrrev_b32_e32 v0, 4, v0
	v_and_b32_e32 v21, 0xf0f0f0f, v1
	v_and_b32_e32 v0, 0xf0f0f0f, v0
	v_lshrrev_b32_e32 v1, 4, v1
	v_dot4_i32_i8 v0, v0, v9, 0
	v_and_b32_e32 v1, 0xf0f0f0f, v1
	v_dot4_i32_i8 v0, v1, v10, v0
	s_waitcnt lgkmcnt(2)
	v_lshrrev_b32_e32 v1, 4, v23
	v_and_b32_e32 v1, 0xf0f0f0f, v1
	v_dot4_i32_i8 v0, v1, v11, v0
	v_lshrrev_b32_e32 v1, 4, v24
	v_and_b32_e32 v1, 0xf0f0f0f, v1
	v_dot4_i32_i8 v0, v1, v12, v0
	s_waitcnt lgkmcnt(1)
	v_lshrrev_b32_e32 v1, 4, v52
	v_and_b32_e32 v1, 0xf0f0f0f, v1
	v_dot4_i32_i8 v2, v2, v17, 0
	v_dot4_i32_i8 v0, v1, v5, v0
	v_lshrrev_b32_e32 v1, 4, v53
	v_dot4_i32_i8 v2, v21, v18, v2
	v_and_b32_e32 v21, 0xf0f0f0f, v23
	v_and_b32_e32 v1, 0xf0f0f0f, v1
	v_dot4_i32_i8 v2, v21, v19, v2
	v_and_b32_e32 v21, 0xf0f0f0f, v24
	v_dot4_i32_i8 v0, v1, v6, v0
	s_waitcnt lgkmcnt(0)
	v_lshrrev_b32_e32 v1, 4, v55
	v_dot4_i32_i8 v2, v21, v20, v2
	v_and_b32_e32 v21, 0xf0f0f0f, v52
	v_and_b32_e32 v1, 0xf0f0f0f, v1
	v_dot4_i32_i8 v2, v21, v13, v2
	v_and_b32_e32 v21, 0xf0f0f0f, v53
	v_dot4_i32_i8 v0, v1, v7, v0
	v_lshrrev_b32_e32 v1, 4, v56
	v_dot4_i32_i8 v2, v21, v14, v2
	v_and_b32_e32 v21, 0xf0f0f0f, v55
	v_and_b32_e32 v1, 0xf0f0f0f, v1
	v_dot4_i32_i8 v2, v21, v15, v2
	v_and_b32_e32 v21, 0xf0f0f0f, v56
	v_dot4_i32_i8 v67, v1, v8, v0
	v_add_u32_e32 v0, 0x10a0, v110
	v_dot4_i32_i8 v49, v21, v16, v2
	ds_read2_b32 v[1:2], v0 offset1:1
	v_cvt_f32_ubyte2_e32 v24, v46
	s_waitcnt lgkmcnt(0)
	v_and_b32_e32 v0, 0xf0f0f0f, v1
	v_dot4_i32_i8 v0, v0, v17, 0
	v_and_b32_e32 v21, 0xf0f0f0f, v2
	v_dot4_i32_i8 v0, v21, v18, v0
	v_add_u32_e32 v21, 0x10a8, v110
	ds_read2_b32 v[52:53], v21 offset1:1
	s_waitcnt lgkmcnt(0)
	v_and_b32_e32 v21, 0xf0f0f0f, v52
	v_dot4_i32_i8 v0, v21, v19, v0
	v_and_b32_e32 v21, 0xf0f0f0f, v53
	v_dot4_i32_i8 v0, v21, v20, v0
	v_add_u32_e32 v21, 0x10b0, v110
	ds_read2_b32 v[55:56], v21 offset1:1
	;; [unrolled: 7-line block ×3, first 2 shown]
	s_waitcnt lgkmcnt(0)
	v_and_b32_e32 v21, 0xf0f0f0f, v57
	v_dot4_i32_i8 v0, v21, v15, v0
	v_and_b32_e32 v21, 0xf0f0f0f, v58
	v_dot4_i32_i8 v23, v21, v16, v0
	v_lshrrev_b32_e32 v0, 4, v1
	v_and_b32_e32 v0, 0xf0f0f0f, v0
	v_lshrrev_b32_e32 v1, 4, v2
	v_dot4_i32_i8 v0, v0, v9, 0
	v_and_b32_e32 v1, 0xf0f0f0f, v1
	v_dot4_i32_i8 v0, v1, v10, v0
	v_lshrrev_b32_e32 v1, 4, v52
	v_and_b32_e32 v1, 0xf0f0f0f, v1
	v_dot4_i32_i8 v0, v1, v11, v0
	v_lshrrev_b32_e32 v1, 4, v53
	;; [unrolled: 3-line block ×6, first 2 shown]
	v_and_b32_e32 v1, 0xf0f0f0f, v1
	v_dot4_i32_i8 v2, v1, v8, v0
	v_add_u32_e32 v0, 0x2120, v110
	ds_read2_b32 v[55:56], v0 offset1:1
	v_cvt_f32_ubyte3_e32 v1, v46
	v_mul_lo_u32 v2, v2, v125
	s_waitcnt lgkmcnt(0)
	v_and_b32_e32 v0, 0xf0f0f0f, v55
	v_dot4_i32_i8 v0, v0, v17, 0
	v_and_b32_e32 v21, 0xf0f0f0f, v56
	v_dot4_i32_i8 v0, v21, v18, v0
	v_add_u32_e32 v21, 0x2128, v110
	ds_read2_b32 v[57:58], v21 offset1:1
	v_lshrrev_b32_e32 v53, 4, v56
	v_and_b32_e32 v53, 0xf0f0f0f, v53
	v_cvt_f32_i32_e32 v2, v2
	s_waitcnt lgkmcnt(0)
	v_and_b32_e32 v21, 0xf0f0f0f, v57
	v_dot4_i32_i8 v0, v21, v19, v0
	v_and_b32_e32 v21, 0xf0f0f0f, v58
	v_dot4_i32_i8 v0, v21, v20, v0
	v_add_u32_e32 v21, 0x2130, v110
	ds_read2_b32 v[59:60], v21 offset1:1
	s_waitcnt lgkmcnt(0)
	v_and_b32_e32 v21, 0xf0f0f0f, v59
	v_dot4_i32_i8 v0, v21, v13, v0
	v_and_b32_e32 v21, 0xf0f0f0f, v60
	v_dot4_i32_i8 v0, v21, v14, v0
	v_add_u32_e32 v21, 0x2138, v110
	ds_read2_b32 v[21:22], v21 offset1:1
	s_waitcnt lgkmcnt(0)
	v_and_b32_e32 v46, 0xf0f0f0f, v21
	v_dot4_i32_i8 v0, v46, v15, v0
	v_and_b32_e32 v46, 0xf0f0f0f, v22
	v_dot4_i32_i8 v52, v46, v16, v0
	v_lshrrev_b32_e32 v46, 4, v55
	v_and_b32_e32 v46, 0xf0f0f0f, v46
	v_dot4_i32_i8 v46, v46, v9, 0
	v_dot4_i32_i8 v46, v53, v10, v46
	v_lshrrev_b32_e32 v53, 4, v57
	v_and_b32_e32 v53, 0xf0f0f0f, v53
	v_dot4_i32_i8 v46, v53, v11, v46
	v_lshrrev_b32_e32 v53, 4, v58
	v_and_b32_e32 v53, 0xf0f0f0f, v53
	;; [unrolled: 3-line block ×4, first 2 shown]
	v_lshrrev_b32_e32 v21, 4, v21
	v_dot4_i32_i8 v46, v53, v6, v46
	v_and_b32_e32 v21, 0xf0f0f0f, v21
	v_lshrrev_b32_e32 v22, 4, v22
	v_dot4_i32_i8 v21, v21, v7, v46
	v_and_b32_e32 v22, 0xf0f0f0f, v22
	v_dot4_i32_i8 v53, v22, v8, v21
	v_add_u32_e32 v21, 0x31a0, v110
	ds_read2_b32 v[21:22], v21 offset1:1
	v_cvt_f32_ubyte2_e32 v0, v48
	v_cvt_f32_ubyte3_e32 v46, v48
	v_fma_mix_f32 v0, v3, v0, 0 op_sel:[1,0,0] op_sel_hi:[1,0,0]
	v_fma_mix_f32 v0, v4, v46, v0 op_sel:[1,0,0] op_sel_hi:[1,0,0]
	s_waitcnt lgkmcnt(0)
	v_and_b32_e32 v48, 0xf0f0f0f, v21
	v_dot4_i32_i8 v17, v48, v17, 0
	v_and_b32_e32 v48, 0xf0f0f0f, v22
	v_dot4_i32_i8 v48, v48, v18, v17
	v_add_u32_e32 v17, 0x31a8, v110
	ds_read2_b32 v[17:18], v17 offset1:1
	v_lshrrev_b32_e32 v21, 4, v21
	v_and_b32_e32 v21, 0xf0f0f0f, v21
	v_dot4_i32_i8 v9, v21, v9, 0
	v_lshrrev_b32_e32 v21, 4, v22
	s_waitcnt lgkmcnt(0)
	v_and_b32_e32 v55, 0xf0f0f0f, v17
	v_dot4_i32_i8 v19, v55, v19, v48
	v_and_b32_e32 v48, 0xf0f0f0f, v18
	v_dot4_i32_i8 v48, v48, v20, v19
	v_add_u32_e32 v19, 0x31b0, v110
	ds_read2_b32 v[19:20], v19 offset1:1
	v_and_b32_e32 v21, 0xf0f0f0f, v21
	v_dot4_i32_i8 v9, v21, v10, v9
	v_lshrrev_b32_e32 v10, 4, v17
	v_and_b32_e32 v10, 0xf0f0f0f, v10
	s_waitcnt lgkmcnt(0)
	v_and_b32_e32 v55, 0xf0f0f0f, v19
	v_dot4_i32_i8 v13, v55, v13, v48
	v_and_b32_e32 v48, 0xf0f0f0f, v20
	v_dot4_i32_i8 v48, v48, v14, v13
	v_add_u32_e32 v13, 0x31b8, v110
	v_dot4_i32_i8 v9, v10, v11, v9
	v_lshrrev_b32_e32 v10, 4, v18
	ds_read2_b32 v[13:14], v13 offset1:1
	v_and_b32_e32 v10, 0xf0f0f0f, v10
	v_dot4_i32_i8 v9, v10, v12, v9
	v_lshrrev_b32_e32 v10, 4, v19
	v_and_b32_e32 v10, 0xf0f0f0f, v10
	v_dot4_i32_i8 v5, v10, v5, v9
	v_lshrrev_b32_e32 v9, 4, v20
	v_and_b32_e32 v9, 0xf0f0f0f, v9
	v_dot4_i32_i8 v5, v9, v6, v5
	s_waitcnt lgkmcnt(0)
	v_lshrrev_b32_e32 v6, 4, v13
	v_and_b32_e32 v6, 0xf0f0f0f, v6
	v_dot4_i32_i8 v5, v6, v7, v5
	v_lshrrev_b32_e32 v6, 4, v14
	v_bfe_u32 v7, v43, 16, 8
	v_and_b32_e32 v6, 0xf0f0f0f, v6
	v_mul_lo_u32 v7, v49, v7
	v_dot4_i32_i8 v5, v6, v8, v5
	v_mul_lo_u32 v8, v67, v127
	v_fma_mix_f32 v6, v3, v61, 0 op_sel:[1,0,0] op_sel_hi:[1,0,0]
	v_cvt_f32_i32_e32 v7, v7
	v_fma_mix_f32 v6, v4, v44, v6 op_sel:[1,0,0] op_sel_hi:[1,0,0]
	v_cvt_f32_i32_e32 v8, v8
	v_mul_f32_e32 v6, v6, v116
	v_fma_mix_f32 v7, v3, v7, 0 op_sel_hi:[1,0,0]
	v_and_b32_e32 v55, 0xf0f0f0f, v13
	v_fma_mix_f32 v7, v4, v8, v7 op_sel_hi:[1,0,0]
	v_bfe_u32 v8, v45, 16, 8
	v_mul_lo_u32 v8, v23, v8
	v_fma_mix_f32 v6, v7, v112, -v6 op_sel_hi:[0,1,0]
	v_fma_mix_f32 v7, v3, v24, 0 op_sel:[1,0,0] op_sel_hi:[1,0,0]
	v_fma_mix_f32 v1, v4, v1, v7 op_sel:[1,0,0] op_sel_hi:[1,0,0]
	v_cvt_f32_i32_e32 v8, v8
	v_mul_f32_e32 v1, v1, v117
	v_mul_f32_e32 v0, v0, v118
	v_dot4_i32_i8 v15, v55, v15, v48
	v_fma_mix_f32 v8, v3, v8, 0 op_sel_hi:[1,0,0]
	v_fma_mix_f32 v2, v4, v2, v8 op_sel_hi:[1,0,0]
	v_fma_mix_f32 v1, v2, v113, -v1 op_sel_hi:[0,1,0]
	v_add_f32_e32 v7, v124, v1
	v_bfe_u32 v1, v47, 16, 8
	v_mul_lo_u32 v1, v52, v1
	v_mul_lo_u32 v2, v53, v123
	v_and_b32_e32 v48, 0xf0f0f0f, v14
	v_dot4_i32_i8 v15, v48, v16, v15
	v_cvt_f32_i32_e32 v1, v1
	v_cvt_f32_i32_e32 v2, v2
	v_cvt_f32_ubyte2_e32 v16, v42
	v_add_f32_e32 v6, v126, v6
	v_fma_mix_f32 v1, v3, v1, 0 op_sel_hi:[1,0,0]
	v_fma_mix_f32 v1, v4, v2, v1 op_sel_hi:[1,0,0]
	v_fma_mix_f32 v0, v1, v114, -v0 op_sel_hi:[0,1,0]
	v_add_f32_e32 v8, v122, v0
	v_bfe_u32 v0, v41, 16, 8
	v_mul_lo_u32 v0, v15, v0
	v_mul_lo_u32 v1, v5, v121
	v_fma_mix_f32 v2, v3, v16, 0 op_sel:[1,0,0] op_sel_hi:[1,0,0]
	v_cvt_f32_i32_e32 v0, v0
	v_cvt_f32_i32_e32 v1, v1
	s_barrier
	v_fma_mix_f32 v0, v3, v0, 0 op_sel_hi:[1,0,0]
	v_fma_mix_f32 v0, v4, v1, v0 op_sel_hi:[1,0,0]
	v_cvt_f32_ubyte3_e32 v1, v42
	v_fma_mix_f32 v1, v4, v1, v2 op_sel:[1,0,0] op_sel_hi:[1,0,0]
	v_mul_f32_e32 v1, v1, v119
	v_fma_mix_f32 v0, v0, v115, -v1 op_sel_hi:[0,1,0]
	v_add_f32_e32 v5, v120, v0
	s_cbranch_scc1 .LBB212_5
; %bb.12:                               ;   in Loop: Header=BB212_6 Depth=1
	v_cmp_gt_i32_e32 vcc, s10, v54
	s_and_b64 s[24:25], s[2:3], vcc
	s_and_saveexec_b64 s[4:5], s[24:25]
	s_cbranch_execz .LBB212_14
; %bb.13:                               ;   in Loop: Header=BB212_6 Depth=1
	buffer_load_dword v1, off, s[28:31], 0 offset:48 ; 4-byte Folded Reload
	buffer_load_dword v2, off, s[28:31], 0 offset:52 ; 4-byte Folded Reload
	v_add_u32_e32 v0, v69, v54
	s_waitcnt vmcnt(0)
	v_mad_i64_i32 v[0:1], s[24:25], v0, 36, v[1:2]
	global_load_dword v0, v[0:1], off offset:4
	s_nop 0
	buffer_load_dword v1, off, s[28:31], 0 offset:56 ; 4-byte Folded Reload
	s_waitcnt vmcnt(0)
	ds_write_b32 v1, v0
.LBB212_14:                             ;   in Loop: Header=BB212_6 Depth=1
	s_or_b64 exec, exec, s[4:5]
	s_and_saveexec_b64 s[4:5], s[0:1]
	s_cbranch_execz .LBB212_4
; %bb.15:                               ;   in Loop: Header=BB212_6 Depth=1
	v_add_u32_e32 v0, 4, v111
	v_cmp_gt_i32_e32 vcc, s10, v0
	s_and_b64 s[24:25], s[2:3], vcc
	s_and_b64 exec, exec, s[24:25]
	s_cbranch_execz .LBB212_4
; %bb.16:                               ;   in Loop: Header=BB212_6 Depth=1
	v_ashrrev_i32_e32 v0, 31, v111
	v_ashrrev_i32_e32 v1, 31, v69
	v_add_co_u32_e32 v2, vcc, v69, v111
	v_addc_co_u32_e32 v3, vcc, v1, v0, vcc
	v_mad_u64_u32 v[0:1], s[24:25], v2, 36, s[6:7]
	v_mad_i32_i24 v1, v3, 36, v1
	global_load_dword v0, v[0:1], off offset:144
	s_nop 0
	buffer_load_dword v1, off, s[28:31], 0 offset:60 ; 4-byte Folded Reload
	s_waitcnt vmcnt(0)
	v_add_u32_e32 v1, v1, v68
	ds_write_b32 v1, v0
	s_branch .LBB212_4
.LBB212_17:
	buffer_load_dword v111, off, s[28:31], 0 offset:64 ; 4-byte Folded Reload
	buffer_load_dword v45, off, s[28:31], 0 offset:68 ; 4-byte Folded Reload
.LBB212_18:
	s_mul_i32 s0, s14, s11
	s_waitcnt vmcnt(0)
	v_cmp_gt_i32_e32 vcc, s0, v45
	s_and_saveexec_b64 s[0:1], vcc
	s_cbranch_execz .LBB212_27
; %bb.19:
	v_mul_lo_u32 v0, v45, s13
	v_add_u32_e32 v1, s15, v111
	v_cmp_gt_u32_e32 vcc, s13, v1
	s_and_saveexec_b64 s[0:1], vcc
	s_cbranch_execz .LBB212_21
; %bb.20:
	v_add_u32_e32 v2, v0, v1
	v_mov_b32_e32 v3, 0
	v_lshlrev_b64 v[2:3], 1, v[2:3]
	v_cvt_f16_f32_e32 v6, v6
	v_mov_b32_e32 v4, s17
	v_add_co_u32_e32 v2, vcc, s16, v2
	v_addc_co_u32_e32 v3, vcc, v4, v3, vcc
	global_store_short v[2:3], v6, off
.LBB212_21:
	s_or_b64 exec, exec, s[0:1]
	v_add_u32_e32 v2, 32, v1
	v_cmp_gt_u32_e32 vcc, s13, v2
	s_and_saveexec_b64 s[0:1], vcc
	s_cbranch_execz .LBB212_23
; %bb.22:
	v_add_u32_e32 v2, v0, v2
	v_mov_b32_e32 v3, 0
	v_lshlrev_b64 v[2:3], 1, v[2:3]
	v_cvt_f16_f32_e32 v6, v7
	v_mov_b32_e32 v4, s17
	v_add_co_u32_e32 v2, vcc, s16, v2
	v_addc_co_u32_e32 v3, vcc, v4, v3, vcc
	global_store_short v[2:3], v6, off
.LBB212_23:
	s_or_b64 exec, exec, s[0:1]
	v_add_u32_e32 v2, 64, v1
	v_cmp_gt_u32_e32 vcc, s13, v2
	s_and_saveexec_b64 s[0:1], vcc
	s_cbranch_execz .LBB212_25
; %bb.24:
	v_add_u32_e32 v2, v0, v2
	v_mov_b32_e32 v3, 0
	v_lshlrev_b64 v[2:3], 1, v[2:3]
	v_cvt_f16_f32_e32 v6, v8
	v_mov_b32_e32 v4, s17
	v_add_co_u32_e32 v2, vcc, s16, v2
	v_addc_co_u32_e32 v3, vcc, v4, v3, vcc
	global_store_short v[2:3], v6, off
.LBB212_25:
	s_or_b64 exec, exec, s[0:1]
	v_add_u32_e32 v1, 0x60, v1
	v_cmp_gt_u32_e32 vcc, s13, v1
	s_and_b64 exec, exec, vcc
	s_cbranch_execz .LBB212_27
; %bb.26:
	v_add_u32_e32 v0, v0, v1
	v_mov_b32_e32 v1, 0
	v_lshlrev_b64 v[0:1], 1, v[0:1]
	v_cvt_f16_f32_e32 v3, v5
	v_mov_b32_e32 v2, s17
	v_add_co_u32_e32 v0, vcc, s16, v0
	v_addc_co_u32_e32 v1, vcc, v2, v1, vcc
	global_store_short v[0:1], v3, off
.LBB212_27:
	s_endpgm
	.section	.rodata,"a",@progbits
	.p2align	6, 0x0
	.amdhsa_kernel _ZL8moe_q4_KIN3c104HalfELb1EEvPKvS3_PT_PKiS7_S7_iiiiiii
		.amdhsa_group_segment_fixed_size 20688
		.amdhsa_private_segment_fixed_size 76
		.amdhsa_kernarg_size 76
		.amdhsa_user_sgpr_count 6
		.amdhsa_user_sgpr_private_segment_buffer 1
		.amdhsa_user_sgpr_dispatch_ptr 0
		.amdhsa_user_sgpr_queue_ptr 0
		.amdhsa_user_sgpr_kernarg_segment_ptr 1
		.amdhsa_user_sgpr_dispatch_id 0
		.amdhsa_user_sgpr_flat_scratch_init 0
		.amdhsa_user_sgpr_private_segment_size 0
		.amdhsa_uses_dynamic_stack 0
		.amdhsa_system_sgpr_private_segment_wavefront_offset 1
		.amdhsa_system_sgpr_workgroup_id_x 1
		.amdhsa_system_sgpr_workgroup_id_y 1
		.amdhsa_system_sgpr_workgroup_id_z 0
		.amdhsa_system_sgpr_workgroup_info 0
		.amdhsa_system_vgpr_workitem_id 1
		.amdhsa_next_free_vgpr 128
		.amdhsa_next_free_sgpr 98
		.amdhsa_reserve_vcc 1
		.amdhsa_reserve_flat_scratch 0
		.amdhsa_float_round_mode_32 0
		.amdhsa_float_round_mode_16_64 0
		.amdhsa_float_denorm_mode_32 3
		.amdhsa_float_denorm_mode_16_64 3
		.amdhsa_dx10_clamp 1
		.amdhsa_ieee_mode 1
		.amdhsa_fp16_overflow 0
		.amdhsa_exception_fp_ieee_invalid_op 0
		.amdhsa_exception_fp_denorm_src 0
		.amdhsa_exception_fp_ieee_div_zero 0
		.amdhsa_exception_fp_ieee_overflow 0
		.amdhsa_exception_fp_ieee_underflow 0
		.amdhsa_exception_fp_ieee_inexact 0
		.amdhsa_exception_int_div_zero 0
	.end_amdhsa_kernel
	.section	.text._ZL8moe_q4_KIN3c104HalfELb1EEvPKvS3_PT_PKiS7_S7_iiiiiii,"axG",@progbits,_ZL8moe_q4_KIN3c104HalfELb1EEvPKvS3_PT_PKiS7_S7_iiiiiii,comdat
.Lfunc_end212:
	.size	_ZL8moe_q4_KIN3c104HalfELb1EEvPKvS3_PT_PKiS7_S7_iiiiiii, .Lfunc_end212-_ZL8moe_q4_KIN3c104HalfELb1EEvPKvS3_PT_PKiS7_S7_iiiiiii
                                        ; -- End function
	.set _ZL8moe_q4_KIN3c104HalfELb1EEvPKvS3_PT_PKiS7_S7_iiiiiii.num_vgpr, 128
	.set _ZL8moe_q4_KIN3c104HalfELb1EEvPKvS3_PT_PKiS7_S7_iiiiiii.num_agpr, 0
	.set _ZL8moe_q4_KIN3c104HalfELb1EEvPKvS3_PT_PKiS7_S7_iiiiiii.numbered_sgpr, 32
	.set _ZL8moe_q4_KIN3c104HalfELb1EEvPKvS3_PT_PKiS7_S7_iiiiiii.num_named_barrier, 0
	.set _ZL8moe_q4_KIN3c104HalfELb1EEvPKvS3_PT_PKiS7_S7_iiiiiii.private_seg_size, 76
	.set _ZL8moe_q4_KIN3c104HalfELb1EEvPKvS3_PT_PKiS7_S7_iiiiiii.uses_vcc, 1
	.set _ZL8moe_q4_KIN3c104HalfELb1EEvPKvS3_PT_PKiS7_S7_iiiiiii.uses_flat_scratch, 0
	.set _ZL8moe_q4_KIN3c104HalfELb1EEvPKvS3_PT_PKiS7_S7_iiiiiii.has_dyn_sized_stack, 0
	.set _ZL8moe_q4_KIN3c104HalfELb1EEvPKvS3_PT_PKiS7_S7_iiiiiii.has_recursion, 0
	.set _ZL8moe_q4_KIN3c104HalfELb1EEvPKvS3_PT_PKiS7_S7_iiiiiii.has_indirect_call, 0
	.section	.AMDGPU.csdata,"",@progbits
; Kernel info:
; codeLenInByte = 11640
; TotalNumSgprs: 36
; NumVgprs: 128
; ScratchSize: 76
; MemoryBound: 0
; FloatMode: 240
; IeeeMode: 1
; LDSByteSize: 20688 bytes/workgroup (compile time only)
; SGPRBlocks: 12
; VGPRBlocks: 31
; NumSGPRsForWavesPerEU: 102
; NumVGPRsForWavesPerEU: 128
; Occupancy: 2
; WaveLimiterHint : 1
; COMPUTE_PGM_RSRC2:SCRATCH_EN: 1
; COMPUTE_PGM_RSRC2:USER_SGPR: 6
; COMPUTE_PGM_RSRC2:TRAP_HANDLER: 0
; COMPUTE_PGM_RSRC2:TGID_X_EN: 1
; COMPUTE_PGM_RSRC2:TGID_Y_EN: 1
; COMPUTE_PGM_RSRC2:TGID_Z_EN: 0
; COMPUTE_PGM_RSRC2:TIDIG_COMP_CNT: 1
	.section	.text._ZL8moe_q5_KIN3c104HalfELb0EEvPKvS3_PT_PKiS7_S7_iiiiiii,"axG",@progbits,_ZL8moe_q5_KIN3c104HalfELb0EEvPKvS3_PT_PKiS7_S7_iiiiiii,comdat
	.globl	_ZL8moe_q5_KIN3c104HalfELb0EEvPKvS3_PT_PKiS7_S7_iiiiiii ; -- Begin function _ZL8moe_q5_KIN3c104HalfELb0EEvPKvS3_PT_PKiS7_S7_iiiiiii
	.p2align	8
	.type	_ZL8moe_q5_KIN3c104HalfELb0EEvPKvS3_PT_PKiS7_S7_iiiiiii,@function
_ZL8moe_q5_KIN3c104HalfELb0EEvPKvS3_PT_PKiS7_S7_iiiiiii: ; @_ZL8moe_q5_KIN3c104HalfELb0EEvPKvS3_PT_PKiS7_S7_iiiiiii
; %bb.0:
	s_load_dwordx4 s[0:3], s[4:5], 0x18
	s_mov_b32 s8, s7
	s_mov_b32 s9, 0
	s_lshl_b64 s[10:11], s[8:9], 2
	s_waitcnt lgkmcnt(0)
	s_add_u32 s2, s2, s10
	s_addc_u32 s3, s3, s11
	s_load_dword s2, s[2:3], 0x0
	s_waitcnt lgkmcnt(0)
	s_cmpk_gt_u32 s2, 0xff
	s_cbranch_scc1 .LBB213_26
; %bb.1:
	s_load_dwordx2 s[10:11], s[4:5], 0x28
	s_lshl_b32 s3, s8, 3
	s_waitcnt lgkmcnt(0)
	s_load_dword s7, s[10:11], 0x0
	s_waitcnt lgkmcnt(0)
	s_cmp_gt_u32 s3, s7
	s_cbranch_scc1 .LBB213_26
; %bb.2:
	v_add_u32_e32 v8, s3, v1
	v_mov_b32_e32 v9, 0
	v_lshlrev_b64 v[2:3], 2, v[8:9]
	v_mov_b32_e32 v4, s1
	v_add_co_u32_e32 v2, vcc, s0, v2
	v_addc_co_u32_e32 v3, vcc, v4, v3, vcc
	global_load_dword v10, v[2:3], off
	s_load_dwordx2 s[18:19], s[4:5], 0x30
	s_load_dwordx2 s[16:17], s[4:5], 0x10
	s_load_dwordx4 s[8:11], s[4:5], 0x3c
	s_lshl_b32 s22, s6, 7
	v_mov_b32_e32 v126, v9
	s_waitcnt lgkmcnt(0)
	s_cmpk_lt_i32 s19, 0x100
	v_mov_b32_e32 v127, v9
	v_mov_b32_e32 v82, v9
	s_cbranch_scc1 .LBB213_17
; %bb.3:
	s_ashr_i32 s0, s19, 31
	s_lshr_b32 s0, s0, 24
	s_add_i32 s0, s19, s0
	s_ashr_i32 s23, s0, 8
	s_ashr_i32 s0, s9, 31
	s_lshr_b32 s0, s0, 27
	s_add_i32 s0, s9, s0
	v_and_b32_e32 v4, 7, v0
	s_ashr_i32 s9, s0, 5
	v_lshlrev_b32_e32 v9, 3, v0
	v_lshlrev_b32_e32 v4, 2, v4
	s_movk_i32 s0, 0xc0
	v_mul_u32_u24_e32 v7, 0x41, v1
	v_and_or_b32 v4, v9, s0, v4
	s_lshl_b32 s0, s23, 3
	v_lshl_add_u32 v13, v7, 2, v4
	v_mov_b32_e32 v4, s0
	v_mad_i32_i24 v40, s23, v1, v4
	v_add_u32_e32 v44, s0, v40
	v_add_u32_e32 v48, s0, v44
	;; [unrolled: 1-line block ×5, first 2 shown]
	v_lshl_add_u32 v4, v1, 5, v0
	v_add_u32_e32 v64, s0, v60
	v_and_b32_e32 v9, 0x7f, v4
	v_lshrrev_b32_e32 v4, 3, v4
	s_mul_i32 s18, s2, s18
	v_add_u32_e32 v68, s0, v64
	v_mul_i32_i24_e32 v7, s23, v9
	v_and_b32_e32 v4, 12, v4
	v_lshlrev_b32_e32 v9, 2, v9
	s_mov_b32 s2, 0x8e40
	v_and_b32_e32 v18, 3, v0
	v_add_u32_e32 v72, s0, v68
	v_add3_u32 v14, v9, v4, s2
	v_add_u32_e32 v4, 0xfe, v18
	v_add_u32_e32 v76, s0, v72
	v_and_b32_e32 v4, 0xff, v4
	v_cmp_gt_u32_e32 vcc, 2, v18
	v_lshrrev_b32_e32 v6, 2, v0
	v_add_u32_e32 v80, s0, v76
	v_lshlrev_b32_e32 v9, 3, v1
	v_cndmask_b32_e32 v16, v4, v18, vcc
	v_cmp_ne_u32_e32 vcc, 0, v18
	v_and_b32_e32 v11, 6, v6
	v_add_u32_e32 v85, s0, v80
	v_add_u32_e32 v17, v6, v9
	v_addc_co_u32_e32 v4, vcc, 0, v16, vcc
	v_add_u16_e32 v6, v6, v9
	v_add_u32_e32 v89, s0, v85
	v_cmp_lt_u32_e32 vcc, 1, v18
	v_and_b32_e32 v19, 0x7f, v17
	v_lshlrev_b32_e32 v18, 2, v18
	v_lshrrev_b16_e32 v6, 1, v6
	v_add_u32_e32 v93, s0, v89
	v_lshl_or_b32 v17, v19, 4, v18
	v_and_b32_e32 v6, 60, v6
	s_mov_b32 s0, 0x8200
	s_load_dwordx4 s[12:15], s[4:5], 0x0
	v_add3_u32 v17, v17, v6, s0
	v_xor_b32_e32 v6, 64, v19
	s_abs_i32 s5, s11
	v_mul_i32_i24_e32 v103, s23, v6
	v_lshl_or_b32 v9, v6, 4, v18
	v_lshrrev_b32_e32 v6, 1, v6
	v_cvt_f32_u32_e32 v29, s5
	v_and_b32_e32 v6, 60, v6
	v_add3_u32 v18, v9, v6, s0
	v_mov_b32_e32 v9, 0x8a40
	v_lshlrev_b32_e32 v5, 2, v0
	v_and_b32_e32 v6, 31, v0
	v_lshl_add_u32 v20, v1, 7, v9
	v_lshrrev_b32_e32 v23, 3, v0
	v_lshrrev_b32_e32 v8, 5, v0
	v_lshl_add_u32 v21, v6, 2, v20
	v_add_u32_e32 v6, v23, v5
	v_mov_b32_e32 v9, 0x8200
	v_rcp_iflag_f32_e32 v30, v29
	v_lshl_add_u32 v24, v6, 2, v9
	v_lshlrev_b32_e32 v6, 2, v8
	v_add3_u32 v26, v5, v6, s2
	v_add_u32_e32 v6, 32, v0
	v_lshrrev_b32_e32 v27, 3, v6
	v_lshl_add_u32 v6, v6, 2, v27
	v_mul_f32_e32 v30, 0x4f7ffffe, v30
	v_lshl_add_u32 v28, v6, 2, v9
	v_and_b32_e32 v6, 60, v27
	v_cvt_u32_f32_e32 v32, v30
	v_add3_u32 v29, v5, v6, s2
	v_add_u32_e32 v6, 64, v0
	v_lshrrev_b32_e32 v31, 3, v6
	v_lshl_add_u32 v6, v6, 2, v31
	s_sub_i32 s3, 0, s5
	v_lshl_add_u32 v30, v6, 2, v9
	v_mul_lo_u32 v6, s3, v32
	s_waitcnt vmcnt(0)
	v_sub_u32_e32 v36, 0, v10
	v_max_i32_e32 v36, v10, v36
	v_add_u32_e32 v33, 0x60, v0
	v_mul_hi_u32 v6, v32, v6
	v_lshrrev_b32_e32 v34, 3, v33
	v_and_b32_e32 v31, 60, v31
	v_add3_u32 v31, v5, v31, s2
	v_add_u32_e32 v6, v32, v6
	v_mul_hi_u32 v6, v36, v6
	v_lshl_add_u32 v32, v33, 2, v34
	v_lshl_add_u32 v32, v32, 2, v9
	v_and_b32_e32 v9, 60, v34
	v_mul_lo_u32 v34, v6, s5
	v_add3_u32 v33, v5, v9, s2
	v_and_b32_e32 v2, 0x7c, v5
	v_and_b32_e32 v3, 28, v5
	v_sub_u32_e32 v9, v36, v34
	v_add_u32_e32 v34, 1, v6
	v_cmp_le_u32_e64 s[2:3], s5, v9
	v_cndmask_b32_e64 v6, v6, v34, s[2:3]
	v_subrev_u32_e32 v34, s5, v9
	v_cndmask_b32_e64 v9, v9, v34, s[2:3]
	v_and_b32_e32 v15, 4, v5
	v_mul_i32_i24_e32 v101, s23, v19
	v_add_u32_e32 v19, 0x9050, v5
	v_xor_b32_e32 v5, s11, v10
	v_add_u32_e32 v34, 1, v6
	v_cmp_le_u32_e64 s[2:3], s5, v9
	s_mul_i32 s4, s23, s22
	v_ashrrev_i32_e32 v5, 31, v5
	v_cndmask_b32_e64 v6, v6, v34, s[2:3]
	v_xor_b32_e32 v6, v6, v5
	s_mul_i32 s20, s4, 0xb0
	v_sub_u32_e32 v34, v6, v5
	s_mul_hi_i32 s21, s4, 0xb0
	v_mov_b32_e32 v5, s20
	s_movk_i32 s25, 0xb0
	v_mov_b32_e32 v6, s21
	v_mad_u64_u32 v[8:9], s[4:5], v8, s25, v[5:6]
	v_mul_i32_i24_e32 v35, s23, v1
	s_waitcnt lgkmcnt(0)
	v_mov_b32_e32 v36, s15
	v_add_co_u32_e64 v5, s[4:5], s14, v3
	v_addc_co_u32_e64 v6, s[4:5], 0, v36, s[4:5]
	v_mad_u64_u32 v[38:39], s[4:5], v35, s25, v[8:9]
	v_mov_b32_e32 v41, s13
	v_mov_b32_e32 v45, s13
	v_add_co_u32_e64 v36, s[4:5], v38, v3
	v_addc_co_u32_e64 v37, s[4:5], 0, v39, s[4:5]
	v_add_co_u32_e64 v36, s[4:5], s12, v36
	v_addc_co_u32_e64 v37, s[4:5], v41, v37, s[4:5]
	;; [unrolled: 2-line block ×5, first 2 shown]
	v_mad_u64_u32 v[42:43], s[4:5], v40, s25, v[8:9]
	v_add_co_u32_e64 v38, s[4:5], 48, v38
	v_addc_co_u32_e64 v39, s[4:5], 0, v39, s[4:5]
	v_add_co_u32_e64 v40, s[4:5], v42, v3
	v_addc_co_u32_e64 v41, s[4:5], 0, v43, s[4:5]
	;; [unrolled: 2-line block ×6, first 2 shown]
	v_mad_u64_u32 v[46:47], s[4:5], v44, s25, v[8:9]
	v_add_co_u32_e64 v42, s[4:5], 48, v42
	v_addc_co_u32_e64 v43, s[4:5], 0, v43, s[4:5]
	v_add_co_u32_e64 v44, s[4:5], v46, v3
	v_addc_co_u32_e64 v45, s[4:5], 0, v47, s[4:5]
	v_mov_b32_e32 v49, s13
	v_add_co_u32_e64 v44, s[4:5], s12, v44
	v_addc_co_u32_e64 v45, s[4:5], v49, v45, s[4:5]
	v_add_co_u32_e64 v44, s[4:5], 16, v44
	v_addc_co_u32_e64 v45, s[4:5], 0, v45, s[4:5]
	v_add_co_u32_e64 v46, s[4:5], v46, v2
	v_addc_co_u32_e64 v47, s[4:5], 0, v47, s[4:5]
	v_add_co_u32_e64 v46, s[4:5], s12, v46
	v_addc_co_u32_e64 v47, s[4:5], v49, v47, s[4:5]
	v_mad_u64_u32 v[50:51], s[4:5], v48, s25, v[8:9]
	v_add_co_u32_e64 v46, s[4:5], 48, v46
	v_addc_co_u32_e64 v47, s[4:5], 0, v47, s[4:5]
	v_add_co_u32_e64 v48, s[4:5], v50, v3
	v_addc_co_u32_e64 v49, s[4:5], 0, v51, s[4:5]
	v_mov_b32_e32 v53, s13
	v_add_co_u32_e64 v48, s[4:5], s12, v48
	v_addc_co_u32_e64 v49, s[4:5], v53, v49, s[4:5]
	v_add_co_u32_e64 v48, s[4:5], 16, v48
	v_addc_co_u32_e64 v49, s[4:5], 0, v49, s[4:5]
	v_add_co_u32_e64 v50, s[4:5], v50, v2
	v_addc_co_u32_e64 v51, s[4:5], 0, v51, s[4:5]
	v_add_co_u32_e64 v50, s[4:5], s12, v50
	v_addc_co_u32_e64 v51, s[4:5], v53, v51, s[4:5]
	;; [unrolled: 14-line block ×13, first 2 shown]
	s_mul_i32 s4, s23, 0x78
	v_mov_b32_e32 v97, s4
	v_lshlrev_b32_e32 v22, 4, v1
	v_mad_i32_i24 v1, s23, v1, v97
	v_mad_u64_u32 v[8:9], s[4:5], v1, s25, v[8:9]
	v_add_co_u32_e64 v95, s[4:5], 48, v95
	v_addc_co_u32_e64 v96, s[4:5], 0, v96, s[4:5]
	v_add_co_u32_e64 v1, s[4:5], v8, v3
	v_addc_co_u32_e64 v3, s[4:5], 0, v9, s[4:5]
	v_mov_b32_e32 v97, s13
	v_add_co_u32_e64 v1, s[4:5], s12, v1
	v_addc_co_u32_e64 v3, s[4:5], v97, v3, s[4:5]
	v_add_co_u32_e64 v97, s[4:5], 16, v1
	v_addc_co_u32_e64 v98, s[4:5], 0, v3, s[4:5]
	;; [unrolled: 2-line block ×3, first 2 shown]
	v_mov_b32_e32 v3, s13
	v_add_co_u32_e64 v1, s[4:5], s12, v1
	v_addc_co_u32_e64 v2, s[4:5], v3, v2, s[4:5]
	v_cmp_gt_u32_e64 s[0:1], 4, v0
	v_cmp_gt_i32_e64 s[2:3], s8, v34
	v_add_co_u32_e64 v99, s[4:5], 48, v1
	s_ashr_i32 s24, s18, 31
	s_and_b64 s[6:7], s[0:1], s[2:3]
	v_addc_co_u32_e64 v100, s[4:5], 0, v2, s[4:5]
	s_add_u32 s4, s12, s20
	s_addc_u32 s5, s13, s21
	v_mov_b32_e32 v1, s4
	v_mov_b32_e32 v2, s5
	v_mad_u64_u32 v[101:102], s[4:5], v101, s25, 0
	v_mad_u64_u32 v[7:8], s[4:5], v7, s25, v[1:2]
	v_cndmask_b32_e64 v3, 0, 1, vcc
	v_add_co_u32_e64 v2, s[4:5], s20, v101
	v_lshlrev_b32_e32 v3, 2, v3
	v_mov_b32_e32 v1, s21
	v_or_b32_e32 v9, v2, v3
	v_cndmask_b32_e32 v15, 0, v15, vcc
	v_addc_co_u32_e64 v1, s[4:5], v1, v102, s[4:5]
	v_mov_b32_e32 v101, s13
	v_add_co_u32_e32 v9, vcc, s12, v9
	v_addc_co_u32_e32 v102, vcc, v101, v1, vcc
	v_add_co_u32_e32 v101, vcc, 4, v9
	v_addc_co_u32_e32 v102, vcc, 0, v102, vcc
	v_lshlrev_b32_e32 v4, 2, v4
	v_add_co_u32_e32 v2, vcc, v2, v4
	v_addc_co_u32_e32 v1, vcc, 0, v1, vcc
	v_mov_b32_e32 v9, s13
	v_add_co_u32_e32 v104, vcc, s12, v2
	v_addc_co_u32_e32 v9, vcc, v9, v1, vcc
	v_mad_u64_u32 v[1:2], s[4:5], v103, s25, 0
	v_add_co_u32_e32 v103, vcc, 4, v104
	v_addc_co_u32_e32 v104, vcc, 0, v9, vcc
	v_mov_b32_e32 v9, s21
	v_add_co_u32_e32 v1, vcc, s20, v1
	v_addc_co_u32_e32 v2, vcc, v9, v2, vcc
	v_or_b32_e32 v3, v1, v3
	v_mov_b32_e32 v9, s13
	v_add_co_u32_e32 v3, vcc, s12, v3
	v_addc_co_u32_e32 v9, vcc, v9, v2, vcc
	v_add_co_u32_e32 v105, vcc, 4, v3
	v_addc_co_u32_e32 v106, vcc, 0, v9, vcc
	v_add_co_u32_e32 v1, vcc, v1, v4
	v_mul_lo_u32 v34, v34, s9
	v_addc_co_u32_e32 v2, vcc, 0, v2, vcc
	v_mov_b32_e32 v3, s13
	v_add_co_u32_e32 v1, vcc, s12, v1
	v_addc_co_u32_e32 v2, vcc, v3, v2, vcc
	v_add_co_u32_e32 v107, vcc, 4, v1
	v_mov_b32_e32 v82, 0
	v_or_b32_e32 v12, 1, v11
	v_lshlrev_b32_e32 v16, 1, v16
	v_mul_u32_u24_e32 v25, 0x104, v0
	v_ashrrev_i32_e32 v35, 31, v34
	v_addc_co_u32_e32 v108, vcc, 0, v2, vcc
	s_movk_i32 s12, 0x80
	s_mov_b32 s13, 0x10101010
	s_mov_b32 s20, 0x30303030
	v_mov_b32_e32 v109, s24
	v_add_u32_e32 v110, 0x800, v13
	v_add_u32_e32 v111, 0x1000, v13
	v_add_u32_e32 v112, 0x1800, v13
	v_add_u32_e32 v113, 0x2000, v13
	v_add_u32_e32 v114, 0x2800, v13
	v_add_u32_e32 v115, 0x3000, v13
	v_add_u32_e32 v116, 0x3800, v13
	v_add_u32_e32 v117, 0x4000, v13
	v_add_u32_e32 v118, 0x4800, v13
	v_add_u32_e32 v119, 0x5000, v13
	v_add_u32_e32 v120, 0x5800, v13
	v_add_u32_e32 v121, 0x6000, v13
	v_add_u32_e32 v122, 0x6800, v13
	v_add_u32_e32 v123, 0x7000, v13
	v_add_u32_e32 v124, 0x7800, v13
	v_mov_b32_e32 v125, v0
	v_mov_b32_e32 v127, 0
	;; [unrolled: 1-line block ×4, first 2 shown]
	s_branch .LBB213_6
.LBB213_4:                              ;   in Loop: Header=BB213_6 Depth=1
	s_or_b64 exec, exec, s[4:5]
	s_waitcnt lgkmcnt(0)
	s_barrier
	ds_read_b128 v[129:132], v20
	ds_read_b128 v[133:136], v20 offset:16
	ds_read2_b32 v[145:146], v25 offset0:32 offset1:33
	ds_read_b128 v[137:140], v20 offset:32
	ds_read_b128 v[141:144], v20 offset:48
	ds_read_b32 v128, v26
	ds_read_b128 v[1:4], v22 offset:36944
	ds_read2_b32 v[147:148], v25 offset0:34 offset1:35
	s_waitcnt lgkmcnt(5)
	v_dot4_i32_i8 v145, v145, v129, 0
	v_dot4_i32_i8 v153, v146, v130, v145
	ds_read2_b32 v[145:146], v25 offset0:36 offset1:37
	ds_read2_b32 v[149:150], v25 offset0:38 offset1:39
	;; [unrolled: 1-line block ×3, first 2 shown]
	v_add_u32_e32 v157, 0x2110, v25
	s_waitcnt lgkmcnt(3)
	v_dot4_i32_i8 v147, v147, v131, v153
	v_dot4_i32_i8 v153, v148, v132, v147
	s_waitcnt lgkmcnt(2)
	v_dot4_i32_i8 v145, v145, v133, v153
	v_dot4_i32_i8 v145, v146, v134, v145
	;; [unrolled: 3-line block ×3, first 2 shown]
	ds_read2_b32 v[145:146], v25 offset0:42 offset1:43
	s_waitcnt lgkmcnt(1)
	v_dot4_i32_i8 v149, v151, v137, 0
	ds_read2_b32 v[147:148], v24 offset0:1 offset1:3
	v_dot4_i32_i8 v155, v152, v138, v149
	ds_read2_b32 v[149:150], v25 offset0:44 offset1:45
	ds_read2_b32 v[151:152], v25 offset0:46 offset1:47
	;; [unrolled: 1-line block ×3, first 2 shown]
	s_waitcnt lgkmcnt(4)
	v_dot4_i32_i8 v145, v145, v139, v155
	v_dot4_i32_i8 v145, v146, v140, v145
	s_waitcnt lgkmcnt(2)
	v_dot4_i32_i8 v145, v149, v141, v145
	v_dot4_i32_i8 v145, v150, v142, v145
	;; [unrolled: 3-line block ×3, first 2 shown]
	v_add_u32_e32 v145, 0x2100, v25
	ds_read2_b32 v[145:146], v145 offset1:1
	ds_read2_b32 v[149:150], v25 offset0:58 offset1:59
	ds_read2_b32 v[151:152], v25 offset0:60 offset1:61
	;; [unrolled: 1-line block ×3, first 2 shown]
	ds_read_b32 v172, v29 offset:128
	ds_read_b32 v173, v31 offset:256
	;; [unrolled: 1-line block ×3, first 2 shown]
	s_waitcnt lgkmcnt(6)
	v_dot4_i32_i8 v145, v145, v129, 0
	v_dot4_i32_i8 v163, v146, v130, v145
	v_add_u32_e32 v145, 0x2108, v25
	ds_read2_b32 v[145:146], v145 offset1:1
	v_add_u32_e32 v159, 0x2118, v25
	v_add_u32_e32 v161, 0x2120, v25
	ds_read2_b32 v[157:158], v157 offset1:1
	ds_read2_b32 v[159:160], v159 offset1:1
	;; [unrolled: 1-line block ×3, first 2 shown]
	v_cvt_f32_ubyte0_e32 v168, v148
	s_waitcnt lgkmcnt(3)
	v_dot4_i32_i8 v145, v145, v131, v163
	v_dot4_i32_i8 v163, v146, v132, v145
	s_waitcnt lgkmcnt(2)
	v_dot4_i32_i8 v157, v157, v133, v163
	v_dot4_i32_i8 v157, v158, v134, v157
	;; [unrolled: 3-line block ×4, first 2 shown]
	v_add_u32_e32 v157, 0x2128, v25
	ds_read2_b32 v[157:158], v157 offset1:1
	v_add_u32_e32 v159, 0x2130, v25
	v_add_u32_e32 v161, 0x2138, v25
	;; [unrolled: 1-line block ×3, first 2 shown]
	ds_read2_b32 v[145:146], v28 offset0:1 offset1:3
	ds_read2_b32 v[159:160], v159 offset1:1
	ds_read2_b32 v[161:162], v161 offset1:1
	;; [unrolled: 1-line block ×3, first 2 shown]
	s_waitcnt lgkmcnt(4)
	v_dot4_i32_i8 v157, v157, v139, v165
	v_dot4_i32_i8 v157, v158, v140, v157
	s_waitcnt lgkmcnt(2)
	v_dot4_i32_i8 v157, v159, v141, v157
	v_dot4_i32_i8 v157, v160, v142, v157
	;; [unrolled: 3-line block ×4, first 2 shown]
	v_add_u32_e32 v157, 0x4188, v25
	ds_read2_b32 v[157:158], v157 offset1:1
	v_add_u32_e32 v159, 0x4190, v25
	v_add_u32_e32 v161, 0x4198, v25
	;; [unrolled: 1-line block ×3, first 2 shown]
	ds_read2_b32 v[159:160], v159 offset1:1
	ds_read2_b32 v[161:162], v161 offset1:1
	;; [unrolled: 1-line block ×3, first 2 shown]
	s_waitcnt lgkmcnt(3)
	v_dot4_i32_i8 v157, v157, v131, v165
	v_dot4_i32_i8 v165, v158, v132, v157
	s_waitcnt lgkmcnt(2)
	v_dot4_i32_i8 v159, v159, v133, v165
	v_dot4_i32_i8 v159, v160, v134, v159
	;; [unrolled: 3-line block ×4, first 2 shown]
	v_add_u32_e32 v159, 0x41a8, v25
	v_add_u32_e32 v161, 0x41b0, v25
	;; [unrolled: 1-line block ×4, first 2 shown]
	ds_read2_b32 v[157:158], v30 offset0:1 offset1:3
	ds_read2_b32 v[159:160], v159 offset1:1
	ds_read2_b32 v[161:162], v161 offset1:1
	;; [unrolled: 1-line block ×4, first 2 shown]
	v_cvt_f32_ubyte1_e32 v170, v148
	v_cvt_f32_f16_sdwa v171, v128 dst_sel:DWORD dst_unused:UNUSED_PAD src0_sel:WORD_1
	v_cvt_f32_ubyte0_e32 v176, v146
	s_waitcnt lgkmcnt(3)
	v_dot4_i32_i8 v159, v159, v139, v182
	s_waitcnt lgkmcnt(0)
	v_dot4_i32_i8 v129, v165, v129, 0
	v_dot4_i32_i8 v159, v160, v140, v159
	;; [unrolled: 1-line block ×3, first 2 shown]
	v_add_u32_e32 v129, 0x6208, v25
	v_dot4_i32_i8 v159, v161, v141, v159
	ds_read2_b32 v[129:130], v129 offset1:1
	v_dot4_i32_i8 v159, v162, v142, v159
	v_dot4_i32_i8 v159, v163, v143, v159
	;; [unrolled: 1-line block ×3, first 2 shown]
	v_add_u32_e32 v159, 0x6210, v25
	v_add_u32_e32 v161, 0x6218, v25
	;; [unrolled: 1-line block ×3, first 2 shown]
	ds_read2_b32 v[159:160], v159 offset1:1
	ds_read2_b32 v[161:162], v161 offset1:1
	;; [unrolled: 1-line block ×3, first 2 shown]
	s_waitcnt lgkmcnt(3)
	v_dot4_i32_i8 v129, v129, v131, v165
	v_dot4_i32_i8 v129, v130, v132, v129
	s_waitcnt lgkmcnt(2)
	v_dot4_i32_i8 v129, v159, v133, v129
	v_dot4_i32_i8 v129, v160, v134, v129
	;; [unrolled: 3-line block ×4, first 2 shown]
	v_add_u32_e32 v129, 0x6228, v25
	ds_read2_b32 v[129:130], v129 offset1:1
	v_add_u32_e32 v131, 0x6230, v25
	v_add_u32_e32 v133, 0x6238, v25
	ds_read2_b32 v[165:166], v32 offset0:1 offset1:3
	v_add_u32_e32 v138, 0x2140, v25
	ds_read2_b32 v[131:132], v131 offset1:1
	ds_read2_b32 v[133:134], v133 offset1:1
	;; [unrolled: 1-line block ×3, first 2 shown]
	s_waitcnt lgkmcnt(4)
	v_dot4_i32_i8 v129, v129, v139, v137
	v_dot4_i32_i8 v129, v130, v140, v129
	v_and_b32_e32 v130, 0xff, v147
	s_waitcnt lgkmcnt(2)
	v_dot4_i32_i8 v129, v131, v141, v129
	v_bfe_u32 v131, v147, 8, 8
	v_mul_lo_u32 v130, v167, v130
	v_mul_lo_u32 v131, v169, v131
	v_dot4_i32_i8 v129, v132, v142, v129
	v_fma_mix_f32 v132, v1, v168, 0 op_sel:[1,0,0] op_sel_hi:[1,0,0]
	v_cvt_f32_i32_e32 v130, v130
	v_cvt_f32_i32_e32 v131, v131
	s_waitcnt lgkmcnt(1)
	v_dot4_i32_i8 v129, v133, v143, v129
	v_bfe_u32 v133, v145, 8, 8
	v_fma_mix_f32 v130, v1, v130, 0 op_sel_hi:[1,0,0]
	v_fma_mix_f32 v130, v2, v131, v130 op_sel_hi:[1,0,0]
	v_fma_mix_f32 v131, v2, v170, v132 op_sel:[1,0,0] op_sel_hi:[1,0,0]
	v_and_b32_e32 v132, 0xff, v145
	v_mul_lo_u32 v132, v175, v132
	v_mul_lo_u32 v133, v177, v133
	v_mul_f32_e32 v131, v131, v171
	v_fma_mix_f32 v130, v130, v128, -v131 op_sel_hi:[0,1,0]
	v_add_f32_e32 v82, v82, v130
	v_cvt_f32_i32_e32 v130, v132
	v_cvt_f32_i32_e32 v131, v133
	v_cvt_f32_ubyte1_e32 v178, v146
	v_cvt_f32_f16_sdwa v179, v172 dst_sel:DWORD dst_unused:UNUSED_PAD src0_sel:WORD_1
	v_fma_mix_f32 v132, v1, v176, 0 op_sel:[1,0,0] op_sel_hi:[1,0,0]
	v_fma_mix_f32 v130, v1, v130, 0 op_sel_hi:[1,0,0]
	v_fma_mix_f32 v130, v2, v131, v130 op_sel_hi:[1,0,0]
	v_fma_mix_f32 v131, v2, v178, v132 op_sel:[1,0,0] op_sel_hi:[1,0,0]
	v_and_b32_e32 v132, 0xff, v157
	v_bfe_u32 v133, v157, 8, 8
	v_mul_lo_u32 v132, v180, v132
	v_mul_lo_u32 v133, v182, v133
	v_mul_f32_e32 v131, v131, v179
	v_fma_mix_f32 v130, v130, v172, -v131 op_sel_hi:[0,1,0]
	v_add_f32_e32 v167, v127, v130
	v_cvt_f32_i32_e32 v127, v132
	v_cvt_f32_i32_e32 v130, v133
	v_cvt_f32_f16_sdwa v184, v173 dst_sel:DWORD dst_unused:UNUSED_PAD src0_sel:WORD_1
	v_cvt_f32_ubyte0_e32 v181, v158
	v_cvt_f32_ubyte1_e32 v183, v158
	v_fma_mix_f32 v131, v1, v181, 0 op_sel:[1,0,0] op_sel_hi:[1,0,0]
	v_fma_mix_f32 v127, v1, v127, 0 op_sel_hi:[1,0,0]
	v_fma_mix_f32 v127, v2, v130, v127 op_sel_hi:[1,0,0]
	v_fma_mix_f32 v130, v2, v183, v131 op_sel:[1,0,0] op_sel_hi:[1,0,0]
	v_mul_f32_e32 v130, v130, v184
	v_and_b32_e32 v131, 0xff, v165
	v_dot4_i32_i8 v129, v134, v144, v129
	v_mul_lo_u32 v131, v135, v131
	v_fma_mix_f32 v127, v127, v173, -v130 op_sel_hi:[0,1,0]
	v_bfe_u32 v130, v165, 8, 8
	v_mul_lo_u32 v129, v129, v130
	v_cvt_f32_i32_e32 v130, v131
	v_add_f32_e32 v169, v126, v127
	v_cvt_f32_f16_sdwa v175, v174 dst_sel:DWORD dst_unused:UNUSED_PAD src0_sel:WORD_1
	v_cvt_f32_i32_e32 v126, v129
	v_cvt_f32_ubyte0_e32 v136, v166
	v_fma_mix_f32 v127, v1, v130, 0 op_sel_hi:[1,0,0]
	v_fma_mix_f32 v1, v1, v136, 0 op_sel:[1,0,0] op_sel_hi:[1,0,0]
	v_fma_mix_f32 v126, v2, v126, v127 op_sel_hi:[1,0,0]
	v_cvt_f32_ubyte1_e32 v127, v166
	v_fma_mix_f32 v1, v2, v127, v1 op_sel:[1,0,0] op_sel_hi:[1,0,0]
	v_mul_f32_e32 v1, v1, v175
	ds_read_b128 v[129:132], v20 offset:64
	v_fma_mix_f32 v1, v126, v174, -v1 op_sel_hi:[0,1,0]
	v_add_f32_e32 v9, v9, v1
	ds_read_b128 v[133:136], v20 offset:80
	ds_read_b128 v[137:140], v20 offset:96
	;; [unrolled: 1-line block ×3, first 2 shown]
	ds_read2_b32 v[1:2], v25 offset0:50 offset1:51
	s_waitcnt lgkmcnt(4)
	v_dot4_i32_i8 v126, v153, v129, 0
	v_dot4_i32_i8 v176, v154, v130, v126
	ds_read2_b32 v[126:127], v25 offset0:52 offset1:53
	ds_read2_b32 v[153:154], v25 offset0:54 offset1:55
	ds_read2_b32 v[161:162], v25 offset0:56 offset1:57
	v_lshrrev_b32_e32 v163, 24, v147
	s_waitcnt lgkmcnt(3)
	v_dot4_i32_i8 v1, v1, v131, v176
	v_dot4_i32_i8 v1, v2, v132, v1
	s_waitcnt lgkmcnt(2)
	v_dot4_i32_i8 v1, v126, v133, v1
	v_dot4_i32_i8 v1, v127, v134, v1
	;; [unrolled: 3-line block ×4, first 2 shown]
	v_dot4_i32_i8 v1, v149, v139, v1
	v_dot4_i32_i8 v1, v150, v140, v1
	;; [unrolled: 1-line block ×8, first 2 shown]
	v_add_u32_e32 v1, 0x2148, v25
	ds_read2_b32 v[1:2], v1 offset1:1
	v_cvt_f32_ubyte2_e32 v154, v148
	v_cvt_f32_ubyte3_e32 v155, v148
	v_add_u32_e32 v126, 0x2150, v25
	v_add_u32_e32 v148, 0x2158, v25
	v_add_u32_e32 v150, 0x2160, v25
	ds_read2_b32 v[126:127], v126 offset1:1
	ds_read2_b32 v[148:149], v148 offset1:1
	ds_read2_b32 v[150:151], v150 offset1:1
	s_waitcnt lgkmcnt(3)
	v_dot4_i32_i8 v1, v1, v131, v156
	v_dot4_i32_i8 v1, v2, v132, v1
	s_waitcnt lgkmcnt(2)
	v_dot4_i32_i8 v1, v126, v133, v1
	v_dot4_i32_i8 v1, v127, v134, v1
	s_waitcnt lgkmcnt(1)
	v_dot4_i32_i8 v1, v148, v135, v1
	v_dot4_i32_i8 v156, v149, v136, v1
	s_waitcnt lgkmcnt(0)
	v_dot4_i32_i8 v1, v150, v137, 0
	v_dot4_i32_i8 v160, v151, v138, v1
	v_add_u32_e32 v1, 0x2168, v25
	ds_read2_b32 v[1:2], v1 offset1:1
	v_add_u32_e32 v126, 0x2170, v25
	v_add_u32_e32 v148, 0x2178, v25
	v_add_u32_e32 v150, 0x41c0, v25
	ds_read2_b32 v[126:127], v126 offset1:1
	ds_read2_b32 v[148:149], v148 offset1:1
	ds_read2_b32 v[150:151], v150 offset1:1
	s_waitcnt lgkmcnt(3)
	v_dot4_i32_i8 v1, v1, v139, v160
	v_dot4_i32_i8 v1, v2, v140, v1
	s_waitcnt lgkmcnt(2)
	v_dot4_i32_i8 v1, v126, v141, v1
	v_dot4_i32_i8 v1, v127, v142, v1
	s_waitcnt lgkmcnt(1)
	v_dot4_i32_i8 v1, v148, v143, v1
	v_dot4_i32_i8 v160, v149, v144, v1
	s_waitcnt lgkmcnt(0)
	v_dot4_i32_i8 v1, v150, v129, 0
	v_dot4_i32_i8 v161, v151, v130, v1
	v_add_u32_e32 v1, 0x41c8, v25
	ds_read2_b32 v[1:2], v1 offset1:1
	;; [unrolled: 20-line block ×5, first 2 shown]
	v_add_u32_e32 v126, 0x6270, v25
	ds_read2_b32 v[126:127], v126 offset1:1
	v_add_u32_e32 v129, 0x6278, v25
	ds_read2_b32 v[129:130], v129 offset1:1
	s_waitcnt lgkmcnt(2)
	v_dot4_i32_i8 v1, v1, v139, v133
	v_dot4_i32_i8 v1, v2, v140, v1
	v_bfe_u32 v2, v147, 16, 8
	v_mul_lo_u32 v2, v153, v2
	s_waitcnt lgkmcnt(1)
	v_dot4_i32_i8 v1, v126, v141, v1
	v_mul_lo_u32 v126, v152, v163
	v_dot4_i32_i8 v1, v127, v142, v1
	v_cvt_f32_i32_e32 v2, v2
	v_fma_mix_f32 v127, v3, v154, 0 op_sel:[1,0,0] op_sel_hi:[1,0,0]
	v_cvt_f32_i32_e32 v126, v126
	v_lshrrev_b32_e32 v164, 24, v145
	v_fma_mix_f32 v2, v3, v2, 0 op_sel_hi:[1,0,0]
	s_waitcnt lgkmcnt(0)
	v_dot4_i32_i8 v1, v129, v143, v1
	v_fma_mix_f32 v2, v4, v126, v2 op_sel_hi:[1,0,0]
	v_fma_mix_f32 v126, v4, v155, v127 op_sel:[1,0,0] op_sel_hi:[1,0,0]
	v_bfe_u32 v127, v145, 16, 8
	v_mul_lo_u32 v127, v156, v127
	v_mul_lo_u32 v129, v160, v164
	v_mul_f32_e32 v126, v126, v171
	v_fma_mix_f32 v2, v2, v128, -v126 op_sel_hi:[0,1,0]
	v_cvt_f32_i32_e32 v126, v127
	v_cvt_f32_i32_e32 v127, v129
	v_lshrrev_b32_e32 v168, 24, v157
	v_cvt_f32_ubyte2_e32 v159, v146
	v_fma_mix_f32 v126, v3, v126, 0 op_sel_hi:[1,0,0]
	v_fma_mix_f32 v126, v4, v127, v126 op_sel_hi:[1,0,0]
	v_bfe_u32 v127, v157, 16, 8
	v_mul_lo_u32 v127, v161, v127
	v_cvt_f32_ubyte3_e32 v146, v146
	v_add_f32_e32 v82, v82, v2
	v_fma_mix_f32 v2, v3, v159, 0 op_sel:[1,0,0] op_sel_hi:[1,0,0]
	v_mul_lo_u32 v128, v176, v168
	v_fma_mix_f32 v2, v4, v146, v2 op_sel:[1,0,0] op_sel_hi:[1,0,0]
	v_mul_f32_e32 v2, v2, v179
	v_fma_mix_f32 v2, v126, v172, -v2 op_sel_hi:[0,1,0]
	v_cvt_f32_i32_e32 v126, v127
	v_cvt_f32_i32_e32 v128, v128
	v_lshrrev_b32_e32 v170, 24, v165
	v_dot4_i32_i8 v1, v130, v144, v1
	v_fma_mix_f32 v126, v3, v126, 0 op_sel_hi:[1,0,0]
	v_fma_mix_f32 v126, v4, v128, v126 op_sel_hi:[1,0,0]
	v_bfe_u32 v128, v165, 16, 8
	v_mul_lo_u32 v128, v131, v128
	v_mul_lo_u32 v1, v1, v170
	v_cvt_f32_ubyte2_e32 v162, v158
	v_cvt_f32_ubyte3_e32 v158, v158
	v_add_f32_e32 v127, v167, v2
	v_fma_mix_f32 v2, v3, v162, 0 op_sel:[1,0,0] op_sel_hi:[1,0,0]
	v_cvt_f32_i32_e32 v128, v128
	v_fma_mix_f32 v2, v4, v158, v2 op_sel:[1,0,0] op_sel_hi:[1,0,0]
	v_cvt_f32_i32_e32 v1, v1
	v_mul_f32_e32 v2, v2, v184
	v_fma_mix_f32 v2, v126, v173, -v2 op_sel_hi:[0,1,0]
	v_cvt_f32_ubyte2_e32 v132, v166
	v_add_f32_e32 v126, v169, v2
	v_fma_mix_f32 v2, v3, v128, 0 op_sel_hi:[1,0,0]
	v_fma_mix_f32 v3, v3, v132, 0 op_sel:[1,0,0] op_sel_hi:[1,0,0]
	v_fma_mix_f32 v1, v4, v1, v2 op_sel_hi:[1,0,0]
	v_cvt_f32_ubyte3_e32 v2, v166
	v_fma_mix_f32 v2, v4, v2, v3 op_sel:[1,0,0] op_sel_hi:[1,0,0]
	v_mul_f32_e32 v2, v2, v175
	v_fma_mix_f32 v1, v1, v174, -v2 op_sel_hi:[0,1,0]
	v_add_f32_e32 v9, v9, v1
	s_barrier
.LBB213_5:                              ;   in Loop: Header=BB213_6 Depth=1
	v_add_co_u32_e32 v36, vcc, 0xb0, v36
	v_addc_co_u32_e32 v37, vcc, 0, v37, vcc
	v_add_co_u32_e32 v38, vcc, 0xb0, v38
	v_addc_co_u32_e32 v39, vcc, 0, v39, vcc
	;; [unrolled: 2-line block ×36, first 2 shown]
	s_add_i32 s23, s23, -1
	s_addk_i32 s12, 0x100
	v_add_co_u32_e32 v107, vcc, 0xb0, v107
	v_add_u32_e32 v27, 8, v27
	v_add_u32_e32 v23, 8, v23
	;; [unrolled: 1-line block ×3, first 2 shown]
	s_cmp_eq_u32 s23, 0
	v_addc_co_u32_e32 v108, vcc, 0, v108, vcc
	s_cbranch_scc1 .LBB213_17
.LBB213_6:                              ; =>This Inner Loop Header: Depth=1
	v_add_co_u32_e32 v1, vcc, s18, v38
	v_addc_co_u32_e32 v2, vcc, v39, v109, vcc
	global_load_dword v128, v[1:2], off
	v_add_co_u32_e32 v1, vcc, s18, v36
	v_addc_co_u32_e32 v2, vcc, v37, v109, vcc
	global_load_dword v129, v[1:2], off
	v_add_co_u32_e32 v1, vcc, s18, v42
	v_addc_co_u32_e32 v2, vcc, v43, v109, vcc
	v_add_co_u32_e32 v3, vcc, s18, v40
	v_addc_co_u32_e32 v4, vcc, v41, v109, vcc
	global_load_dword v130, v[1:2], off
	v_add_co_u32_e32 v1, vcc, s18, v46
	v_addc_co_u32_e32 v2, vcc, v47, v109, vcc
	global_load_dword v131, v[3:4], off
	;; [unrolled: 3-line block ×13, first 2 shown]
	s_add_i32 s4, s12, 0xffffff80
	global_load_dword v3, v[3:4], off
	s_cmp_lt_i32 s4, s19
	s_waitcnt vmcnt(15)
	v_lshrrev_b32_e32 v1, 4, v128
	v_and_b32_e32 v144, 0xf0f0f0f, v1
	v_add_co_u32_e32 v1, vcc, s18, v70
	v_addc_co_u32_e32 v2, vcc, v71, v109, vcc
	global_load_dword v4, v[1:2], off
	v_add_co_u32_e32 v1, vcc, s18, v68
	v_addc_co_u32_e32 v2, vcc, v69, v109, vcc
	global_load_dword v1, v[1:2], off
	v_and_b32_e32 v143, 0xf0f0f0f, v128
	s_waitcnt vmcnt(16)
	v_ashrrev_i32_e32 v128, v11, v129
	v_lshlrev_b32_e32 v2, 4, v128
	v_ashrrev_i32_e32 v128, v12, v129
	v_lshlrev_b32_e32 v128, 4, v128
	v_and_or_b32 v2, v2, s13, v143
	v_and_or_b32 v128, v128, s13, v144
	ds_write2_b32 v13, v2, v128 offset1:8
	s_waitcnt vmcnt(15)
	v_and_b32_e32 v2, 0xf0f0f0f, v130
	v_lshrrev_b32_e32 v128, 4, v130
	s_waitcnt vmcnt(14)
	v_ashrrev_i32_e32 v129, v11, v131
	v_ashrrev_i32_e32 v130, v12, v131
	v_and_b32_e32 v128, 0xf0f0f0f, v128
	v_lshlrev_b32_e32 v129, 4, v129
	v_lshlrev_b32_e32 v130, 4, v130
	v_and_or_b32 v2, v129, s13, v2
	v_and_or_b32 v128, v130, s13, v128
	ds_write2_b32 v110, v2, v128 offset0:8 offset1:16
	s_waitcnt vmcnt(13)
	v_lshrrev_b32_e32 v128, 4, v132
	s_waitcnt vmcnt(12)
	v_ashrrev_i32_e32 v129, v11, v133
	v_ashrrev_i32_e32 v130, v12, v133
	v_and_b32_e32 v2, 0xf0f0f0f, v132
	v_and_b32_e32 v128, 0xf0f0f0f, v128
	v_lshlrev_b32_e32 v129, 4, v129
	v_lshlrev_b32_e32 v130, 4, v130
	v_and_or_b32 v2, v129, s13, v2
	v_and_or_b32 v128, v130, s13, v128
	ds_write2_b32 v111, v2, v128 offset0:16 offset1:24
	s_waitcnt vmcnt(11)
	v_lshrrev_b32_e32 v128, 4, v134
	s_waitcnt vmcnt(10)
	v_ashrrev_i32_e32 v129, v11, v135
	v_ashrrev_i32_e32 v130, v12, v135
	v_and_b32_e32 v2, 0xf0f0f0f, v134
	;; [unrolled: 12-line block ×6, first 2 shown]
	v_and_b32_e32 v128, 0xf0f0f0f, v128
	v_lshlrev_b32_e32 v129, 4, v129
	v_lshlrev_b32_e32 v3, 4, v3
	v_and_or_b32 v2, v129, s13, v2
	v_and_or_b32 v3, v3, s13, v128
	ds_write2_b32 v116, v2, v3 offset0:56 offset1:64
	s_waitcnt vmcnt(1)
	v_and_b32_e32 v2, 0xf0f0f0f, v4
	v_lshrrev_b32_e32 v3, 4, v4
	s_waitcnt vmcnt(0)
	v_ashrrev_i32_e32 v4, v11, v1
	v_ashrrev_i32_e32 v1, v12, v1
	v_and_b32_e32 v3, 0xf0f0f0f, v3
	v_lshlrev_b32_e32 v1, 4, v1
	v_lshlrev_b32_e32 v4, 4, v4
	v_and_or_b32 v3, v1, s13, v3
	v_add_co_u32_e32 v1, vcc, s18, v74
	v_and_or_b32 v4, v4, s13, v2
	v_addc_co_u32_e32 v2, vcc, v75, v109, vcc
	global_load_dword v128, v[1:2], off
	v_add_co_u32_e32 v1, vcc, s18, v72
	v_addc_co_u32_e32 v2, vcc, v73, v109, vcc
	global_load_dword v129, v[1:2], off
	v_add_co_u32_e32 v1, vcc, s18, v78
	;; [unrolled: 3-line block ×18, first 2 shown]
	v_addc_co_u32_e32 v2, vcc, v106, v109, vcc
	global_load_dword v1, v[1:2], off
	ds_write2_b32 v117, v4, v3 offset0:64 offset1:72
	s_waitcnt vmcnt(18)
	v_and_b32_e32 v2, 0xf0f0f0f, v128
	v_lshrrev_b32_e32 v3, 4, v128
	s_waitcnt vmcnt(17)
	v_ashrrev_i32_e32 v4, v11, v129
	v_ashrrev_i32_e32 v128, v12, v129
	v_and_b32_e32 v3, 0xf0f0f0f, v3
	v_lshlrev_b32_e32 v4, 4, v4
	v_lshlrev_b32_e32 v128, 4, v128
	v_and_or_b32 v2, v4, s13, v2
	v_and_or_b32 v3, v128, s13, v3
	ds_write2_b32 v118, v2, v3 offset0:72 offset1:80
	s_waitcnt vmcnt(16)
	v_lshrrev_b32_e32 v3, 4, v130
	s_waitcnt vmcnt(15)
	v_ashrrev_i32_e32 v4, v11, v131
	v_ashrrev_i32_e32 v128, v12, v131
	v_and_b32_e32 v2, 0xf0f0f0f, v130
	v_and_b32_e32 v3, 0xf0f0f0f, v3
	v_lshlrev_b32_e32 v4, 4, v4
	v_lshlrev_b32_e32 v128, 4, v128
	v_and_or_b32 v2, v4, s13, v2
	v_and_or_b32 v3, v128, s13, v3
	ds_write2_b32 v119, v2, v3 offset0:80 offset1:88
	s_waitcnt vmcnt(14)
	v_lshrrev_b32_e32 v3, 4, v132
	s_waitcnt vmcnt(13)
	v_ashrrev_i32_e32 v4, v11, v133
	v_ashrrev_i32_e32 v128, v12, v133
	v_and_b32_e32 v2, 0xf0f0f0f, v132
	;; [unrolled: 12-line block ×6, first 2 shown]
	v_and_b32_e32 v3, 0xf0f0f0f, v3
	v_lshlrev_b32_e32 v4, 4, v4
	v_lshlrev_b32_e32 v128, 4, v128
	v_and_or_b32 v2, v4, s13, v2
	v_and_or_b32 v3, v128, s13, v3
	ds_write2_b32 v124, v2, v3 offset0:120 offset1:128
	s_waitcnt vmcnt(4)
	ds_write_b32 v14, v142
	s_waitcnt vmcnt(3)
	v_ashrrev_i32_e32 v2, v15, v143
	v_and_b32_e32 v2, 0xf0f0f0f, v2
	s_waitcnt vmcnt(2)
	v_ashrrev_i32_e32 v3, v16, v144
	v_and_or_b32 v2, v3, s20, v2
	ds_write_b32 v17, v2
	s_waitcnt vmcnt(1)
	v_ashrrev_i32_e32 v2, v15, v145
	v_and_b32_e32 v2, 0xf0f0f0f, v2
	s_waitcnt vmcnt(0)
	v_ashrrev_i32_e32 v1, v16, v1
	v_and_or_b32 v1, v1, s20, v2
	ds_write_b32 v18, v1
	s_cbranch_scc0 .LBB213_5
; %bb.7:                                ;   in Loop: Header=BB213_6 Depth=1
	v_cmp_gt_i32_e32 vcc, s9, v23
	s_and_b64 s[24:25], s[2:3], vcc
	s_and_saveexec_b64 s[4:5], s[24:25]
	s_cbranch_execz .LBB213_9
; %bb.8:                                ;   in Loop: Header=BB213_6 Depth=1
	v_add_u32_e32 v1, v34, v23
	v_mad_i64_i32 v[1:2], s[24:25], v1, 36, v[5:6]
	global_load_dword v1, v[1:2], off offset:4
	s_waitcnt vmcnt(0)
	ds_write_b32 v21, v1
.LBB213_9:                              ;   in Loop: Header=BB213_6 Depth=1
	s_or_b64 exec, exec, s[4:5]
	v_cmp_gt_i32_e32 vcc, s9, v125
	s_and_b64 s[24:25], s[6:7], vcc
	s_and_saveexec_b64 s[4:5], s[24:25]
	s_cbranch_execz .LBB213_11
; %bb.10:                               ;   in Loop: Header=BB213_6 Depth=1
	v_add_u32_e32 v1, v34, v125
	v_mad_i64_i32 v[1:2], s[24:25], v1, 36, s[14:15]
	global_load_dword v1, v[1:2], off
	v_add_u32_e32 v2, v19, v22
	s_waitcnt vmcnt(0)
	ds_write_b32 v2, v1
.LBB213_11:                             ;   in Loop: Header=BB213_6 Depth=1
	s_or_b64 exec, exec, s[4:5]
	s_waitcnt lgkmcnt(0)
	s_barrier
	ds_read_b128 v[129:132], v20
	ds_read_b128 v[133:136], v20 offset:16
	ds_read2_b32 v[145:146], v25 offset1:1
	ds_read_b128 v[137:140], v20 offset:32
	ds_read_b128 v[141:144], v20 offset:48
	ds_read_b32 v128, v26
	ds_read_b128 v[1:4], v22 offset:36944
	ds_read2_b32 v[147:148], v25 offset0:2 offset1:3
	s_waitcnt lgkmcnt(5)
	v_dot4_i32_i8 v145, v145, v129, 0
	v_dot4_i32_i8 v153, v146, v130, v145
	ds_read2_b32 v[145:146], v25 offset0:4 offset1:5
	ds_read2_b32 v[149:150], v25 offset0:6 offset1:7
	;; [unrolled: 1-line block ×3, first 2 shown]
	v_add_u32_e32 v157, 0x2090, v25
	s_waitcnt lgkmcnt(3)
	v_dot4_i32_i8 v147, v147, v131, v153
	v_dot4_i32_i8 v153, v148, v132, v147
	s_waitcnt lgkmcnt(2)
	v_dot4_i32_i8 v145, v145, v133, v153
	v_dot4_i32_i8 v145, v146, v134, v145
	;; [unrolled: 3-line block ×3, first 2 shown]
	ds_read2_b32 v[145:146], v25 offset0:10 offset1:11
	s_waitcnt lgkmcnt(1)
	v_dot4_i32_i8 v149, v151, v137, 0
	ds_read2_b32 v[147:148], v24 offset1:2
	v_dot4_i32_i8 v155, v152, v138, v149
	ds_read2_b32 v[149:150], v25 offset0:12 offset1:13
	ds_read2_b32 v[151:152], v25 offset0:14 offset1:15
	;; [unrolled: 1-line block ×3, first 2 shown]
	s_waitcnt lgkmcnt(4)
	v_dot4_i32_i8 v145, v145, v139, v155
	v_dot4_i32_i8 v145, v146, v140, v145
	s_waitcnt lgkmcnt(2)
	v_dot4_i32_i8 v145, v149, v141, v145
	v_dot4_i32_i8 v145, v150, v142, v145
	;; [unrolled: 3-line block ×3, first 2 shown]
	v_add_u32_e32 v145, 0x2080, v25
	ds_read2_b32 v[145:146], v145 offset1:1
	ds_read2_b32 v[149:150], v25 offset0:26 offset1:27
	ds_read2_b32 v[151:152], v25 offset0:28 offset1:29
	;; [unrolled: 1-line block ×3, first 2 shown]
	ds_read_b32 v172, v29 offset:128
	ds_read_b32 v173, v31 offset:256
	;; [unrolled: 1-line block ×3, first 2 shown]
	s_waitcnt lgkmcnt(6)
	v_dot4_i32_i8 v145, v145, v129, 0
	v_dot4_i32_i8 v163, v146, v130, v145
	v_add_u32_e32 v145, 0x2088, v25
	ds_read2_b32 v[145:146], v145 offset1:1
	v_add_u32_e32 v159, 0x2098, v25
	v_add_u32_e32 v161, 0x20a0, v25
	ds_read2_b32 v[157:158], v157 offset1:1
	ds_read2_b32 v[159:160], v159 offset1:1
	;; [unrolled: 1-line block ×3, first 2 shown]
	v_cvt_f32_ubyte0_e32 v168, v148
	s_waitcnt lgkmcnt(3)
	v_dot4_i32_i8 v145, v145, v131, v163
	v_dot4_i32_i8 v163, v146, v132, v145
	s_waitcnt lgkmcnt(2)
	v_dot4_i32_i8 v157, v157, v133, v163
	v_dot4_i32_i8 v157, v158, v134, v157
	;; [unrolled: 3-line block ×4, first 2 shown]
	v_add_u32_e32 v157, 0x20a8, v25
	ds_read2_b32 v[157:158], v157 offset1:1
	v_add_u32_e32 v159, 0x20b0, v25
	v_add_u32_e32 v161, 0x20b8, v25
	;; [unrolled: 1-line block ×3, first 2 shown]
	ds_read2_b32 v[145:146], v28 offset1:2
	ds_read2_b32 v[159:160], v159 offset1:1
	;; [unrolled: 1-line block ×4, first 2 shown]
	s_waitcnt lgkmcnt(4)
	v_dot4_i32_i8 v157, v157, v139, v165
	v_dot4_i32_i8 v157, v158, v140, v157
	s_waitcnt lgkmcnt(2)
	v_dot4_i32_i8 v157, v159, v141, v157
	v_dot4_i32_i8 v157, v160, v142, v157
	;; [unrolled: 3-line block ×4, first 2 shown]
	v_add_u32_e32 v157, 0x4108, v25
	ds_read2_b32 v[157:158], v157 offset1:1
	v_add_u32_e32 v159, 0x4110, v25
	v_add_u32_e32 v161, 0x4118, v25
	;; [unrolled: 1-line block ×3, first 2 shown]
	ds_read2_b32 v[159:160], v159 offset1:1
	ds_read2_b32 v[161:162], v161 offset1:1
	;; [unrolled: 1-line block ×3, first 2 shown]
	s_waitcnt lgkmcnt(3)
	v_dot4_i32_i8 v157, v157, v131, v165
	v_dot4_i32_i8 v165, v158, v132, v157
	s_waitcnt lgkmcnt(2)
	v_dot4_i32_i8 v159, v159, v133, v165
	v_dot4_i32_i8 v159, v160, v134, v159
	;; [unrolled: 3-line block ×4, first 2 shown]
	v_add_u32_e32 v159, 0x4128, v25
	v_add_u32_e32 v161, 0x4130, v25
	;; [unrolled: 1-line block ×4, first 2 shown]
	ds_read2_b32 v[157:158], v30 offset1:2
	ds_read2_b32 v[159:160], v159 offset1:1
	;; [unrolled: 1-line block ×5, first 2 shown]
	v_cvt_f32_ubyte1_e32 v170, v148
	v_cvt_f32_f16_sdwa v171, v128 dst_sel:DWORD dst_unused:UNUSED_PAD src0_sel:WORD_1
	v_cvt_f32_ubyte0_e32 v176, v146
	s_waitcnt lgkmcnt(3)
	v_dot4_i32_i8 v159, v159, v139, v182
	s_waitcnt lgkmcnt(0)
	v_dot4_i32_i8 v129, v165, v129, 0
	v_dot4_i32_i8 v159, v160, v140, v159
	;; [unrolled: 1-line block ×3, first 2 shown]
	v_add_u32_e32 v129, 0x6188, v25
	v_dot4_i32_i8 v159, v161, v141, v159
	ds_read2_b32 v[129:130], v129 offset1:1
	v_dot4_i32_i8 v159, v162, v142, v159
	v_dot4_i32_i8 v159, v163, v143, v159
	;; [unrolled: 1-line block ×3, first 2 shown]
	v_add_u32_e32 v159, 0x6190, v25
	v_add_u32_e32 v161, 0x6198, v25
	;; [unrolled: 1-line block ×3, first 2 shown]
	ds_read2_b32 v[159:160], v159 offset1:1
	ds_read2_b32 v[161:162], v161 offset1:1
	;; [unrolled: 1-line block ×3, first 2 shown]
	s_waitcnt lgkmcnt(3)
	v_dot4_i32_i8 v129, v129, v131, v165
	v_dot4_i32_i8 v129, v130, v132, v129
	s_waitcnt lgkmcnt(2)
	v_dot4_i32_i8 v129, v159, v133, v129
	v_dot4_i32_i8 v129, v160, v134, v129
	;; [unrolled: 3-line block ×4, first 2 shown]
	v_add_u32_e32 v129, 0x61a8, v25
	ds_read2_b32 v[129:130], v129 offset1:1
	v_add_u32_e32 v131, 0x61b0, v25
	v_add_u32_e32 v133, 0x61b8, v25
	ds_read2_b32 v[165:166], v32 offset1:2
	v_add_u32_e32 v138, 0x20c0, v25
	ds_read2_b32 v[131:132], v131 offset1:1
	ds_read2_b32 v[133:134], v133 offset1:1
	;; [unrolled: 1-line block ×3, first 2 shown]
	s_waitcnt lgkmcnt(4)
	v_dot4_i32_i8 v129, v129, v139, v137
	v_dot4_i32_i8 v129, v130, v140, v129
	v_and_b32_e32 v130, 0xff, v147
	s_waitcnt lgkmcnt(2)
	v_dot4_i32_i8 v129, v131, v141, v129
	v_bfe_u32 v131, v147, 8, 8
	v_mul_lo_u32 v130, v167, v130
	v_mul_lo_u32 v131, v169, v131
	v_dot4_i32_i8 v129, v132, v142, v129
	v_fma_mix_f32 v132, v1, v168, 0 op_sel:[1,0,0] op_sel_hi:[1,0,0]
	v_cvt_f32_i32_e32 v130, v130
	v_cvt_f32_i32_e32 v131, v131
	s_waitcnt lgkmcnt(1)
	v_dot4_i32_i8 v129, v133, v143, v129
	v_bfe_u32 v133, v145, 8, 8
	v_fma_mix_f32 v130, v1, v130, 0 op_sel_hi:[1,0,0]
	v_fma_mix_f32 v130, v2, v131, v130 op_sel_hi:[1,0,0]
	v_fma_mix_f32 v131, v2, v170, v132 op_sel:[1,0,0] op_sel_hi:[1,0,0]
	v_and_b32_e32 v132, 0xff, v145
	v_mul_lo_u32 v132, v175, v132
	v_mul_lo_u32 v133, v177, v133
	v_mul_f32_e32 v131, v131, v171
	v_fma_mix_f32 v130, v130, v128, -v131 op_sel_hi:[0,1,0]
	v_add_f32_e32 v82, v82, v130
	v_cvt_f32_i32_e32 v130, v132
	v_cvt_f32_i32_e32 v131, v133
	v_cvt_f32_ubyte1_e32 v178, v146
	v_cvt_f32_f16_sdwa v179, v172 dst_sel:DWORD dst_unused:UNUSED_PAD src0_sel:WORD_1
	v_fma_mix_f32 v132, v1, v176, 0 op_sel:[1,0,0] op_sel_hi:[1,0,0]
	v_fma_mix_f32 v130, v1, v130, 0 op_sel_hi:[1,0,0]
	v_fma_mix_f32 v130, v2, v131, v130 op_sel_hi:[1,0,0]
	v_fma_mix_f32 v131, v2, v178, v132 op_sel:[1,0,0] op_sel_hi:[1,0,0]
	v_and_b32_e32 v132, 0xff, v157
	v_bfe_u32 v133, v157, 8, 8
	v_mul_lo_u32 v132, v180, v132
	v_mul_lo_u32 v133, v182, v133
	v_mul_f32_e32 v131, v131, v179
	v_fma_mix_f32 v130, v130, v172, -v131 op_sel_hi:[0,1,0]
	v_add_f32_e32 v167, v127, v130
	v_cvt_f32_i32_e32 v127, v132
	v_cvt_f32_i32_e32 v130, v133
	v_cvt_f32_f16_sdwa v184, v173 dst_sel:DWORD dst_unused:UNUSED_PAD src0_sel:WORD_1
	v_cvt_f32_ubyte0_e32 v181, v158
	v_cvt_f32_ubyte1_e32 v183, v158
	v_fma_mix_f32 v131, v1, v181, 0 op_sel:[1,0,0] op_sel_hi:[1,0,0]
	v_fma_mix_f32 v127, v1, v127, 0 op_sel_hi:[1,0,0]
	v_fma_mix_f32 v127, v2, v130, v127 op_sel_hi:[1,0,0]
	v_fma_mix_f32 v130, v2, v183, v131 op_sel:[1,0,0] op_sel_hi:[1,0,0]
	v_mul_f32_e32 v130, v130, v184
	v_and_b32_e32 v131, 0xff, v165
	v_dot4_i32_i8 v129, v134, v144, v129
	v_mul_lo_u32 v131, v135, v131
	v_fma_mix_f32 v127, v127, v173, -v130 op_sel_hi:[0,1,0]
	v_bfe_u32 v130, v165, 8, 8
	v_mul_lo_u32 v129, v129, v130
	v_cvt_f32_i32_e32 v130, v131
	v_add_f32_e32 v169, v126, v127
	v_cvt_f32_f16_sdwa v175, v174 dst_sel:DWORD dst_unused:UNUSED_PAD src0_sel:WORD_1
	v_cvt_f32_i32_e32 v126, v129
	v_cvt_f32_ubyte0_e32 v136, v166
	v_fma_mix_f32 v127, v1, v130, 0 op_sel_hi:[1,0,0]
	v_fma_mix_f32 v1, v1, v136, 0 op_sel:[1,0,0] op_sel_hi:[1,0,0]
	v_fma_mix_f32 v126, v2, v126, v127 op_sel_hi:[1,0,0]
	v_cvt_f32_ubyte1_e32 v127, v166
	v_fma_mix_f32 v1, v2, v127, v1 op_sel:[1,0,0] op_sel_hi:[1,0,0]
	v_mul_f32_e32 v1, v1, v175
	ds_read_b128 v[129:132], v20 offset:64
	v_fma_mix_f32 v1, v126, v174, -v1 op_sel_hi:[0,1,0]
	v_add_f32_e32 v9, v9, v1
	ds_read_b128 v[133:136], v20 offset:80
	ds_read_b128 v[137:140], v20 offset:96
	;; [unrolled: 1-line block ×3, first 2 shown]
	ds_read2_b32 v[1:2], v25 offset0:18 offset1:19
	s_waitcnt lgkmcnt(4)
	v_dot4_i32_i8 v126, v153, v129, 0
	v_dot4_i32_i8 v176, v154, v130, v126
	ds_read2_b32 v[126:127], v25 offset0:20 offset1:21
	ds_read2_b32 v[153:154], v25 offset0:22 offset1:23
	;; [unrolled: 1-line block ×3, first 2 shown]
	v_lshrrev_b32_e32 v163, 24, v147
	s_waitcnt lgkmcnt(3)
	v_dot4_i32_i8 v1, v1, v131, v176
	v_dot4_i32_i8 v1, v2, v132, v1
	s_waitcnt lgkmcnt(2)
	v_dot4_i32_i8 v1, v126, v133, v1
	v_dot4_i32_i8 v1, v127, v134, v1
	;; [unrolled: 3-line block ×4, first 2 shown]
	v_dot4_i32_i8 v1, v149, v139, v1
	v_dot4_i32_i8 v1, v150, v140, v1
	;; [unrolled: 1-line block ×8, first 2 shown]
	v_add_u32_e32 v1, 0x20c8, v25
	ds_read2_b32 v[1:2], v1 offset1:1
	v_cvt_f32_ubyte2_e32 v154, v148
	v_cvt_f32_ubyte3_e32 v155, v148
	v_add_u32_e32 v126, 0x20d0, v25
	v_add_u32_e32 v148, 0x20d8, v25
	v_add_u32_e32 v150, 0x20e0, v25
	ds_read2_b32 v[126:127], v126 offset1:1
	ds_read2_b32 v[148:149], v148 offset1:1
	ds_read2_b32 v[150:151], v150 offset1:1
	s_waitcnt lgkmcnt(3)
	v_dot4_i32_i8 v1, v1, v131, v156
	v_dot4_i32_i8 v1, v2, v132, v1
	s_waitcnt lgkmcnt(2)
	v_dot4_i32_i8 v1, v126, v133, v1
	v_dot4_i32_i8 v1, v127, v134, v1
	s_waitcnt lgkmcnt(1)
	v_dot4_i32_i8 v1, v148, v135, v1
	v_dot4_i32_i8 v156, v149, v136, v1
	s_waitcnt lgkmcnt(0)
	v_dot4_i32_i8 v1, v150, v137, 0
	v_dot4_i32_i8 v160, v151, v138, v1
	v_add_u32_e32 v1, 0x20e8, v25
	ds_read2_b32 v[1:2], v1 offset1:1
	v_add_u32_e32 v126, 0x20f0, v25
	v_add_u32_e32 v148, 0x20f8, v25
	v_add_u32_e32 v150, 0x4140, v25
	ds_read2_b32 v[126:127], v126 offset1:1
	ds_read2_b32 v[148:149], v148 offset1:1
	ds_read2_b32 v[150:151], v150 offset1:1
	s_waitcnt lgkmcnt(3)
	v_dot4_i32_i8 v1, v1, v139, v160
	v_dot4_i32_i8 v1, v2, v140, v1
	s_waitcnt lgkmcnt(2)
	v_dot4_i32_i8 v1, v126, v141, v1
	v_dot4_i32_i8 v1, v127, v142, v1
	s_waitcnt lgkmcnt(1)
	v_dot4_i32_i8 v1, v148, v143, v1
	v_dot4_i32_i8 v160, v149, v144, v1
	s_waitcnt lgkmcnt(0)
	v_dot4_i32_i8 v1, v150, v129, 0
	v_dot4_i32_i8 v161, v151, v130, v1
	v_add_u32_e32 v1, 0x4148, v25
	ds_read2_b32 v[1:2], v1 offset1:1
	;; [unrolled: 20-line block ×5, first 2 shown]
	v_add_u32_e32 v126, 0x61f0, v25
	ds_read2_b32 v[126:127], v126 offset1:1
	v_add_u32_e32 v129, 0x61f8, v25
	ds_read2_b32 v[129:130], v129 offset1:1
	s_waitcnt lgkmcnt(2)
	v_dot4_i32_i8 v1, v1, v139, v133
	v_dot4_i32_i8 v1, v2, v140, v1
	v_bfe_u32 v2, v147, 16, 8
	v_mul_lo_u32 v2, v153, v2
	s_waitcnt lgkmcnt(1)
	v_dot4_i32_i8 v1, v126, v141, v1
	v_mul_lo_u32 v126, v152, v163
	v_dot4_i32_i8 v1, v127, v142, v1
	v_cvt_f32_i32_e32 v2, v2
	v_fma_mix_f32 v127, v3, v154, 0 op_sel:[1,0,0] op_sel_hi:[1,0,0]
	v_cvt_f32_i32_e32 v126, v126
	v_lshrrev_b32_e32 v164, 24, v145
	v_fma_mix_f32 v2, v3, v2, 0 op_sel_hi:[1,0,0]
	s_waitcnt lgkmcnt(0)
	v_dot4_i32_i8 v1, v129, v143, v1
	v_fma_mix_f32 v2, v4, v126, v2 op_sel_hi:[1,0,0]
	v_fma_mix_f32 v126, v4, v155, v127 op_sel:[1,0,0] op_sel_hi:[1,0,0]
	v_bfe_u32 v127, v145, 16, 8
	v_mul_lo_u32 v127, v156, v127
	v_mul_lo_u32 v129, v160, v164
	v_mul_f32_e32 v126, v126, v171
	v_fma_mix_f32 v2, v2, v128, -v126 op_sel_hi:[0,1,0]
	v_cvt_f32_i32_e32 v126, v127
	v_cvt_f32_i32_e32 v127, v129
	v_lshrrev_b32_e32 v168, 24, v157
	v_cvt_f32_ubyte2_e32 v159, v146
	v_fma_mix_f32 v126, v3, v126, 0 op_sel_hi:[1,0,0]
	v_fma_mix_f32 v126, v4, v127, v126 op_sel_hi:[1,0,0]
	v_bfe_u32 v127, v157, 16, 8
	v_mul_lo_u32 v127, v161, v127
	v_cvt_f32_ubyte3_e32 v146, v146
	v_add_f32_e32 v82, v82, v2
	v_fma_mix_f32 v2, v3, v159, 0 op_sel:[1,0,0] op_sel_hi:[1,0,0]
	v_mul_lo_u32 v128, v176, v168
	v_fma_mix_f32 v2, v4, v146, v2 op_sel:[1,0,0] op_sel_hi:[1,0,0]
	v_mul_f32_e32 v2, v2, v179
	v_fma_mix_f32 v2, v126, v172, -v2 op_sel_hi:[0,1,0]
	v_cvt_f32_i32_e32 v126, v127
	v_cvt_f32_i32_e32 v128, v128
	v_lshrrev_b32_e32 v170, 24, v165
	v_dot4_i32_i8 v1, v130, v144, v1
	v_fma_mix_f32 v126, v3, v126, 0 op_sel_hi:[1,0,0]
	v_fma_mix_f32 v126, v4, v128, v126 op_sel_hi:[1,0,0]
	v_bfe_u32 v128, v165, 16, 8
	v_mul_lo_u32 v128, v131, v128
	v_mul_lo_u32 v1, v1, v170
	v_cvt_f32_ubyte2_e32 v162, v158
	v_cvt_f32_ubyte3_e32 v158, v158
	v_add_f32_e32 v127, v167, v2
	v_fma_mix_f32 v2, v3, v162, 0 op_sel:[1,0,0] op_sel_hi:[1,0,0]
	v_cvt_f32_i32_e32 v128, v128
	v_fma_mix_f32 v2, v4, v158, v2 op_sel:[1,0,0] op_sel_hi:[1,0,0]
	v_cvt_f32_i32_e32 v1, v1
	v_mul_f32_e32 v2, v2, v184
	v_fma_mix_f32 v2, v126, v173, -v2 op_sel_hi:[0,1,0]
	v_cvt_f32_ubyte2_e32 v132, v166
	v_add_f32_e32 v126, v169, v2
	v_fma_mix_f32 v2, v3, v128, 0 op_sel_hi:[1,0,0]
	v_fma_mix_f32 v3, v3, v132, 0 op_sel:[1,0,0] op_sel_hi:[1,0,0]
	v_fma_mix_f32 v1, v4, v1, v2 op_sel_hi:[1,0,0]
	v_cvt_f32_ubyte3_e32 v2, v166
	v_fma_mix_f32 v2, v4, v2, v3 op_sel:[1,0,0] op_sel_hi:[1,0,0]
	v_mul_f32_e32 v2, v2, v175
	v_fma_mix_f32 v1, v1, v174, -v2 op_sel_hi:[0,1,0]
	v_add_f32_e32 v9, v9, v1
	s_cmp_ge_i32 s12, s19
	s_barrier
	s_cbranch_scc1 .LBB213_5
; %bb.12:                               ;   in Loop: Header=BB213_6 Depth=1
	v_cmp_gt_i32_e32 vcc, s9, v27
	s_and_b64 s[24:25], s[2:3], vcc
	s_and_saveexec_b64 s[4:5], s[24:25]
	s_cbranch_execz .LBB213_14
; %bb.13:                               ;   in Loop: Header=BB213_6 Depth=1
	v_add_u32_e32 v1, v34, v27
	v_mad_i64_i32 v[1:2], s[24:25], v1, 36, v[5:6]
	global_load_dword v1, v[1:2], off offset:4
	s_waitcnt vmcnt(0)
	ds_write_b32 v21, v1
.LBB213_14:                             ;   in Loop: Header=BB213_6 Depth=1
	s_or_b64 exec, exec, s[4:5]
	s_and_saveexec_b64 s[4:5], s[0:1]
	s_cbranch_execz .LBB213_4
; %bb.15:                               ;   in Loop: Header=BB213_6 Depth=1
	v_add_u32_e32 v1, 4, v125
	v_cmp_gt_i32_e32 vcc, s9, v1
	s_and_b64 s[24:25], s[2:3], vcc
	s_and_b64 exec, exec, s[24:25]
	s_cbranch_execz .LBB213_4
; %bb.16:                               ;   in Loop: Header=BB213_6 Depth=1
	v_ashrrev_i32_e32 v1, 31, v125
	v_add_co_u32_e32 v2, vcc, v34, v125
	v_addc_co_u32_e32 v3, vcc, v35, v1, vcc
	v_mad_u64_u32 v[1:2], s[24:25], v2, 36, s[14:15]
	v_mad_i32_i24 v2, v3, 36, v2
	global_load_dword v1, v[1:2], off offset:144
	v_add_u32_e32 v2, v19, v22
	s_waitcnt vmcnt(0)
	ds_write_b32 v2, v1
	s_branch .LBB213_4
.LBB213_17:
	s_mul_i32 s0, s11, s8
	s_waitcnt vmcnt(0)
	v_cmp_gt_i32_e32 vcc, s0, v10
	s_and_saveexec_b64 s[0:1], vcc
	s_cbranch_execz .LBB213_26
; %bb.18:
	v_mul_lo_u32 v1, v10, s10
	v_add_u32_e32 v0, s22, v0
	v_cmp_gt_u32_e32 vcc, s10, v0
	s_and_saveexec_b64 s[0:1], vcc
	s_cbranch_execz .LBB213_20
; %bb.19:
	v_add_u32_e32 v2, v1, v0
	v_mov_b32_e32 v3, 0
	v_lshlrev_b64 v[2:3], 1, v[2:3]
	v_cvt_f16_f32_e32 v5, v82
	v_mov_b32_e32 v4, s17
	v_add_co_u32_e32 v2, vcc, s16, v2
	v_addc_co_u32_e32 v3, vcc, v4, v3, vcc
	global_store_short v[2:3], v5, off
.LBB213_20:
	s_or_b64 exec, exec, s[0:1]
	v_add_u32_e32 v2, 32, v0
	v_cmp_gt_u32_e32 vcc, s10, v2
	s_and_saveexec_b64 s[0:1], vcc
	s_cbranch_execz .LBB213_22
; %bb.21:
	v_add_u32_e32 v2, v1, v2
	v_mov_b32_e32 v3, 0
	v_lshlrev_b64 v[2:3], 1, v[2:3]
	v_cvt_f16_f32_e32 v5, v127
	v_mov_b32_e32 v4, s17
	v_add_co_u32_e32 v2, vcc, s16, v2
	v_addc_co_u32_e32 v3, vcc, v4, v3, vcc
	global_store_short v[2:3], v5, off
.LBB213_22:
	s_or_b64 exec, exec, s[0:1]
	;; [unrolled: 15-line block ×3, first 2 shown]
	v_add_u32_e32 v0, 0x60, v0
	v_cmp_gt_u32_e32 vcc, s10, v0
	s_and_b64 exec, exec, vcc
	s_cbranch_execz .LBB213_26
; %bb.25:
	v_add_u32_e32 v0, v1, v0
	v_mov_b32_e32 v1, 0
	v_lshlrev_b64 v[0:1], 1, v[0:1]
	v_cvt_f16_f32_e32 v3, v9
	v_mov_b32_e32 v2, s17
	v_add_co_u32_e32 v0, vcc, s16, v0
	v_addc_co_u32_e32 v1, vcc, v2, v1, vcc
	global_store_short v[0:1], v3, off
.LBB213_26:
	s_endpgm
	.section	.rodata,"a",@progbits
	.p2align	6, 0x0
	.amdhsa_kernel _ZL8moe_q5_KIN3c104HalfELb0EEvPKvS3_PT_PKiS7_S7_iiiiiii
		.amdhsa_group_segment_fixed_size 37072
		.amdhsa_private_segment_fixed_size 0
		.amdhsa_kernarg_size 76
		.amdhsa_user_sgpr_count 6
		.amdhsa_user_sgpr_private_segment_buffer 1
		.amdhsa_user_sgpr_dispatch_ptr 0
		.amdhsa_user_sgpr_queue_ptr 0
		.amdhsa_user_sgpr_kernarg_segment_ptr 1
		.amdhsa_user_sgpr_dispatch_id 0
		.amdhsa_user_sgpr_flat_scratch_init 0
		.amdhsa_user_sgpr_private_segment_size 0
		.amdhsa_uses_dynamic_stack 0
		.amdhsa_system_sgpr_private_segment_wavefront_offset 0
		.amdhsa_system_sgpr_workgroup_id_x 1
		.amdhsa_system_sgpr_workgroup_id_y 1
		.amdhsa_system_sgpr_workgroup_id_z 0
		.amdhsa_system_sgpr_workgroup_info 0
		.amdhsa_system_vgpr_workitem_id 1
		.amdhsa_next_free_vgpr 185
		.amdhsa_next_free_sgpr 98
		.amdhsa_reserve_vcc 1
		.amdhsa_reserve_flat_scratch 0
		.amdhsa_float_round_mode_32 0
		.amdhsa_float_round_mode_16_64 0
		.amdhsa_float_denorm_mode_32 3
		.amdhsa_float_denorm_mode_16_64 3
		.amdhsa_dx10_clamp 1
		.amdhsa_ieee_mode 1
		.amdhsa_fp16_overflow 0
		.amdhsa_exception_fp_ieee_invalid_op 0
		.amdhsa_exception_fp_denorm_src 0
		.amdhsa_exception_fp_ieee_div_zero 0
		.amdhsa_exception_fp_ieee_overflow 0
		.amdhsa_exception_fp_ieee_underflow 0
		.amdhsa_exception_fp_ieee_inexact 0
		.amdhsa_exception_int_div_zero 0
	.end_amdhsa_kernel
	.section	.text._ZL8moe_q5_KIN3c104HalfELb0EEvPKvS3_PT_PKiS7_S7_iiiiiii,"axG",@progbits,_ZL8moe_q5_KIN3c104HalfELb0EEvPKvS3_PT_PKiS7_S7_iiiiiii,comdat
.Lfunc_end213:
	.size	_ZL8moe_q5_KIN3c104HalfELb0EEvPKvS3_PT_PKiS7_S7_iiiiiii, .Lfunc_end213-_ZL8moe_q5_KIN3c104HalfELb0EEvPKvS3_PT_PKiS7_S7_iiiiiii
                                        ; -- End function
	.set _ZL8moe_q5_KIN3c104HalfELb0EEvPKvS3_PT_PKiS7_S7_iiiiiii.num_vgpr, 185
	.set _ZL8moe_q5_KIN3c104HalfELb0EEvPKvS3_PT_PKiS7_S7_iiiiiii.num_agpr, 0
	.set _ZL8moe_q5_KIN3c104HalfELb0EEvPKvS3_PT_PKiS7_S7_iiiiiii.numbered_sgpr, 26
	.set _ZL8moe_q5_KIN3c104HalfELb0EEvPKvS3_PT_PKiS7_S7_iiiiiii.num_named_barrier, 0
	.set _ZL8moe_q5_KIN3c104HalfELb0EEvPKvS3_PT_PKiS7_S7_iiiiiii.private_seg_size, 0
	.set _ZL8moe_q5_KIN3c104HalfELb0EEvPKvS3_PT_PKiS7_S7_iiiiiii.uses_vcc, 1
	.set _ZL8moe_q5_KIN3c104HalfELb0EEvPKvS3_PT_PKiS7_S7_iiiiiii.uses_flat_scratch, 0
	.set _ZL8moe_q5_KIN3c104HalfELb0EEvPKvS3_PT_PKiS7_S7_iiiiiii.has_dyn_sized_stack, 0
	.set _ZL8moe_q5_KIN3c104HalfELb0EEvPKvS3_PT_PKiS7_S7_iiiiiii.has_recursion, 0
	.set _ZL8moe_q5_KIN3c104HalfELb0EEvPKvS3_PT_PKiS7_S7_iiiiiii.has_indirect_call, 0
	.section	.AMDGPU.csdata,"",@progbits
; Kernel info:
; codeLenInByte = 12068
; TotalNumSgprs: 30
; NumVgprs: 185
; ScratchSize: 0
; MemoryBound: 0
; FloatMode: 240
; IeeeMode: 1
; LDSByteSize: 37072 bytes/workgroup (compile time only)
; SGPRBlocks: 12
; VGPRBlocks: 46
; NumSGPRsForWavesPerEU: 102
; NumVGPRsForWavesPerEU: 185
; Occupancy: 1
; WaveLimiterHint : 1
; COMPUTE_PGM_RSRC2:SCRATCH_EN: 0
; COMPUTE_PGM_RSRC2:USER_SGPR: 6
; COMPUTE_PGM_RSRC2:TRAP_HANDLER: 0
; COMPUTE_PGM_RSRC2:TGID_X_EN: 1
; COMPUTE_PGM_RSRC2:TGID_Y_EN: 1
; COMPUTE_PGM_RSRC2:TGID_Z_EN: 0
; COMPUTE_PGM_RSRC2:TIDIG_COMP_CNT: 1
	.section	.text._ZL8moe_q5_KIN3c104HalfELb1EEvPKvS3_PT_PKiS7_S7_iiiiiii,"axG",@progbits,_ZL8moe_q5_KIN3c104HalfELb1EEvPKvS3_PT_PKiS7_S7_iiiiiii,comdat
	.globl	_ZL8moe_q5_KIN3c104HalfELb1EEvPKvS3_PT_PKiS7_S7_iiiiiii ; -- Begin function _ZL8moe_q5_KIN3c104HalfELb1EEvPKvS3_PT_PKiS7_S7_iiiiiii
	.p2align	8
	.type	_ZL8moe_q5_KIN3c104HalfELb1EEvPKvS3_PT_PKiS7_S7_iiiiiii,@function
_ZL8moe_q5_KIN3c104HalfELb1EEvPKvS3_PT_PKiS7_S7_iiiiiii: ; @_ZL8moe_q5_KIN3c104HalfELb1EEvPKvS3_PT_PKiS7_S7_iiiiiii
; %bb.0:
	s_load_dwordx4 s[0:3], s[4:5], 0x18
	s_mov_b32 s8, s7
	s_mov_b32 s9, 0
	s_lshl_b64 s[10:11], s[8:9], 2
	s_waitcnt lgkmcnt(0)
	s_add_u32 s2, s2, s10
	s_addc_u32 s3, s3, s11
	s_load_dword s2, s[2:3], 0x0
	s_waitcnt lgkmcnt(0)
	s_cmpk_gt_u32 s2, 0xff
	s_cbranch_scc1 .LBB214_26
; %bb.1:
	s_load_dwordx2 s[10:11], s[4:5], 0x28
	s_lshl_b32 s3, s8, 3
	s_waitcnt lgkmcnt(0)
	s_load_dword s7, s[10:11], 0x0
	s_waitcnt lgkmcnt(0)
	s_cmp_gt_u32 s3, s7
	s_cbranch_scc1 .LBB214_26
; %bb.2:
	v_add_u32_e32 v24, s3, v1
	v_mov_b32_e32 v25, 0
	v_lshlrev_b64 v[2:3], 2, v[24:25]
	v_mov_b32_e32 v4, s1
	v_add_co_u32_e32 v2, vcc, s0, v2
	v_addc_co_u32_e32 v3, vcc, v4, v3, vcc
	global_load_dword v26, v[2:3], off
	s_load_dwordx8 s[8:15], s[4:5], 0x30
	s_load_dwordx2 s[20:21], s[4:5], 0x10
	s_waitcnt lgkmcnt(0)
	s_lshl_b32 s15, s6, 7
	v_mov_b32_e32 v125, v25
	v_mov_b32_e32 v126, v25
	s_cmpk_lt_i32 s9, 0x100
	v_mov_b32_e32 v85, v25
	s_cbranch_scc1 .LBB214_17
; %bb.3:
	s_ashr_i32 s0, s9, 31
	s_lshr_b32 s0, s0, 24
	s_add_i32 s0, s9, s0
	s_ashr_i32 s24, s0, 8
	s_ashr_i32 s0, s12, 31
	s_lshr_b32 s0, s0, 27
	s_add_i32 s0, s12, s0
	s_ashr_i32 s12, s0, 5
	s_not_b32 s0, s15
	v_lshlrev_b32_e32 v4, 1, v0
	v_and_b32_e32 v5, 7, v0
	s_mul_i32 s8, s2, s8
	s_add_i32 s2, s10, s0
	v_and_or_b32 v4, v4, 48, v5
	v_min_i32_e32 v5, s2, v1
	v_lshlrev_b32_e32 v4, 2, v4
	s_movk_i32 s3, 0x104
	v_mul_lo_u32 v48, v5, s24
	v_mad_u64_u32 v[5:6], s[0:1], v5, s3, v[4:5]
	v_add_u32_e32 v6, 8, v1
	v_min_i32_e32 v6, s2, v6
	v_mul_lo_u32 v53, v6, s24
	v_mad_u64_u32 v[6:7], s[0:1], v6, s3, v[4:5]
	v_add_u32_e32 v7, 16, v1
	v_min_i32_e32 v7, s2, v7
	;; [unrolled: 4-line block ×15, first 2 shown]
	v_mul_lo_u32 v112, v20, s24
	v_mad_u64_u32 v[20:21], s[0:1], v20, s3, v[4:5]
	v_lshl_add_u32 v4, v1, 5, v0
	v_and_b32_e32 v4, 0x7f, v4
	v_min_i32_e32 v4, s2, v4
	v_ashrrev_i32_e32 v21, 31, v4
	v_lshrrev_b32_e32 v21, 27, v21
	v_add_u32_e32 v21, v4, v21
	v_ashrrev_i32_e32 v21, 5, v21
	v_mul_lo_u32 v23, v4, s24
	v_lshlrev_b32_e32 v21, 2, v21
	v_lshlrev_b32_e32 v4, 2, v4
	s_mov_b32 s3, 0x8e40
	v_lshrrev_b32_e32 v25, 2, v0
	v_add3_u32 v29, v21, v4, s3
	v_and_b32_e32 v21, 3, v0
	v_and_b32_e32 v27, 6, v25
	v_lshl_add_u32 v4, v1, 3, v25
	v_add_u32_e32 v25, 0xfe, v21
	v_and_b32_e32 v25, 0xff, v25
	v_cmp_gt_u32_e32 vcc, 2, v21
	v_cndmask_b32_e32 v25, v25, v21, vcc
	v_cmp_ne_u32_e32 vcc, 0, v21
	v_and_b32_e32 v32, 0x7f, v4
	v_addc_co_u32_e32 v116, vcc, 0, v25, vcc
	v_lshlrev_b32_e32 v31, 1, v25
	v_min_i32_e32 v25, s2, v32
	v_xor_b32_e32 v32, 64, v32
	v_min_i32_e32 v32, s2, v32
	v_ashrrev_i32_e32 v33, 31, v32
	v_ashrrev_i32_e32 v4, 31, v25
	v_lshrrev_b32_e32 v33, 29, v33
	s_load_dwordx4 s[16:19], s[4:5], 0x0
	v_lshrrev_b32_e32 v4, 29, v4
	v_add_u32_e32 v33, v32, v33
	s_abs_i32 s5, s14
	v_add_u32_e32 v4, v25, v4
	v_ashrrev_i32_e32 v33, 3, v33
	v_cvt_f32_u32_e32 v42, s5
	v_cmp_lt_u32_e32 vcc, 1, v21
	v_ashrrev_i32_e32 v4, 3, v4
	v_lshlrev_b32_e32 v21, 2, v21
	s_mov_b32 s0, 0x8200
	v_lshlrev_b32_e32 v33, 2, v33
	v_lshlrev_b32_e32 v4, 2, v4
	v_add3_u32 v123, v33, v21, s0
	v_mov_b32_e32 v33, 0x8a40
	v_lshlrev_b32_e32 v22, 2, v0
	v_add3_u32 v4, v4, v21, s0
	v_and_b32_e32 v21, 31, v0
	v_lshl_add_u32 v33, v1, 7, v33
	v_lshrrev_b32_e32 v36, 3, v0
	v_lshrrev_b32_e32 v24, 5, v0
	v_lshl_add_u32 v34, v21, 2, v33
	v_lshlrev_b32_e32 v35, 4, v1
	v_add_u32_e32 v1, v36, v22
	v_mov_b32_e32 v21, 0x8200
	v_rcp_iflag_f32_e32 v43, v42
	v_lshl_add_u32 v37, v1, 2, v21
	v_lshlrev_b32_e32 v1, 2, v24
	v_add3_u32 v39, v22, v1, s3
	v_add_u32_e32 v1, 32, v0
	v_lshrrev_b32_e32 v40, 3, v1
	v_lshl_add_u32 v1, v1, 2, v40
	v_mul_f32_e32 v43, 0x4f7ffffe, v43
	v_lshl_add_u32 v41, v1, 2, v21
	v_and_b32_e32 v1, 60, v40
	v_cvt_u32_f32_e32 v45, v43
	v_add3_u32 v42, v22, v1, s3
	v_add_u32_e32 v1, 64, v0
	v_lshrrev_b32_e32 v44, 3, v1
	v_lshl_add_u32 v1, v1, 2, v44
	s_sub_i32 s2, 0, s5
	v_lshl_add_u32 v43, v1, 2, v21
	v_mul_lo_u32 v1, s2, v45
	s_waitcnt vmcnt(0)
	v_sub_u32_e32 v49, 0, v26
	v_max_i32_e32 v49, v26, v49
	v_add_u32_e32 v46, 0x60, v0
	v_mul_hi_u32 v1, v45, v1
	v_lshrrev_b32_e32 v47, 3, v46
	v_and_b32_e32 v44, 60, v44
	v_and_b32_e32 v2, 0x7c, v22
	v_add_u32_e32 v1, v45, v1
	v_mul_hi_u32 v1, v49, v1
	v_lshl_add_u32 v45, v46, 2, v47
	v_lshl_add_u32 v45, v45, 2, v21
	v_and_b32_e32 v21, 60, v47
	v_mul_lo_u32 v47, v1, s5
	v_and_b32_e32 v3, 28, v22
	v_and_b32_e32 v30, 4, v22
	v_mul_lo_u32 v117, v32, s24
	v_lshlrev_b32_e32 v124, 4, v32
	v_add_u32_e32 v32, 0x9050, v22
	v_add3_u32 v44, v22, v44, s3
	v_add3_u32 v46, v22, v21, s3
	v_sub_u32_e32 v22, v49, v47
	v_add_u32_e32 v47, 1, v1
	v_cmp_le_u32_e64 s[2:3], s5, v22
	v_cndmask_b32_e64 v1, v1, v47, s[2:3]
	v_subrev_u32_e32 v47, s5, v22
	v_cndmask_b32_e64 v22, v22, v47, s[2:3]
	v_xor_b32_e32 v21, s14, v26
	v_add_u32_e32 v47, 1, v1
	v_cmp_le_u32_e64 s[2:3], s5, v22
	s_mul_i32 s4, s24, s15
	v_ashrrev_i32_e32 v21, 31, v21
	v_cndmask_b32_e64 v1, v1, v47, s[2:3]
	v_xor_b32_e32 v1, v1, v21
	s_mul_i32 s22, s4, 0xb0
	v_sub_u32_e32 v1, v1, v21
	s_mul_hi_i32 s23, s4, 0xb0
	v_mov_b32_e32 v21, s22
	s_movk_i32 s10, 0xb0
	v_mov_b32_e32 v22, s23
	v_mad_u64_u32 v[108:109], s[4:5], v24, s10, v[21:22]
	s_waitcnt lgkmcnt(0)
	v_mov_b32_e32 v47, s19
	v_add_co_u32_e64 v21, s[4:5], s18, v3
	v_addc_co_u32_e64 v22, s[4:5], 0, v47, s[4:5]
	v_mad_i64_i32 v[51:52], s[4:5], v48, s10, v[108:109]
	v_cmp_gt_i32_e64 s[2:3], s11, v1
	v_mul_lo_u32 v47, v1, s12
	v_add_co_u32_e64 v1, s[4:5], v51, v3
	v_addc_co_u32_e64 v24, s[4:5], 0, v52, s[4:5]
	v_mov_b32_e32 v49, s17
	v_add_co_u32_e64 v1, s[4:5], s16, v1
	v_addc_co_u32_e64 v24, s[4:5], v49, v24, s[4:5]
	v_add_co_u32_e64 v49, s[4:5], 16, v1
	v_addc_co_u32_e64 v50, s[4:5], 0, v24, s[4:5]
	v_add_co_u32_e64 v1, s[4:5], v51, v2
	v_addc_co_u32_e64 v24, s[4:5], 0, v52, s[4:5]
	v_mov_b32_e32 v51, s17
	v_add_co_u32_e64 v1, s[4:5], s16, v1
	v_addc_co_u32_e64 v24, s[4:5], v51, v24, s[4:5]
	v_mad_i64_i32 v[55:56], s[4:5], v53, s10, v[108:109]
	v_add_co_u32_e64 v51, s[4:5], 48, v1
	v_addc_co_u32_e64 v52, s[4:5], 0, v24, s[4:5]
	v_add_co_u32_e64 v1, s[4:5], v55, v3
	v_addc_co_u32_e64 v24, s[4:5], 0, v56, s[4:5]
	v_mov_b32_e32 v53, s17
	v_add_co_u32_e64 v1, s[4:5], s16, v1
	v_addc_co_u32_e64 v24, s[4:5], v53, v24, s[4:5]
	v_add_co_u32_e64 v53, s[4:5], 16, v1
	v_addc_co_u32_e64 v54, s[4:5], 0, v24, s[4:5]
	v_add_co_u32_e64 v1, s[4:5], v55, v2
	v_addc_co_u32_e64 v24, s[4:5], 0, v56, s[4:5]
	v_mov_b32_e32 v55, s17
	v_add_co_u32_e64 v1, s[4:5], s16, v1
	v_addc_co_u32_e64 v24, s[4:5], v55, v24, s[4:5]
	v_mad_i64_i32 v[59:60], s[4:5], v57, s10, v[108:109]
	v_add_co_u32_e64 v55, s[4:5], 48, v1
	v_addc_co_u32_e64 v56, s[4:5], 0, v24, s[4:5]
	;; [unrolled: 15-line block ×15, first 2 shown]
	v_add_co_u32_e64 v1, s[4:5], v112, v3
	v_addc_co_u32_e64 v3, s[4:5], 0, v113, s[4:5]
	v_mov_b32_e32 v24, s17
	v_add_co_u32_e64 v1, s[4:5], s16, v1
	v_addc_co_u32_e64 v3, s[4:5], v24, v3, s[4:5]
	v_add_co_u32_e64 v110, s[4:5], 16, v1
	v_addc_co_u32_e64 v111, s[4:5], 0, v3, s[4:5]
	;; [unrolled: 2-line block ×3, first 2 shown]
	v_mov_b32_e32 v3, s17
	v_add_co_u32_e64 v1, s[4:5], s16, v1
	v_addc_co_u32_e64 v2, s[4:5], v3, v2, s[4:5]
	v_mul_lo_u32 v114, v25, s24
	v_cmp_gt_u32_e64 s[0:1], 4, v0
	v_add_co_u32_e64 v112, s[4:5], 48, v1
	s_ashr_i32 s25, s8, 31
	s_and_b64 s[6:7], s[0:1], s[2:3]
	v_addc_co_u32_e64 v113, s[4:5], 0, v2, s[4:5]
	s_add_u32 s4, s16, s22
	s_addc_u32 s5, s17, s23
	v_mov_b32_e32 v1, s4
	v_mov_b32_e32 v2, s5
	v_mad_i64_i32 v[114:115], s[4:5], v114, s10, 0
	v_mad_i64_i32 v[23:24], s[4:5], v23, s10, v[1:2]
	v_cndmask_b32_e64 v3, 0, 1, vcc
	v_add_co_u32_e64 v2, s[4:5], s22, v114
	v_lshlrev_b32_e32 v3, 2, v3
	v_mov_b32_e32 v1, s23
	v_or_b32_e32 v114, v2, v3
	v_cndmask_b32_e32 v30, 0, v30, vcc
	v_addc_co_u32_e64 v1, s[4:5], v1, v115, s[4:5]
	v_mov_b32_e32 v115, s17
	v_add_co_u32_e32 v114, vcc, s16, v114
	v_addc_co_u32_e32 v115, vcc, v115, v1, vcc
	v_add_co_u32_e32 v114, vcc, 4, v114
	v_addc_co_u32_e32 v115, vcc, 0, v115, vcc
	v_lshlrev_b32_e32 v120, 2, v116
	v_add_co_u32_e32 v2, vcc, v2, v120
	v_addc_co_u32_e32 v1, vcc, 0, v1, vcc
	v_mov_b32_e32 v116, s17
	v_add_co_u32_e32 v118, vcc, s16, v2
	v_addc_co_u32_e32 v119, vcc, v116, v1, vcc
	v_mad_i64_i32 v[1:2], s[4:5], v117, s10, 0
	v_add_co_u32_e32 v116, vcc, 4, v118
	v_addc_co_u32_e32 v117, vcc, 0, v119, vcc
	v_mov_b32_e32 v118, s23
	v_add_co_u32_e32 v1, vcc, s22, v1
	v_addc_co_u32_e32 v2, vcc, v118, v2, vcc
	v_or_b32_e32 v3, v1, v3
	v_mov_b32_e32 v118, s17
	v_add_co_u32_e32 v3, vcc, s16, v3
	v_addc_co_u32_e32 v119, vcc, v118, v2, vcc
	v_add_co_u32_e32 v118, vcc, 4, v3
	v_addc_co_u32_e32 v119, vcc, 0, v119, vcc
	;; [unrolled: 2-line block ×3, first 2 shown]
	v_mov_b32_e32 v3, s17
	v_add_co_u32_e32 v1, vcc, s16, v1
	v_addc_co_u32_e32 v2, vcc, v3, v2, vcc
	v_lshlrev_b32_e32 v25, 4, v25
	v_add_co_u32_e32 v120, vcc, 4, v1
	v_mov_b32_e32 v85, 0
	v_or_b32_e32 v28, 1, v27
	v_mul_u32_u24_e32 v38, 0x104, v0
	v_ashrrev_i32_e32 v48, 31, v47
	v_addc_co_u32_e32 v121, vcc, 0, v2, vcc
	s_movk_i32 s10, 0x80
	s_mov_b32 s16, 0x10101010
	s_mov_b32 s17, 0x30303030
	v_add_u32_e32 v122, v4, v25
	v_add_u32_e32 v123, v123, v124
	v_mov_b32_e32 v124, v0
	v_mov_b32_e32 v126, 0
	;; [unrolled: 1-line block ×4, first 2 shown]
	s_branch .LBB214_6
.LBB214_4:                              ;   in Loop: Header=BB214_6 Depth=1
	s_or_b64 exec, exec, s[4:5]
	s_waitcnt lgkmcnt(0)
	s_barrier
	ds_read_b128 v[128:131], v33
	ds_read_b128 v[132:135], v33 offset:16
	ds_read2_b32 v[144:145], v38 offset0:32 offset1:33
	ds_read_b128 v[136:139], v33 offset:32
	ds_read_b128 v[140:143], v33 offset:48
	ds_read_b32 v127, v39
	ds_read_b128 v[1:4], v35 offset:36944
	ds_read2_b32 v[146:147], v38 offset0:34 offset1:35
	s_waitcnt lgkmcnt(5)
	v_dot4_i32_i8 v144, v144, v128, 0
	v_dot4_i32_i8 v152, v145, v129, v144
	ds_read2_b32 v[144:145], v38 offset0:36 offset1:37
	ds_read2_b32 v[148:149], v38 offset0:38 offset1:39
	;; [unrolled: 1-line block ×3, first 2 shown]
	v_add_u32_e32 v156, 0x2110, v38
	s_waitcnt lgkmcnt(3)
	v_dot4_i32_i8 v146, v146, v130, v152
	v_dot4_i32_i8 v152, v147, v131, v146
	s_waitcnt lgkmcnt(2)
	v_dot4_i32_i8 v144, v144, v132, v152
	v_dot4_i32_i8 v144, v145, v133, v144
	;; [unrolled: 3-line block ×3, first 2 shown]
	ds_read2_b32 v[144:145], v38 offset0:42 offset1:43
	s_waitcnt lgkmcnt(1)
	v_dot4_i32_i8 v148, v150, v136, 0
	ds_read2_b32 v[146:147], v37 offset0:1 offset1:3
	v_dot4_i32_i8 v154, v151, v137, v148
	ds_read2_b32 v[148:149], v38 offset0:44 offset1:45
	ds_read2_b32 v[150:151], v38 offset0:46 offset1:47
	;; [unrolled: 1-line block ×3, first 2 shown]
	s_waitcnt lgkmcnt(4)
	v_dot4_i32_i8 v144, v144, v138, v154
	v_dot4_i32_i8 v144, v145, v139, v144
	s_waitcnt lgkmcnt(2)
	v_dot4_i32_i8 v144, v148, v140, v144
	v_dot4_i32_i8 v144, v149, v141, v144
	;; [unrolled: 3-line block ×3, first 2 shown]
	v_add_u32_e32 v144, 0x2100, v38
	ds_read2_b32 v[144:145], v144 offset1:1
	ds_read2_b32 v[148:149], v38 offset0:58 offset1:59
	ds_read2_b32 v[150:151], v38 offset0:60 offset1:61
	;; [unrolled: 1-line block ×3, first 2 shown]
	ds_read_b32 v171, v42 offset:128
	ds_read_b32 v172, v44 offset:256
	;; [unrolled: 1-line block ×3, first 2 shown]
	s_waitcnt lgkmcnt(6)
	v_dot4_i32_i8 v144, v144, v128, 0
	v_dot4_i32_i8 v162, v145, v129, v144
	v_add_u32_e32 v144, 0x2108, v38
	ds_read2_b32 v[144:145], v144 offset1:1
	v_add_u32_e32 v158, 0x2118, v38
	v_add_u32_e32 v160, 0x2120, v38
	ds_read2_b32 v[156:157], v156 offset1:1
	ds_read2_b32 v[158:159], v158 offset1:1
	;; [unrolled: 1-line block ×3, first 2 shown]
	v_cvt_f32_ubyte0_e32 v167, v147
	s_waitcnt lgkmcnt(3)
	v_dot4_i32_i8 v144, v144, v130, v162
	v_dot4_i32_i8 v162, v145, v131, v144
	s_waitcnt lgkmcnt(2)
	v_dot4_i32_i8 v156, v156, v132, v162
	v_dot4_i32_i8 v156, v157, v133, v156
	;; [unrolled: 3-line block ×4, first 2 shown]
	v_add_u32_e32 v156, 0x2128, v38
	ds_read2_b32 v[156:157], v156 offset1:1
	v_add_u32_e32 v158, 0x2130, v38
	v_add_u32_e32 v160, 0x2138, v38
	;; [unrolled: 1-line block ×3, first 2 shown]
	ds_read2_b32 v[144:145], v41 offset0:1 offset1:3
	ds_read2_b32 v[158:159], v158 offset1:1
	ds_read2_b32 v[160:161], v160 offset1:1
	;; [unrolled: 1-line block ×3, first 2 shown]
	s_waitcnt lgkmcnt(4)
	v_dot4_i32_i8 v156, v156, v138, v164
	v_dot4_i32_i8 v156, v157, v139, v156
	s_waitcnt lgkmcnt(2)
	v_dot4_i32_i8 v156, v158, v140, v156
	v_dot4_i32_i8 v156, v159, v141, v156
	;; [unrolled: 3-line block ×4, first 2 shown]
	v_add_u32_e32 v156, 0x4188, v38
	ds_read2_b32 v[156:157], v156 offset1:1
	v_add_u32_e32 v158, 0x4190, v38
	v_add_u32_e32 v160, 0x4198, v38
	;; [unrolled: 1-line block ×3, first 2 shown]
	ds_read2_b32 v[158:159], v158 offset1:1
	ds_read2_b32 v[160:161], v160 offset1:1
	;; [unrolled: 1-line block ×3, first 2 shown]
	s_waitcnt lgkmcnt(3)
	v_dot4_i32_i8 v156, v156, v130, v164
	v_dot4_i32_i8 v164, v157, v131, v156
	s_waitcnt lgkmcnt(2)
	v_dot4_i32_i8 v158, v158, v132, v164
	v_dot4_i32_i8 v158, v159, v133, v158
	;; [unrolled: 3-line block ×4, first 2 shown]
	v_add_u32_e32 v158, 0x41a8, v38
	v_add_u32_e32 v160, 0x41b0, v38
	v_add_u32_e32 v162, 0x41b8, v38
	v_add_u32_e32 v164, 0x6200, v38
	ds_read2_b32 v[156:157], v43 offset0:1 offset1:3
	ds_read2_b32 v[158:159], v158 offset1:1
	ds_read2_b32 v[160:161], v160 offset1:1
	;; [unrolled: 1-line block ×4, first 2 shown]
	v_cvt_f32_ubyte1_e32 v169, v147
	v_cvt_f32_f16_sdwa v170, v127 dst_sel:DWORD dst_unused:UNUSED_PAD src0_sel:WORD_1
	v_cvt_f32_ubyte0_e32 v175, v145
	s_waitcnt lgkmcnt(3)
	v_dot4_i32_i8 v158, v158, v138, v181
	s_waitcnt lgkmcnt(0)
	v_dot4_i32_i8 v128, v164, v128, 0
	v_dot4_i32_i8 v158, v159, v139, v158
	;; [unrolled: 1-line block ×3, first 2 shown]
	v_add_u32_e32 v128, 0x6208, v38
	v_dot4_i32_i8 v158, v160, v140, v158
	ds_read2_b32 v[128:129], v128 offset1:1
	v_dot4_i32_i8 v158, v161, v141, v158
	v_dot4_i32_i8 v158, v162, v142, v158
	v_dot4_i32_i8 v181, v163, v143, v158
	v_add_u32_e32 v158, 0x6210, v38
	v_add_u32_e32 v160, 0x6218, v38
	;; [unrolled: 1-line block ×3, first 2 shown]
	ds_read2_b32 v[158:159], v158 offset1:1
	ds_read2_b32 v[160:161], v160 offset1:1
	;; [unrolled: 1-line block ×3, first 2 shown]
	s_waitcnt lgkmcnt(3)
	v_dot4_i32_i8 v128, v128, v130, v164
	v_dot4_i32_i8 v128, v129, v131, v128
	s_waitcnt lgkmcnt(2)
	v_dot4_i32_i8 v128, v158, v132, v128
	v_dot4_i32_i8 v128, v159, v133, v128
	;; [unrolled: 3-line block ×4, first 2 shown]
	v_add_u32_e32 v128, 0x6228, v38
	ds_read2_b32 v[128:129], v128 offset1:1
	v_add_u32_e32 v130, 0x6230, v38
	v_add_u32_e32 v132, 0x6238, v38
	ds_read2_b32 v[164:165], v45 offset0:1 offset1:3
	v_add_u32_e32 v137, 0x2140, v38
	ds_read2_b32 v[130:131], v130 offset1:1
	ds_read2_b32 v[132:133], v132 offset1:1
	;; [unrolled: 1-line block ×3, first 2 shown]
	s_waitcnt lgkmcnt(4)
	v_dot4_i32_i8 v128, v128, v138, v136
	v_dot4_i32_i8 v128, v129, v139, v128
	v_and_b32_e32 v129, 0xff, v146
	s_waitcnt lgkmcnt(2)
	v_dot4_i32_i8 v128, v130, v140, v128
	v_bfe_u32 v130, v146, 8, 8
	v_mul_lo_u32 v129, v166, v129
	v_mul_lo_u32 v130, v168, v130
	v_dot4_i32_i8 v128, v131, v141, v128
	v_fma_mix_f32 v131, v1, v167, 0 op_sel:[1,0,0] op_sel_hi:[1,0,0]
	v_cvt_f32_i32_e32 v129, v129
	v_cvt_f32_i32_e32 v130, v130
	s_waitcnt lgkmcnt(1)
	v_dot4_i32_i8 v128, v132, v142, v128
	v_bfe_u32 v132, v144, 8, 8
	v_fma_mix_f32 v129, v1, v129, 0 op_sel_hi:[1,0,0]
	v_fma_mix_f32 v129, v2, v130, v129 op_sel_hi:[1,0,0]
	v_fma_mix_f32 v130, v2, v169, v131 op_sel:[1,0,0] op_sel_hi:[1,0,0]
	v_and_b32_e32 v131, 0xff, v144
	v_mul_lo_u32 v131, v174, v131
	v_mul_lo_u32 v132, v176, v132
	v_mul_f32_e32 v130, v130, v170
	v_fma_mix_f32 v129, v129, v127, -v130 op_sel_hi:[0,1,0]
	v_add_f32_e32 v85, v85, v129
	v_cvt_f32_i32_e32 v129, v131
	v_cvt_f32_i32_e32 v130, v132
	v_cvt_f32_ubyte1_e32 v177, v145
	v_cvt_f32_f16_sdwa v178, v171 dst_sel:DWORD dst_unused:UNUSED_PAD src0_sel:WORD_1
	v_fma_mix_f32 v131, v1, v175, 0 op_sel:[1,0,0] op_sel_hi:[1,0,0]
	v_fma_mix_f32 v129, v1, v129, 0 op_sel_hi:[1,0,0]
	v_fma_mix_f32 v129, v2, v130, v129 op_sel_hi:[1,0,0]
	v_fma_mix_f32 v130, v2, v177, v131 op_sel:[1,0,0] op_sel_hi:[1,0,0]
	v_and_b32_e32 v131, 0xff, v156
	v_bfe_u32 v132, v156, 8, 8
	v_mul_lo_u32 v131, v179, v131
	v_mul_lo_u32 v132, v181, v132
	v_mul_f32_e32 v130, v130, v178
	v_fma_mix_f32 v129, v129, v171, -v130 op_sel_hi:[0,1,0]
	v_add_f32_e32 v166, v126, v129
	v_cvt_f32_i32_e32 v126, v131
	v_cvt_f32_i32_e32 v129, v132
	v_cvt_f32_f16_sdwa v183, v172 dst_sel:DWORD dst_unused:UNUSED_PAD src0_sel:WORD_1
	v_cvt_f32_ubyte0_e32 v180, v157
	v_cvt_f32_ubyte1_e32 v182, v157
	v_fma_mix_f32 v130, v1, v180, 0 op_sel:[1,0,0] op_sel_hi:[1,0,0]
	v_fma_mix_f32 v126, v1, v126, 0 op_sel_hi:[1,0,0]
	v_fma_mix_f32 v126, v2, v129, v126 op_sel_hi:[1,0,0]
	v_fma_mix_f32 v129, v2, v182, v130 op_sel:[1,0,0] op_sel_hi:[1,0,0]
	v_mul_f32_e32 v129, v129, v183
	v_and_b32_e32 v130, 0xff, v164
	v_dot4_i32_i8 v128, v133, v143, v128
	v_mul_lo_u32 v130, v134, v130
	v_fma_mix_f32 v126, v126, v172, -v129 op_sel_hi:[0,1,0]
	v_bfe_u32 v129, v164, 8, 8
	v_mul_lo_u32 v128, v128, v129
	v_cvt_f32_i32_e32 v129, v130
	v_add_f32_e32 v168, v125, v126
	v_cvt_f32_f16_sdwa v174, v173 dst_sel:DWORD dst_unused:UNUSED_PAD src0_sel:WORD_1
	v_cvt_f32_i32_e32 v125, v128
	v_cvt_f32_ubyte0_e32 v135, v165
	v_fma_mix_f32 v126, v1, v129, 0 op_sel_hi:[1,0,0]
	v_fma_mix_f32 v1, v1, v135, 0 op_sel:[1,0,0] op_sel_hi:[1,0,0]
	v_fma_mix_f32 v125, v2, v125, v126 op_sel_hi:[1,0,0]
	v_cvt_f32_ubyte1_e32 v126, v165
	v_fma_mix_f32 v1, v2, v126, v1 op_sel:[1,0,0] op_sel_hi:[1,0,0]
	v_mul_f32_e32 v1, v1, v174
	ds_read_b128 v[128:131], v33 offset:64
	v_fma_mix_f32 v1, v125, v173, -v1 op_sel_hi:[0,1,0]
	v_add_f32_e32 v25, v25, v1
	ds_read_b128 v[132:135], v33 offset:80
	ds_read_b128 v[136:139], v33 offset:96
	;; [unrolled: 1-line block ×3, first 2 shown]
	ds_read2_b32 v[1:2], v38 offset0:50 offset1:51
	s_waitcnt lgkmcnt(4)
	v_dot4_i32_i8 v125, v152, v128, 0
	v_dot4_i32_i8 v175, v153, v129, v125
	ds_read2_b32 v[125:126], v38 offset0:52 offset1:53
	ds_read2_b32 v[152:153], v38 offset0:54 offset1:55
	;; [unrolled: 1-line block ×3, first 2 shown]
	v_lshrrev_b32_e32 v162, 24, v146
	s_waitcnt lgkmcnt(3)
	v_dot4_i32_i8 v1, v1, v130, v175
	v_dot4_i32_i8 v1, v2, v131, v1
	s_waitcnt lgkmcnt(2)
	v_dot4_i32_i8 v1, v125, v132, v1
	v_dot4_i32_i8 v1, v126, v133, v1
	;; [unrolled: 3-line block ×4, first 2 shown]
	v_dot4_i32_i8 v1, v148, v138, v1
	v_dot4_i32_i8 v1, v149, v139, v1
	;; [unrolled: 1-line block ×8, first 2 shown]
	v_add_u32_e32 v1, 0x2148, v38
	ds_read2_b32 v[1:2], v1 offset1:1
	v_cvt_f32_ubyte2_e32 v153, v147
	v_cvt_f32_ubyte3_e32 v154, v147
	v_add_u32_e32 v125, 0x2150, v38
	v_add_u32_e32 v147, 0x2158, v38
	v_add_u32_e32 v149, 0x2160, v38
	ds_read2_b32 v[125:126], v125 offset1:1
	ds_read2_b32 v[147:148], v147 offset1:1
	ds_read2_b32 v[149:150], v149 offset1:1
	s_waitcnt lgkmcnt(3)
	v_dot4_i32_i8 v1, v1, v130, v155
	v_dot4_i32_i8 v1, v2, v131, v1
	s_waitcnt lgkmcnt(2)
	v_dot4_i32_i8 v1, v125, v132, v1
	v_dot4_i32_i8 v1, v126, v133, v1
	s_waitcnt lgkmcnt(1)
	v_dot4_i32_i8 v1, v147, v134, v1
	v_dot4_i32_i8 v155, v148, v135, v1
	s_waitcnt lgkmcnt(0)
	v_dot4_i32_i8 v1, v149, v136, 0
	v_dot4_i32_i8 v159, v150, v137, v1
	v_add_u32_e32 v1, 0x2168, v38
	ds_read2_b32 v[1:2], v1 offset1:1
	v_add_u32_e32 v125, 0x2170, v38
	v_add_u32_e32 v147, 0x2178, v38
	v_add_u32_e32 v149, 0x41c0, v38
	ds_read2_b32 v[125:126], v125 offset1:1
	ds_read2_b32 v[147:148], v147 offset1:1
	ds_read2_b32 v[149:150], v149 offset1:1
	s_waitcnt lgkmcnt(3)
	v_dot4_i32_i8 v1, v1, v138, v159
	v_dot4_i32_i8 v1, v2, v139, v1
	s_waitcnt lgkmcnt(2)
	v_dot4_i32_i8 v1, v125, v140, v1
	v_dot4_i32_i8 v1, v126, v141, v1
	s_waitcnt lgkmcnt(1)
	v_dot4_i32_i8 v1, v147, v142, v1
	v_dot4_i32_i8 v159, v148, v143, v1
	s_waitcnt lgkmcnt(0)
	v_dot4_i32_i8 v1, v149, v128, 0
	v_dot4_i32_i8 v160, v150, v129, v1
	v_add_u32_e32 v1, 0x41c8, v38
	ds_read2_b32 v[1:2], v1 offset1:1
	;; [unrolled: 20-line block ×5, first 2 shown]
	v_add_u32_e32 v125, 0x6270, v38
	ds_read2_b32 v[125:126], v125 offset1:1
	v_add_u32_e32 v128, 0x6278, v38
	ds_read2_b32 v[128:129], v128 offset1:1
	s_waitcnt lgkmcnt(2)
	v_dot4_i32_i8 v1, v1, v138, v132
	v_dot4_i32_i8 v1, v2, v139, v1
	v_bfe_u32 v2, v146, 16, 8
	v_mul_lo_u32 v2, v152, v2
	s_waitcnt lgkmcnt(1)
	v_dot4_i32_i8 v1, v125, v140, v1
	v_mul_lo_u32 v125, v151, v162
	v_dot4_i32_i8 v1, v126, v141, v1
	v_cvt_f32_i32_e32 v2, v2
	v_fma_mix_f32 v126, v3, v153, 0 op_sel:[1,0,0] op_sel_hi:[1,0,0]
	v_cvt_f32_i32_e32 v125, v125
	v_lshrrev_b32_e32 v163, 24, v144
	v_fma_mix_f32 v2, v3, v2, 0 op_sel_hi:[1,0,0]
	s_waitcnt lgkmcnt(0)
	v_dot4_i32_i8 v1, v128, v142, v1
	v_fma_mix_f32 v2, v4, v125, v2 op_sel_hi:[1,0,0]
	v_fma_mix_f32 v125, v4, v154, v126 op_sel:[1,0,0] op_sel_hi:[1,0,0]
	v_bfe_u32 v126, v144, 16, 8
	v_mul_lo_u32 v126, v155, v126
	v_mul_lo_u32 v128, v159, v163
	v_mul_f32_e32 v125, v125, v170
	v_fma_mix_f32 v2, v2, v127, -v125 op_sel_hi:[0,1,0]
	v_cvt_f32_i32_e32 v125, v126
	v_cvt_f32_i32_e32 v126, v128
	v_lshrrev_b32_e32 v167, 24, v156
	v_cvt_f32_ubyte2_e32 v158, v145
	v_fma_mix_f32 v125, v3, v125, 0 op_sel_hi:[1,0,0]
	v_fma_mix_f32 v125, v4, v126, v125 op_sel_hi:[1,0,0]
	v_bfe_u32 v126, v156, 16, 8
	v_mul_lo_u32 v126, v160, v126
	v_cvt_f32_ubyte3_e32 v145, v145
	v_add_f32_e32 v85, v85, v2
	v_fma_mix_f32 v2, v3, v158, 0 op_sel:[1,0,0] op_sel_hi:[1,0,0]
	v_mul_lo_u32 v127, v175, v167
	v_fma_mix_f32 v2, v4, v145, v2 op_sel:[1,0,0] op_sel_hi:[1,0,0]
	v_mul_f32_e32 v2, v2, v178
	v_fma_mix_f32 v2, v125, v171, -v2 op_sel_hi:[0,1,0]
	v_cvt_f32_i32_e32 v125, v126
	v_cvt_f32_i32_e32 v127, v127
	v_lshrrev_b32_e32 v169, 24, v164
	v_dot4_i32_i8 v1, v129, v143, v1
	v_fma_mix_f32 v125, v3, v125, 0 op_sel_hi:[1,0,0]
	v_fma_mix_f32 v125, v4, v127, v125 op_sel_hi:[1,0,0]
	v_bfe_u32 v127, v164, 16, 8
	v_mul_lo_u32 v127, v130, v127
	v_mul_lo_u32 v1, v1, v169
	v_cvt_f32_ubyte2_e32 v161, v157
	v_cvt_f32_ubyte3_e32 v157, v157
	v_add_f32_e32 v126, v166, v2
	v_fma_mix_f32 v2, v3, v161, 0 op_sel:[1,0,0] op_sel_hi:[1,0,0]
	v_cvt_f32_i32_e32 v127, v127
	v_fma_mix_f32 v2, v4, v157, v2 op_sel:[1,0,0] op_sel_hi:[1,0,0]
	v_cvt_f32_i32_e32 v1, v1
	v_mul_f32_e32 v2, v2, v183
	v_fma_mix_f32 v2, v125, v172, -v2 op_sel_hi:[0,1,0]
	v_cvt_f32_ubyte2_e32 v131, v165
	v_add_f32_e32 v125, v168, v2
	v_fma_mix_f32 v2, v3, v127, 0 op_sel_hi:[1,0,0]
	v_fma_mix_f32 v3, v3, v131, 0 op_sel:[1,0,0] op_sel_hi:[1,0,0]
	v_fma_mix_f32 v1, v4, v1, v2 op_sel_hi:[1,0,0]
	v_cvt_f32_ubyte3_e32 v2, v165
	v_fma_mix_f32 v2, v4, v2, v3 op_sel:[1,0,0] op_sel_hi:[1,0,0]
	v_mul_f32_e32 v2, v2, v174
	v_fma_mix_f32 v1, v1, v173, -v2 op_sel_hi:[0,1,0]
	v_add_f32_e32 v25, v25, v1
	s_barrier
.LBB214_5:                              ;   in Loop: Header=BB214_6 Depth=1
	v_add_co_u32_e32 v49, vcc, 0xb0, v49
	v_addc_co_u32_e32 v50, vcc, 0, v50, vcc
	v_add_co_u32_e32 v51, vcc, 0xb0, v51
	v_addc_co_u32_e32 v52, vcc, 0, v52, vcc
	;; [unrolled: 2-line block ×36, first 2 shown]
	s_add_i32 s24, s24, -1
	s_addk_i32 s10, 0x100
	v_add_co_u32_e32 v120, vcc, 0xb0, v120
	v_add_u32_e32 v40, 8, v40
	v_add_u32_e32 v36, 8, v36
	;; [unrolled: 1-line block ×3, first 2 shown]
	s_cmp_eq_u32 s24, 0
	v_addc_co_u32_e32 v121, vcc, 0, v121, vcc
	s_cbranch_scc1 .LBB214_17
.LBB214_6:                              ; =>This Inner Loop Header: Depth=1
	v_mov_b32_e32 v127, s25
	v_add_co_u32_e32 v1, vcc, s8, v51
	v_addc_co_u32_e32 v2, vcc, v52, v127, vcc
	global_load_dword v128, v[1:2], off
	v_add_co_u32_e32 v1, vcc, s8, v49
	v_addc_co_u32_e32 v2, vcc, v50, v127, vcc
	global_load_dword v129, v[1:2], off
	v_add_co_u32_e32 v1, vcc, s8, v55
	v_addc_co_u32_e32 v2, vcc, v56, v127, vcc
	v_add_co_u32_e32 v3, vcc, s8, v53
	v_addc_co_u32_e32 v4, vcc, v54, v127, vcc
	global_load_dword v130, v[1:2], off
	v_add_co_u32_e32 v1, vcc, s8, v59
	v_addc_co_u32_e32 v2, vcc, v60, v127, vcc
	global_load_dword v131, v[3:4], off
	;; [unrolled: 3-line block ×13, first 2 shown]
	s_add_i32 s4, s10, 0xffffff80
	global_load_dword v3, v[3:4], off
	s_cmp_lt_i32 s4, s9
	s_waitcnt vmcnt(15)
	v_lshrrev_b32_e32 v1, 4, v128
	v_and_b32_e32 v144, 0xf0f0f0f, v1
	v_add_co_u32_e32 v1, vcc, s8, v83
	v_addc_co_u32_e32 v2, vcc, v84, v127, vcc
	global_load_dword v4, v[1:2], off
	v_add_co_u32_e32 v1, vcc, s8, v81
	v_addc_co_u32_e32 v2, vcc, v82, v127, vcc
	global_load_dword v1, v[1:2], off
	v_and_b32_e32 v143, 0xf0f0f0f, v128
	s_waitcnt vmcnt(16)
	v_ashrrev_i32_e32 v128, v27, v129
	v_lshlrev_b32_e32 v2, 4, v128
	v_ashrrev_i32_e32 v128, v28, v129
	v_lshlrev_b32_e32 v128, 4, v128
	v_and_or_b32 v2, v2, s16, v143
	v_and_or_b32 v128, v128, s16, v144
	ds_write2_b32 v5, v2, v128 offset1:8
	s_waitcnt vmcnt(15)
	v_and_b32_e32 v2, 0xf0f0f0f, v130
	v_lshrrev_b32_e32 v128, 4, v130
	s_waitcnt vmcnt(14)
	v_ashrrev_i32_e32 v129, v27, v131
	v_ashrrev_i32_e32 v130, v28, v131
	v_and_b32_e32 v128, 0xf0f0f0f, v128
	v_lshlrev_b32_e32 v129, 4, v129
	v_lshlrev_b32_e32 v130, 4, v130
	v_and_or_b32 v2, v129, s16, v2
	v_and_or_b32 v128, v130, s16, v128
	ds_write2_b32 v6, v2, v128 offset1:8
	s_waitcnt vmcnt(13)
	v_lshrrev_b32_e32 v128, 4, v132
	s_waitcnt vmcnt(12)
	v_ashrrev_i32_e32 v129, v27, v133
	v_ashrrev_i32_e32 v130, v28, v133
	v_and_b32_e32 v2, 0xf0f0f0f, v132
	v_and_b32_e32 v128, 0xf0f0f0f, v128
	v_lshlrev_b32_e32 v129, 4, v129
	v_lshlrev_b32_e32 v130, 4, v130
	v_and_or_b32 v2, v129, s16, v2
	v_and_or_b32 v128, v130, s16, v128
	ds_write2_b32 v7, v2, v128 offset1:8
	s_waitcnt vmcnt(11)
	v_lshrrev_b32_e32 v128, 4, v134
	s_waitcnt vmcnt(10)
	v_ashrrev_i32_e32 v129, v27, v135
	v_ashrrev_i32_e32 v130, v28, v135
	v_and_b32_e32 v2, 0xf0f0f0f, v134
	;; [unrolled: 12-line block ×6, first 2 shown]
	v_and_b32_e32 v128, 0xf0f0f0f, v128
	v_lshlrev_b32_e32 v129, 4, v129
	v_lshlrev_b32_e32 v3, 4, v3
	v_and_or_b32 v2, v129, s16, v2
	v_and_or_b32 v3, v3, s16, v128
	ds_write2_b32 v12, v2, v3 offset1:8
	s_waitcnt vmcnt(1)
	v_and_b32_e32 v2, 0xf0f0f0f, v4
	v_lshrrev_b32_e32 v3, 4, v4
	s_waitcnt vmcnt(0)
	v_ashrrev_i32_e32 v4, v27, v1
	v_ashrrev_i32_e32 v1, v28, v1
	v_and_b32_e32 v3, 0xf0f0f0f, v3
	v_lshlrev_b32_e32 v1, 4, v1
	v_lshlrev_b32_e32 v4, 4, v4
	v_and_or_b32 v3, v1, s16, v3
	v_add_co_u32_e32 v1, vcc, s8, v88
	v_and_or_b32 v4, v4, s16, v2
	v_addc_co_u32_e32 v2, vcc, v89, v127, vcc
	global_load_dword v128, v[1:2], off
	v_add_co_u32_e32 v1, vcc, s8, v86
	v_addc_co_u32_e32 v2, vcc, v87, v127, vcc
	global_load_dword v129, v[1:2], off
	v_add_co_u32_e32 v1, vcc, s8, v92
	;; [unrolled: 3-line block ×18, first 2 shown]
	v_addc_co_u32_e32 v2, vcc, v119, v127, vcc
	global_load_dword v1, v[1:2], off
	ds_write2_b32 v13, v4, v3 offset1:8
	s_waitcnt vmcnt(18)
	v_lshrrev_b32_e32 v3, 4, v128
	s_waitcnt vmcnt(17)
	v_ashrrev_i32_e32 v4, v27, v129
	v_ashrrev_i32_e32 v127, v28, v129
	v_and_b32_e32 v2, 0xf0f0f0f, v128
	v_and_b32_e32 v3, 0xf0f0f0f, v3
	v_lshlrev_b32_e32 v4, 4, v4
	v_lshlrev_b32_e32 v127, 4, v127
	v_and_or_b32 v2, v4, s16, v2
	v_and_or_b32 v3, v127, s16, v3
	ds_write2_b32 v14, v2, v3 offset1:8
	s_waitcnt vmcnt(16)
	v_lshrrev_b32_e32 v3, 4, v130
	s_waitcnt vmcnt(15)
	v_ashrrev_i32_e32 v4, v27, v131
	v_ashrrev_i32_e32 v127, v28, v131
	v_and_b32_e32 v2, 0xf0f0f0f, v130
	v_and_b32_e32 v3, 0xf0f0f0f, v3
	v_lshlrev_b32_e32 v4, 4, v4
	v_lshlrev_b32_e32 v127, 4, v127
	v_and_or_b32 v2, v4, s16, v2
	v_and_or_b32 v3, v127, s16, v3
	;; [unrolled: 12-line block ×7, first 2 shown]
	ds_write2_b32 v20, v2, v3 offset1:8
	s_waitcnt vmcnt(4)
	ds_write_b32 v29, v142
	s_waitcnt vmcnt(3)
	v_ashrrev_i32_e32 v2, v30, v143
	v_and_b32_e32 v2, 0xf0f0f0f, v2
	s_waitcnt vmcnt(2)
	v_ashrrev_i32_e32 v3, v31, v144
	v_and_or_b32 v2, v3, s17, v2
	ds_write_b32 v122, v2
	s_waitcnt vmcnt(1)
	v_ashrrev_i32_e32 v2, v30, v145
	v_and_b32_e32 v2, 0xf0f0f0f, v2
	s_waitcnt vmcnt(0)
	v_ashrrev_i32_e32 v1, v31, v1
	v_and_or_b32 v1, v1, s17, v2
	ds_write_b32 v123, v1
	s_cbranch_scc0 .LBB214_5
; %bb.7:                                ;   in Loop: Header=BB214_6 Depth=1
	v_cmp_gt_i32_e32 vcc, s12, v36
	s_and_b64 s[22:23], s[2:3], vcc
	s_and_saveexec_b64 s[4:5], s[22:23]
	s_cbranch_execz .LBB214_9
; %bb.8:                                ;   in Loop: Header=BB214_6 Depth=1
	v_add_u32_e32 v1, v47, v36
	v_mad_i64_i32 v[1:2], s[22:23], v1, 36, v[21:22]
	global_load_dword v1, v[1:2], off offset:4
	s_waitcnt vmcnt(0)
	ds_write_b32 v34, v1
.LBB214_9:                              ;   in Loop: Header=BB214_6 Depth=1
	s_or_b64 exec, exec, s[4:5]
	v_cmp_gt_i32_e32 vcc, s12, v124
	s_and_b64 s[22:23], s[6:7], vcc
	s_and_saveexec_b64 s[4:5], s[22:23]
	s_cbranch_execz .LBB214_11
; %bb.10:                               ;   in Loop: Header=BB214_6 Depth=1
	v_add_u32_e32 v1, v47, v124
	v_mad_i64_i32 v[1:2], s[22:23], v1, 36, s[18:19]
	global_load_dword v1, v[1:2], off
	v_add_u32_e32 v2, v32, v35
	s_waitcnt vmcnt(0)
	ds_write_b32 v2, v1
.LBB214_11:                             ;   in Loop: Header=BB214_6 Depth=1
	s_or_b64 exec, exec, s[4:5]
	s_waitcnt lgkmcnt(0)
	s_barrier
	ds_read_b128 v[128:131], v33
	ds_read_b128 v[132:135], v33 offset:16
	ds_read2_b32 v[144:145], v38 offset1:1
	ds_read_b128 v[136:139], v33 offset:32
	ds_read_b128 v[140:143], v33 offset:48
	ds_read_b32 v127, v39
	ds_read_b128 v[1:4], v35 offset:36944
	ds_read2_b32 v[146:147], v38 offset0:2 offset1:3
	s_waitcnt lgkmcnt(5)
	v_dot4_i32_i8 v144, v144, v128, 0
	v_dot4_i32_i8 v152, v145, v129, v144
	ds_read2_b32 v[144:145], v38 offset0:4 offset1:5
	ds_read2_b32 v[148:149], v38 offset0:6 offset1:7
	ds_read2_b32 v[150:151], v38 offset0:8 offset1:9
	v_add_u32_e32 v156, 0x2090, v38
	s_waitcnt lgkmcnt(3)
	v_dot4_i32_i8 v146, v146, v130, v152
	v_dot4_i32_i8 v152, v147, v131, v146
	s_waitcnt lgkmcnt(2)
	v_dot4_i32_i8 v144, v144, v132, v152
	v_dot4_i32_i8 v144, v145, v133, v144
	;; [unrolled: 3-line block ×3, first 2 shown]
	ds_read2_b32 v[144:145], v38 offset0:10 offset1:11
	s_waitcnt lgkmcnt(1)
	v_dot4_i32_i8 v148, v150, v136, 0
	ds_read2_b32 v[146:147], v37 offset1:2
	v_dot4_i32_i8 v154, v151, v137, v148
	ds_read2_b32 v[148:149], v38 offset0:12 offset1:13
	ds_read2_b32 v[150:151], v38 offset0:14 offset1:15
	;; [unrolled: 1-line block ×3, first 2 shown]
	s_waitcnt lgkmcnt(4)
	v_dot4_i32_i8 v144, v144, v138, v154
	v_dot4_i32_i8 v144, v145, v139, v144
	s_waitcnt lgkmcnt(2)
	v_dot4_i32_i8 v144, v148, v140, v144
	v_dot4_i32_i8 v144, v149, v141, v144
	;; [unrolled: 3-line block ×3, first 2 shown]
	v_add_u32_e32 v144, 0x2080, v38
	ds_read2_b32 v[144:145], v144 offset1:1
	ds_read2_b32 v[148:149], v38 offset0:26 offset1:27
	ds_read2_b32 v[150:151], v38 offset0:28 offset1:29
	;; [unrolled: 1-line block ×3, first 2 shown]
	ds_read_b32 v171, v42 offset:128
	ds_read_b32 v172, v44 offset:256
	ds_read_b32 v173, v46 offset:384
	s_waitcnt lgkmcnt(6)
	v_dot4_i32_i8 v144, v144, v128, 0
	v_dot4_i32_i8 v162, v145, v129, v144
	v_add_u32_e32 v144, 0x2088, v38
	ds_read2_b32 v[144:145], v144 offset1:1
	v_add_u32_e32 v158, 0x2098, v38
	v_add_u32_e32 v160, 0x20a0, v38
	ds_read2_b32 v[156:157], v156 offset1:1
	ds_read2_b32 v[158:159], v158 offset1:1
	;; [unrolled: 1-line block ×3, first 2 shown]
	v_cvt_f32_ubyte0_e32 v167, v147
	s_waitcnt lgkmcnt(3)
	v_dot4_i32_i8 v144, v144, v130, v162
	v_dot4_i32_i8 v162, v145, v131, v144
	s_waitcnt lgkmcnt(2)
	v_dot4_i32_i8 v156, v156, v132, v162
	v_dot4_i32_i8 v156, v157, v133, v156
	s_waitcnt lgkmcnt(1)
	v_dot4_i32_i8 v156, v158, v134, v156
	v_dot4_i32_i8 v174, v159, v135, v156
	s_waitcnt lgkmcnt(0)
	v_dot4_i32_i8 v156, v160, v136, 0
	v_dot4_i32_i8 v164, v161, v137, v156
	v_add_u32_e32 v156, 0x20a8, v38
	ds_read2_b32 v[156:157], v156 offset1:1
	v_add_u32_e32 v158, 0x20b0, v38
	v_add_u32_e32 v160, 0x20b8, v38
	;; [unrolled: 1-line block ×3, first 2 shown]
	ds_read2_b32 v[144:145], v41 offset1:2
	ds_read2_b32 v[158:159], v158 offset1:1
	;; [unrolled: 1-line block ×4, first 2 shown]
	s_waitcnt lgkmcnt(4)
	v_dot4_i32_i8 v156, v156, v138, v164
	v_dot4_i32_i8 v156, v157, v139, v156
	s_waitcnt lgkmcnt(2)
	v_dot4_i32_i8 v156, v158, v140, v156
	v_dot4_i32_i8 v156, v159, v141, v156
	;; [unrolled: 3-line block ×4, first 2 shown]
	v_add_u32_e32 v156, 0x4108, v38
	ds_read2_b32 v[156:157], v156 offset1:1
	v_add_u32_e32 v158, 0x4110, v38
	v_add_u32_e32 v160, 0x4118, v38
	;; [unrolled: 1-line block ×3, first 2 shown]
	ds_read2_b32 v[158:159], v158 offset1:1
	ds_read2_b32 v[160:161], v160 offset1:1
	;; [unrolled: 1-line block ×3, first 2 shown]
	s_waitcnt lgkmcnt(3)
	v_dot4_i32_i8 v156, v156, v130, v164
	v_dot4_i32_i8 v164, v157, v131, v156
	s_waitcnt lgkmcnt(2)
	v_dot4_i32_i8 v158, v158, v132, v164
	v_dot4_i32_i8 v158, v159, v133, v158
	;; [unrolled: 3-line block ×4, first 2 shown]
	v_add_u32_e32 v158, 0x4128, v38
	v_add_u32_e32 v160, 0x4130, v38
	;; [unrolled: 1-line block ×4, first 2 shown]
	ds_read2_b32 v[156:157], v43 offset1:2
	ds_read2_b32 v[158:159], v158 offset1:1
	ds_read2_b32 v[160:161], v160 offset1:1
	ds_read2_b32 v[162:163], v162 offset1:1
	ds_read2_b32 v[164:165], v164 offset1:1
	v_cvt_f32_ubyte1_e32 v169, v147
	v_cvt_f32_f16_sdwa v170, v127 dst_sel:DWORD dst_unused:UNUSED_PAD src0_sel:WORD_1
	v_cvt_f32_ubyte0_e32 v175, v145
	s_waitcnt lgkmcnt(3)
	v_dot4_i32_i8 v158, v158, v138, v181
	s_waitcnt lgkmcnt(0)
	v_dot4_i32_i8 v128, v164, v128, 0
	v_dot4_i32_i8 v158, v159, v139, v158
	;; [unrolled: 1-line block ×3, first 2 shown]
	v_add_u32_e32 v128, 0x6188, v38
	v_dot4_i32_i8 v158, v160, v140, v158
	ds_read2_b32 v[128:129], v128 offset1:1
	v_dot4_i32_i8 v158, v161, v141, v158
	v_dot4_i32_i8 v158, v162, v142, v158
	v_dot4_i32_i8 v181, v163, v143, v158
	v_add_u32_e32 v158, 0x6190, v38
	v_add_u32_e32 v160, 0x6198, v38
	;; [unrolled: 1-line block ×3, first 2 shown]
	ds_read2_b32 v[158:159], v158 offset1:1
	ds_read2_b32 v[160:161], v160 offset1:1
	;; [unrolled: 1-line block ×3, first 2 shown]
	s_waitcnt lgkmcnt(3)
	v_dot4_i32_i8 v128, v128, v130, v164
	v_dot4_i32_i8 v128, v129, v131, v128
	s_waitcnt lgkmcnt(2)
	v_dot4_i32_i8 v128, v158, v132, v128
	v_dot4_i32_i8 v128, v159, v133, v128
	;; [unrolled: 3-line block ×4, first 2 shown]
	v_add_u32_e32 v128, 0x61a8, v38
	ds_read2_b32 v[128:129], v128 offset1:1
	v_add_u32_e32 v130, 0x61b0, v38
	v_add_u32_e32 v132, 0x61b8, v38
	ds_read2_b32 v[164:165], v45 offset1:2
	v_add_u32_e32 v137, 0x20c0, v38
	ds_read2_b32 v[130:131], v130 offset1:1
	ds_read2_b32 v[132:133], v132 offset1:1
	ds_read2_b32 v[158:159], v137 offset1:1
	s_waitcnt lgkmcnt(4)
	v_dot4_i32_i8 v128, v128, v138, v136
	v_dot4_i32_i8 v128, v129, v139, v128
	v_and_b32_e32 v129, 0xff, v146
	s_waitcnt lgkmcnt(2)
	v_dot4_i32_i8 v128, v130, v140, v128
	v_bfe_u32 v130, v146, 8, 8
	v_mul_lo_u32 v129, v166, v129
	v_mul_lo_u32 v130, v168, v130
	v_dot4_i32_i8 v128, v131, v141, v128
	v_fma_mix_f32 v131, v1, v167, 0 op_sel:[1,0,0] op_sel_hi:[1,0,0]
	v_cvt_f32_i32_e32 v129, v129
	v_cvt_f32_i32_e32 v130, v130
	s_waitcnt lgkmcnt(1)
	v_dot4_i32_i8 v128, v132, v142, v128
	v_bfe_u32 v132, v144, 8, 8
	v_fma_mix_f32 v129, v1, v129, 0 op_sel_hi:[1,0,0]
	v_fma_mix_f32 v129, v2, v130, v129 op_sel_hi:[1,0,0]
	v_fma_mix_f32 v130, v2, v169, v131 op_sel:[1,0,0] op_sel_hi:[1,0,0]
	v_and_b32_e32 v131, 0xff, v144
	v_mul_lo_u32 v131, v174, v131
	v_mul_lo_u32 v132, v176, v132
	v_mul_f32_e32 v130, v130, v170
	v_fma_mix_f32 v129, v129, v127, -v130 op_sel_hi:[0,1,0]
	v_add_f32_e32 v85, v85, v129
	v_cvt_f32_i32_e32 v129, v131
	v_cvt_f32_i32_e32 v130, v132
	v_cvt_f32_ubyte1_e32 v177, v145
	v_cvt_f32_f16_sdwa v178, v171 dst_sel:DWORD dst_unused:UNUSED_PAD src0_sel:WORD_1
	v_fma_mix_f32 v131, v1, v175, 0 op_sel:[1,0,0] op_sel_hi:[1,0,0]
	v_fma_mix_f32 v129, v1, v129, 0 op_sel_hi:[1,0,0]
	v_fma_mix_f32 v129, v2, v130, v129 op_sel_hi:[1,0,0]
	v_fma_mix_f32 v130, v2, v177, v131 op_sel:[1,0,0] op_sel_hi:[1,0,0]
	v_and_b32_e32 v131, 0xff, v156
	v_bfe_u32 v132, v156, 8, 8
	v_mul_lo_u32 v131, v179, v131
	v_mul_lo_u32 v132, v181, v132
	v_mul_f32_e32 v130, v130, v178
	v_fma_mix_f32 v129, v129, v171, -v130 op_sel_hi:[0,1,0]
	v_add_f32_e32 v166, v126, v129
	v_cvt_f32_i32_e32 v126, v131
	v_cvt_f32_i32_e32 v129, v132
	v_cvt_f32_f16_sdwa v183, v172 dst_sel:DWORD dst_unused:UNUSED_PAD src0_sel:WORD_1
	v_cvt_f32_ubyte0_e32 v180, v157
	v_cvt_f32_ubyte1_e32 v182, v157
	v_fma_mix_f32 v130, v1, v180, 0 op_sel:[1,0,0] op_sel_hi:[1,0,0]
	v_fma_mix_f32 v126, v1, v126, 0 op_sel_hi:[1,0,0]
	v_fma_mix_f32 v126, v2, v129, v126 op_sel_hi:[1,0,0]
	v_fma_mix_f32 v129, v2, v182, v130 op_sel:[1,0,0] op_sel_hi:[1,0,0]
	v_mul_f32_e32 v129, v129, v183
	v_and_b32_e32 v130, 0xff, v164
	v_dot4_i32_i8 v128, v133, v143, v128
	v_mul_lo_u32 v130, v134, v130
	v_fma_mix_f32 v126, v126, v172, -v129 op_sel_hi:[0,1,0]
	v_bfe_u32 v129, v164, 8, 8
	v_mul_lo_u32 v128, v128, v129
	v_cvt_f32_i32_e32 v129, v130
	v_add_f32_e32 v168, v125, v126
	v_cvt_f32_f16_sdwa v174, v173 dst_sel:DWORD dst_unused:UNUSED_PAD src0_sel:WORD_1
	v_cvt_f32_i32_e32 v125, v128
	v_cvt_f32_ubyte0_e32 v135, v165
	v_fma_mix_f32 v126, v1, v129, 0 op_sel_hi:[1,0,0]
	v_fma_mix_f32 v1, v1, v135, 0 op_sel:[1,0,0] op_sel_hi:[1,0,0]
	v_fma_mix_f32 v125, v2, v125, v126 op_sel_hi:[1,0,0]
	v_cvt_f32_ubyte1_e32 v126, v165
	v_fma_mix_f32 v1, v2, v126, v1 op_sel:[1,0,0] op_sel_hi:[1,0,0]
	v_mul_f32_e32 v1, v1, v174
	ds_read_b128 v[128:131], v33 offset:64
	v_fma_mix_f32 v1, v125, v173, -v1 op_sel_hi:[0,1,0]
	v_add_f32_e32 v25, v25, v1
	ds_read_b128 v[132:135], v33 offset:80
	ds_read_b128 v[136:139], v33 offset:96
	;; [unrolled: 1-line block ×3, first 2 shown]
	ds_read2_b32 v[1:2], v38 offset0:18 offset1:19
	s_waitcnt lgkmcnt(4)
	v_dot4_i32_i8 v125, v152, v128, 0
	v_dot4_i32_i8 v175, v153, v129, v125
	ds_read2_b32 v[125:126], v38 offset0:20 offset1:21
	ds_read2_b32 v[152:153], v38 offset0:22 offset1:23
	;; [unrolled: 1-line block ×3, first 2 shown]
	v_lshrrev_b32_e32 v162, 24, v146
	s_waitcnt lgkmcnt(3)
	v_dot4_i32_i8 v1, v1, v130, v175
	v_dot4_i32_i8 v1, v2, v131, v1
	s_waitcnt lgkmcnt(2)
	v_dot4_i32_i8 v1, v125, v132, v1
	v_dot4_i32_i8 v1, v126, v133, v1
	;; [unrolled: 3-line block ×4, first 2 shown]
	v_dot4_i32_i8 v1, v148, v138, v1
	v_dot4_i32_i8 v1, v149, v139, v1
	;; [unrolled: 1-line block ×8, first 2 shown]
	v_add_u32_e32 v1, 0x20c8, v38
	ds_read2_b32 v[1:2], v1 offset1:1
	v_cvt_f32_ubyte2_e32 v153, v147
	v_cvt_f32_ubyte3_e32 v154, v147
	v_add_u32_e32 v125, 0x20d0, v38
	v_add_u32_e32 v147, 0x20d8, v38
	v_add_u32_e32 v149, 0x20e0, v38
	ds_read2_b32 v[125:126], v125 offset1:1
	ds_read2_b32 v[147:148], v147 offset1:1
	ds_read2_b32 v[149:150], v149 offset1:1
	s_waitcnt lgkmcnt(3)
	v_dot4_i32_i8 v1, v1, v130, v155
	v_dot4_i32_i8 v1, v2, v131, v1
	s_waitcnt lgkmcnt(2)
	v_dot4_i32_i8 v1, v125, v132, v1
	v_dot4_i32_i8 v1, v126, v133, v1
	s_waitcnt lgkmcnt(1)
	v_dot4_i32_i8 v1, v147, v134, v1
	v_dot4_i32_i8 v155, v148, v135, v1
	s_waitcnt lgkmcnt(0)
	v_dot4_i32_i8 v1, v149, v136, 0
	v_dot4_i32_i8 v159, v150, v137, v1
	v_add_u32_e32 v1, 0x20e8, v38
	ds_read2_b32 v[1:2], v1 offset1:1
	v_add_u32_e32 v125, 0x20f0, v38
	v_add_u32_e32 v147, 0x20f8, v38
	v_add_u32_e32 v149, 0x4140, v38
	ds_read2_b32 v[125:126], v125 offset1:1
	ds_read2_b32 v[147:148], v147 offset1:1
	ds_read2_b32 v[149:150], v149 offset1:1
	s_waitcnt lgkmcnt(3)
	v_dot4_i32_i8 v1, v1, v138, v159
	v_dot4_i32_i8 v1, v2, v139, v1
	s_waitcnt lgkmcnt(2)
	v_dot4_i32_i8 v1, v125, v140, v1
	v_dot4_i32_i8 v1, v126, v141, v1
	s_waitcnt lgkmcnt(1)
	v_dot4_i32_i8 v1, v147, v142, v1
	v_dot4_i32_i8 v159, v148, v143, v1
	s_waitcnt lgkmcnt(0)
	v_dot4_i32_i8 v1, v149, v128, 0
	v_dot4_i32_i8 v160, v150, v129, v1
	v_add_u32_e32 v1, 0x4148, v38
	ds_read2_b32 v[1:2], v1 offset1:1
	;; [unrolled: 20-line block ×5, first 2 shown]
	v_add_u32_e32 v125, 0x61f0, v38
	ds_read2_b32 v[125:126], v125 offset1:1
	v_add_u32_e32 v128, 0x61f8, v38
	ds_read2_b32 v[128:129], v128 offset1:1
	s_waitcnt lgkmcnt(2)
	v_dot4_i32_i8 v1, v1, v138, v132
	v_dot4_i32_i8 v1, v2, v139, v1
	v_bfe_u32 v2, v146, 16, 8
	v_mul_lo_u32 v2, v152, v2
	s_waitcnt lgkmcnt(1)
	v_dot4_i32_i8 v1, v125, v140, v1
	v_mul_lo_u32 v125, v151, v162
	v_dot4_i32_i8 v1, v126, v141, v1
	v_cvt_f32_i32_e32 v2, v2
	v_fma_mix_f32 v126, v3, v153, 0 op_sel:[1,0,0] op_sel_hi:[1,0,0]
	v_cvt_f32_i32_e32 v125, v125
	v_lshrrev_b32_e32 v163, 24, v144
	v_fma_mix_f32 v2, v3, v2, 0 op_sel_hi:[1,0,0]
	s_waitcnt lgkmcnt(0)
	v_dot4_i32_i8 v1, v128, v142, v1
	v_fma_mix_f32 v2, v4, v125, v2 op_sel_hi:[1,0,0]
	v_fma_mix_f32 v125, v4, v154, v126 op_sel:[1,0,0] op_sel_hi:[1,0,0]
	v_bfe_u32 v126, v144, 16, 8
	v_mul_lo_u32 v126, v155, v126
	v_mul_lo_u32 v128, v159, v163
	v_mul_f32_e32 v125, v125, v170
	v_fma_mix_f32 v2, v2, v127, -v125 op_sel_hi:[0,1,0]
	v_cvt_f32_i32_e32 v125, v126
	v_cvt_f32_i32_e32 v126, v128
	v_lshrrev_b32_e32 v167, 24, v156
	v_cvt_f32_ubyte2_e32 v158, v145
	v_fma_mix_f32 v125, v3, v125, 0 op_sel_hi:[1,0,0]
	v_fma_mix_f32 v125, v4, v126, v125 op_sel_hi:[1,0,0]
	v_bfe_u32 v126, v156, 16, 8
	v_mul_lo_u32 v126, v160, v126
	v_cvt_f32_ubyte3_e32 v145, v145
	v_add_f32_e32 v85, v85, v2
	v_fma_mix_f32 v2, v3, v158, 0 op_sel:[1,0,0] op_sel_hi:[1,0,0]
	v_mul_lo_u32 v127, v175, v167
	v_fma_mix_f32 v2, v4, v145, v2 op_sel:[1,0,0] op_sel_hi:[1,0,0]
	v_mul_f32_e32 v2, v2, v178
	v_fma_mix_f32 v2, v125, v171, -v2 op_sel_hi:[0,1,0]
	v_cvt_f32_i32_e32 v125, v126
	v_cvt_f32_i32_e32 v127, v127
	v_lshrrev_b32_e32 v169, 24, v164
	v_dot4_i32_i8 v1, v129, v143, v1
	v_fma_mix_f32 v125, v3, v125, 0 op_sel_hi:[1,0,0]
	v_fma_mix_f32 v125, v4, v127, v125 op_sel_hi:[1,0,0]
	v_bfe_u32 v127, v164, 16, 8
	v_mul_lo_u32 v127, v130, v127
	v_mul_lo_u32 v1, v1, v169
	v_cvt_f32_ubyte2_e32 v161, v157
	v_cvt_f32_ubyte3_e32 v157, v157
	v_add_f32_e32 v126, v166, v2
	v_fma_mix_f32 v2, v3, v161, 0 op_sel:[1,0,0] op_sel_hi:[1,0,0]
	v_cvt_f32_i32_e32 v127, v127
	v_fma_mix_f32 v2, v4, v157, v2 op_sel:[1,0,0] op_sel_hi:[1,0,0]
	v_cvt_f32_i32_e32 v1, v1
	v_mul_f32_e32 v2, v2, v183
	v_fma_mix_f32 v2, v125, v172, -v2 op_sel_hi:[0,1,0]
	v_cvt_f32_ubyte2_e32 v131, v165
	v_add_f32_e32 v125, v168, v2
	v_fma_mix_f32 v2, v3, v127, 0 op_sel_hi:[1,0,0]
	v_fma_mix_f32 v3, v3, v131, 0 op_sel:[1,0,0] op_sel_hi:[1,0,0]
	v_fma_mix_f32 v1, v4, v1, v2 op_sel_hi:[1,0,0]
	v_cvt_f32_ubyte3_e32 v2, v165
	v_fma_mix_f32 v2, v4, v2, v3 op_sel:[1,0,0] op_sel_hi:[1,0,0]
	v_mul_f32_e32 v2, v2, v174
	v_fma_mix_f32 v1, v1, v173, -v2 op_sel_hi:[0,1,0]
	v_add_f32_e32 v25, v25, v1
	s_cmp_ge_i32 s10, s9
	s_barrier
	s_cbranch_scc1 .LBB214_5
; %bb.12:                               ;   in Loop: Header=BB214_6 Depth=1
	v_cmp_gt_i32_e32 vcc, s12, v40
	s_and_b64 s[22:23], s[2:3], vcc
	s_and_saveexec_b64 s[4:5], s[22:23]
	s_cbranch_execz .LBB214_14
; %bb.13:                               ;   in Loop: Header=BB214_6 Depth=1
	v_add_u32_e32 v1, v47, v40
	v_mad_i64_i32 v[1:2], s[22:23], v1, 36, v[21:22]
	global_load_dword v1, v[1:2], off offset:4
	s_waitcnt vmcnt(0)
	ds_write_b32 v34, v1
.LBB214_14:                             ;   in Loop: Header=BB214_6 Depth=1
	s_or_b64 exec, exec, s[4:5]
	s_and_saveexec_b64 s[4:5], s[0:1]
	s_cbranch_execz .LBB214_4
; %bb.15:                               ;   in Loop: Header=BB214_6 Depth=1
	v_add_u32_e32 v1, 4, v124
	v_cmp_gt_i32_e32 vcc, s12, v1
	s_and_b64 s[22:23], s[2:3], vcc
	s_and_b64 exec, exec, s[22:23]
	s_cbranch_execz .LBB214_4
; %bb.16:                               ;   in Loop: Header=BB214_6 Depth=1
	v_ashrrev_i32_e32 v1, 31, v124
	v_add_co_u32_e32 v2, vcc, v47, v124
	v_addc_co_u32_e32 v3, vcc, v48, v1, vcc
	v_mad_u64_u32 v[1:2], s[22:23], v2, 36, s[18:19]
	v_mad_i32_i24 v2, v3, 36, v2
	global_load_dword v1, v[1:2], off offset:144
	v_add_u32_e32 v2, v32, v35
	s_waitcnt vmcnt(0)
	ds_write_b32 v2, v1
	s_branch .LBB214_4
.LBB214_17:
	s_mul_i32 s0, s14, s11
	s_waitcnt vmcnt(0)
	v_cmp_gt_i32_e32 vcc, s0, v26
	s_and_saveexec_b64 s[0:1], vcc
	s_cbranch_execz .LBB214_26
; %bb.18:
	v_mul_lo_u32 v1, v26, s13
	v_add_u32_e32 v0, s15, v0
	v_cmp_gt_u32_e32 vcc, s13, v0
	s_and_saveexec_b64 s[0:1], vcc
	s_cbranch_execz .LBB214_20
; %bb.19:
	v_add_u32_e32 v2, v1, v0
	v_mov_b32_e32 v3, 0
	v_lshlrev_b64 v[2:3], 1, v[2:3]
	v_cvt_f16_f32_e32 v5, v85
	v_mov_b32_e32 v4, s21
	v_add_co_u32_e32 v2, vcc, s20, v2
	v_addc_co_u32_e32 v3, vcc, v4, v3, vcc
	global_store_short v[2:3], v5, off
.LBB214_20:
	s_or_b64 exec, exec, s[0:1]
	v_add_u32_e32 v2, 32, v0
	v_cmp_gt_u32_e32 vcc, s13, v2
	s_and_saveexec_b64 s[0:1], vcc
	s_cbranch_execz .LBB214_22
; %bb.21:
	v_add_u32_e32 v2, v1, v2
	v_mov_b32_e32 v3, 0
	v_lshlrev_b64 v[2:3], 1, v[2:3]
	v_cvt_f16_f32_e32 v5, v126
	v_mov_b32_e32 v4, s21
	v_add_co_u32_e32 v2, vcc, s20, v2
	v_addc_co_u32_e32 v3, vcc, v4, v3, vcc
	global_store_short v[2:3], v5, off
.LBB214_22:
	s_or_b64 exec, exec, s[0:1]
	;; [unrolled: 15-line block ×3, first 2 shown]
	v_add_u32_e32 v0, 0x60, v0
	v_cmp_gt_u32_e32 vcc, s13, v0
	s_and_b64 exec, exec, vcc
	s_cbranch_execz .LBB214_26
; %bb.25:
	v_add_u32_e32 v0, v1, v0
	v_mov_b32_e32 v1, 0
	v_lshlrev_b64 v[0:1], 1, v[0:1]
	v_cvt_f16_f32_e32 v3, v25
	v_mov_b32_e32 v2, s21
	v_add_co_u32_e32 v0, vcc, s20, v0
	v_addc_co_u32_e32 v1, vcc, v2, v1, vcc
	global_store_short v[0:1], v3, off
.LBB214_26:
	s_endpgm
	.section	.rodata,"a",@progbits
	.p2align	6, 0x0
	.amdhsa_kernel _ZL8moe_q5_KIN3c104HalfELb1EEvPKvS3_PT_PKiS7_S7_iiiiiii
		.amdhsa_group_segment_fixed_size 37072
		.amdhsa_private_segment_fixed_size 0
		.amdhsa_kernarg_size 76
		.amdhsa_user_sgpr_count 6
		.amdhsa_user_sgpr_private_segment_buffer 1
		.amdhsa_user_sgpr_dispatch_ptr 0
		.amdhsa_user_sgpr_queue_ptr 0
		.amdhsa_user_sgpr_kernarg_segment_ptr 1
		.amdhsa_user_sgpr_dispatch_id 0
		.amdhsa_user_sgpr_flat_scratch_init 0
		.amdhsa_user_sgpr_private_segment_size 0
		.amdhsa_uses_dynamic_stack 0
		.amdhsa_system_sgpr_private_segment_wavefront_offset 0
		.amdhsa_system_sgpr_workgroup_id_x 1
		.amdhsa_system_sgpr_workgroup_id_y 1
		.amdhsa_system_sgpr_workgroup_id_z 0
		.amdhsa_system_sgpr_workgroup_info 0
		.amdhsa_system_vgpr_workitem_id 1
		.amdhsa_next_free_vgpr 184
		.amdhsa_next_free_sgpr 98
		.amdhsa_reserve_vcc 1
		.amdhsa_reserve_flat_scratch 0
		.amdhsa_float_round_mode_32 0
		.amdhsa_float_round_mode_16_64 0
		.amdhsa_float_denorm_mode_32 3
		.amdhsa_float_denorm_mode_16_64 3
		.amdhsa_dx10_clamp 1
		.amdhsa_ieee_mode 1
		.amdhsa_fp16_overflow 0
		.amdhsa_exception_fp_ieee_invalid_op 0
		.amdhsa_exception_fp_denorm_src 0
		.amdhsa_exception_fp_ieee_div_zero 0
		.amdhsa_exception_fp_ieee_overflow 0
		.amdhsa_exception_fp_ieee_underflow 0
		.amdhsa_exception_fp_ieee_inexact 0
		.amdhsa_exception_int_div_zero 0
	.end_amdhsa_kernel
	.section	.text._ZL8moe_q5_KIN3c104HalfELb1EEvPKvS3_PT_PKiS7_S7_iiiiiii,"axG",@progbits,_ZL8moe_q5_KIN3c104HalfELb1EEvPKvS3_PT_PKiS7_S7_iiiiiii,comdat
.Lfunc_end214:
	.size	_ZL8moe_q5_KIN3c104HalfELb1EEvPKvS3_PT_PKiS7_S7_iiiiiii, .Lfunc_end214-_ZL8moe_q5_KIN3c104HalfELb1EEvPKvS3_PT_PKiS7_S7_iiiiiii
                                        ; -- End function
	.set _ZL8moe_q5_KIN3c104HalfELb1EEvPKvS3_PT_PKiS7_S7_iiiiiii.num_vgpr, 184
	.set _ZL8moe_q5_KIN3c104HalfELb1EEvPKvS3_PT_PKiS7_S7_iiiiiii.num_agpr, 0
	.set _ZL8moe_q5_KIN3c104HalfELb1EEvPKvS3_PT_PKiS7_S7_iiiiiii.numbered_sgpr, 26
	.set _ZL8moe_q5_KIN3c104HalfELb1EEvPKvS3_PT_PKiS7_S7_iiiiiii.num_named_barrier, 0
	.set _ZL8moe_q5_KIN3c104HalfELb1EEvPKvS3_PT_PKiS7_S7_iiiiiii.private_seg_size, 0
	.set _ZL8moe_q5_KIN3c104HalfELb1EEvPKvS3_PT_PKiS7_S7_iiiiiii.uses_vcc, 1
	.set _ZL8moe_q5_KIN3c104HalfELb1EEvPKvS3_PT_PKiS7_S7_iiiiiii.uses_flat_scratch, 0
	.set _ZL8moe_q5_KIN3c104HalfELb1EEvPKvS3_PT_PKiS7_S7_iiiiiii.has_dyn_sized_stack, 0
	.set _ZL8moe_q5_KIN3c104HalfELb1EEvPKvS3_PT_PKiS7_S7_iiiiiii.has_recursion, 0
	.set _ZL8moe_q5_KIN3c104HalfELb1EEvPKvS3_PT_PKiS7_S7_iiiiiii.has_indirect_call, 0
	.section	.AMDGPU.csdata,"",@progbits
; Kernel info:
; codeLenInByte = 12364
; TotalNumSgprs: 30
; NumVgprs: 184
; ScratchSize: 0
; MemoryBound: 0
; FloatMode: 240
; IeeeMode: 1
; LDSByteSize: 37072 bytes/workgroup (compile time only)
; SGPRBlocks: 12
; VGPRBlocks: 45
; NumSGPRsForWavesPerEU: 102
; NumVGPRsForWavesPerEU: 184
; Occupancy: 1
; WaveLimiterHint : 1
; COMPUTE_PGM_RSRC2:SCRATCH_EN: 0
; COMPUTE_PGM_RSRC2:USER_SGPR: 6
; COMPUTE_PGM_RSRC2:TRAP_HANDLER: 0
; COMPUTE_PGM_RSRC2:TGID_X_EN: 1
; COMPUTE_PGM_RSRC2:TGID_Y_EN: 1
; COMPUTE_PGM_RSRC2:TGID_Z_EN: 0
; COMPUTE_PGM_RSRC2:TIDIG_COMP_CNT: 1
	.section	.text._ZL8moe_q6_KIN3c104HalfELb0EEvPKvS3_PT_PKiS7_S7_iiiiiii,"axG",@progbits,_ZL8moe_q6_KIN3c104HalfELb0EEvPKvS3_PT_PKiS7_S7_iiiiiii,comdat
	.globl	_ZL8moe_q6_KIN3c104HalfELb0EEvPKvS3_PT_PKiS7_S7_iiiiiii ; -- Begin function _ZL8moe_q6_KIN3c104HalfELb0EEvPKvS3_PT_PKiS7_S7_iiiiiii
	.p2align	8
	.type	_ZL8moe_q6_KIN3c104HalfELb0EEvPKvS3_PT_PKiS7_S7_iiiiiii,@function
_ZL8moe_q6_KIN3c104HalfELb0EEvPKvS3_PT_PKiS7_S7_iiiiiii: ; @_ZL8moe_q6_KIN3c104HalfELb0EEvPKvS3_PT_PKiS7_S7_iiiiiii
; %bb.0:
	s_load_dwordx4 s[0:3], s[4:5], 0x18
	s_mov_b32 s8, s7
	s_mov_b32 s9, 0
	s_lshl_b64 s[10:11], s[8:9], 2
	s_waitcnt lgkmcnt(0)
	s_add_u32 s2, s2, s10
	s_addc_u32 s3, s3, s11
	s_load_dword s2, s[2:3], 0x0
	s_waitcnt lgkmcnt(0)
	s_cmpk_gt_u32 s2, 0xff
	s_cbranch_scc1 .LBB215_26
; %bb.1:
	s_load_dwordx2 s[10:11], s[4:5], 0x28
	s_lshl_b32 s3, s8, 3
	s_waitcnt lgkmcnt(0)
	s_load_dword s7, s[10:11], 0x0
	s_waitcnt lgkmcnt(0)
	s_cmp_gt_u32 s3, s7
	s_cbranch_scc1 .LBB215_26
; %bb.2:
	v_add_u32_e32 v3, s3, v1
	v_mov_b32_e32 v4, 0
	v_lshlrev_b64 v[2:3], 2, v[3:4]
	v_mov_b32_e32 v5, s1
	v_add_co_u32_e32 v2, vcc, s0, v2
	v_addc_co_u32_e32 v3, vcc, v5, v3, vcc
	global_load_dword v5, v[2:3], off
	s_load_dwordx2 s[14:15], s[4:5], 0x30
	s_load_dwordx2 s[12:13], s[4:5], 0x10
	s_load_dwordx4 s[8:11], s[4:5], 0x3c
	s_lshl_b32 s20, s6, 7
	v_mov_b32_e32 v99, v4
	s_waitcnt lgkmcnt(0)
	s_cmpk_lt_i32 s15, 0x100
	v_mov_b32_e32 v102, v4
	v_mov_b32_e32 v6, v4
	s_cbranch_scc1 .LBB215_17
; %bb.3:
	s_abs_i32 s17, s11
	v_cvt_f32_u32_e32 v30, s17
	v_add_u32_e32 v31, 64, v0
	s_ashr_i32 s0, s15, 31
	v_lshrrev_b32_e32 v32, 3, v31
	v_rcp_iflag_f32_e32 v30, v30
	s_lshr_b32 s0, s0, 24
	s_mov_b32 s3, 0x8200
	v_lshlrev_b32_e32 v33, 2, v32
	v_mul_f32_e32 v30, 0x4f7ffffe, v30
	v_cvt_u32_f32_e32 v34, v30
	v_lshlrev_b32_e32 v31, 4, v31
	s_sub_i32 s18, 0, s17
	s_add_i32 s0, s15, s0
	v_add3_u32 v30, v31, v33, s3
	v_and_b32_e32 v31, 60, v32
	v_mul_lo_u32 v32, s18, v34
	s_ashr_i32 s21, s0, 8
	s_ashr_i32 s0, s9, 31
	v_and_b32_e32 v2, 31, v0
	s_lshr_b32 s0, s0, 27
	v_add_u16_e32 v7, -16, v2
	v_cmp_gt_u32_e32 vcc, 16, v2
	s_add_i32 s0, s9, s0
	v_lshlrev_b32_e32 v3, 1, v2
	v_lshlrev_b32_e32 v99, 2, v2
	v_cndmask_b32_e32 v2, v7, v2, vcc
	s_ashr_i32 s9, s0, 5
	v_cmp_lt_u16_e64 s[0:1], 7, v2
	v_add_u32_e32 v2, 0xe0, v3
	v_mul_hi_u32 v32, v34, v32
	v_cndmask_b32_e32 v2, v2, v3, vcc
	v_and_b32_e32 v2, 0xfe, v2
	v_sub_u32_e32 v2, v3, v2
	v_and_b32_e32 v3, 15, v0
	v_mul_u32_u24_e32 v8, 0x41, v1
	s_waitcnt vmcnt(0)
	v_sub_u32_e32 v39, 0, v5
	v_cndmask_b32_e64 v7, 0, 2, s[0:1]
	v_lshlrev_b32_e32 v2, 2, v2
	v_lshlrev_b32_e32 v3, 2, v3
	;; [unrolled: 1-line block ×3, first 2 shown]
	s_lshl_b32 s0, s21, 3
	v_max_i32_e32 v39, v5, v39
	v_add_u32_e32 v32, v34, v32
	v_add3_u32 v8, v2, v3, v8
	v_mov_b32_e32 v2, s0
	v_mul_hi_u32 v34, v39, v32
	v_mad_i32_i24 v40, s21, v1, v2
	v_lshl_add_u32 v2, v1, 5, v0
	v_and_b32_e32 v3, 0x7f, v2
	v_lshrrev_b32_e32 v2, 3, v2
	v_add_u32_e32 v33, 0x60, v0
	s_mul_i32 s14, s2, s14
	v_mul_i32_i24_e32 v101, s21, v3
	v_and_b32_e32 v2, 12, v2
	v_lshlrev_b32_e32 v3, 2, v3
	s_mov_b32 s2, 0x8e40
	v_lshrrev_b32_e32 v35, 3, v33
	v_add3_u32 v16, v3, v2, s2
	v_lshlrev_b32_e32 v2, 3, v1
	v_lshrrev_b32_e32 v3, 2, v0
	v_lshlrev_b32_e32 v36, 2, v35
	v_lshlrev_b32_e32 v32, 4, v33
	v_and_b32_e32 v33, 60, v35
	v_mul_lo_u32 v35, v34, s17
	v_add_u32_e32 v17, v3, v2
	v_and_b32_e32 v18, 3, v0
	v_add_u16_e32 v2, v3, v2
	v_lshlrev_b32_e32 v107, 2, v18
	v_and_b32_e32 v18, 0x7f, v17
	v_lshrrev_b16_e32 v2, 1, v2
	v_lshl_or_b32 v17, v18, 4, v107
	v_and_b32_e32 v2, 60, v2
	v_add3_u32 v17, v17, v2, s3
	v_xor_b32_e32 v2, 64, v18
	v_add_u32_e32 v28, 32, v0
	v_sub_u32_e32 v35, v39, v35
	v_mul_i32_i24_e32 v104, s21, v2
	v_lshl_or_b32 v3, v2, 4, v107
	v_lshrrev_b32_e32 v2, 1, v2
	v_lshrrev_b32_e32 v27, 3, v28
	v_add3_u32 v32, v32, v36, s3
	v_add_u32_e32 v36, 1, v34
	v_cmp_le_u32_e32 vcc, s17, v35
	s_load_dwordx4 s[4:7], s[4:5], 0x0
	v_lshrrev_b32_e32 v4, 5, v0
	v_and_b32_e32 v2, 60, v2
	v_lshlrev_b32_e32 v29, 2, v27
	v_lshlrev_b32_e32 v28, 4, v28
	v_cndmask_b32_e32 v34, v34, v36, vcc
	v_subrev_u32_e32 v36, s17, v35
	v_mul_i32_i24_e32 v102, s21, v18
	v_add3_u32 v18, v3, v2, s3
	v_lshlrev_b32_e32 v2, 2, v0
	v_lshlrev_b32_e32 v26, 2, v4
	v_add3_u32 v28, v28, v29, s3
	v_and_b32_e32 v29, 60, v27
	v_cndmask_b32_e32 v35, v35, v36, vcc
	v_add_u32_e32 v19, 0x9050, v2
	v_and_b32_e32 v3, 28, v2
	v_add3_u32 v26, v2, v26, s2
	v_add3_u32 v29, v2, v29, s2
	;; [unrolled: 1-line block ×4, first 2 shown]
	v_xor_b32_e32 v2, s11, v5
	v_add_u32_e32 v36, 1, v34
	v_cmp_le_u32_e32 vcc, s17, v35
	v_ashrrev_i32_e32 v2, 31, v2
	v_cndmask_b32_e32 v34, v34, v36, vcc
	s_mul_i32 s16, s21, s20
	v_xor_b32_e32 v34, v34, v2
	v_sub_u32_e32 v34, v34, v2
	s_waitcnt lgkmcnt(0)
	v_mov_b32_e32 v35, s7
	v_add_co_u32_e32 v2, vcc, s6, v3
	s_mul_hi_i32 s19, s16, 0xd2
	v_addc_co_u32_e32 v3, vcc, 0, v35, vcc
	s_mul_i32 s18, s16, 0xd2
	v_mov_b32_e32 v36, s19
	s_movk_i32 s23, 0xd2
	v_mov_b32_e32 v35, s18
	v_mad_u64_u32 v[94:95], s[16:17], v4, s23, v[35:36]
	v_mul_i32_i24_e32 v38, s21, v1
	v_and_b32_e32 v37, 7, v0
	v_mad_u64_u32 v[38:39], s[26:27], v38, s23, v[94:95]
	v_lshlrev_b32_e32 v4, 1, v0
	v_lshlrev_b32_e32 v36, 2, v37
	v_and_or_b32 v4, v4, 32, v36
	v_add_co_u32_e32 v36, vcc, v38, v4
	v_addc_co_u32_e32 v37, vcc, 0, v39, vcc
	v_mov_b32_e32 v41, s5
	v_add_co_u32_e32 v36, vcc, s4, v36
	v_addc_co_u32_e32 v37, vcc, v41, v37, vcc
	s_movk_i32 s22, 0x80
	v_add_co_u32_e32 v36, vcc, s22, v36
	v_addc_co_u32_e32 v37, vcc, 0, v37, vcc
	v_add_co_u32_e32 v38, vcc, v38, v99
	v_mad_u64_u32 v[42:43], s[26:27], v40, s23, v[94:95]
	v_addc_co_u32_e32 v39, vcc, 0, v39, vcc
	v_add_co_u32_e32 v38, vcc, s4, v38
	v_addc_co_u32_e32 v39, vcc, v41, v39, vcc
	v_add_u32_e32 v44, s0, v40
	v_add_co_u32_e32 v40, vcc, v42, v4
	v_addc_co_u32_e32 v41, vcc, 0, v43, vcc
	v_mov_b32_e32 v45, s5
	v_add_co_u32_e32 v40, vcc, s4, v40
	v_addc_co_u32_e32 v41, vcc, v45, v41, vcc
	v_add_co_u32_e32 v40, vcc, s22, v40
	v_addc_co_u32_e32 v41, vcc, 0, v41, vcc
	v_add_co_u32_e32 v42, vcc, v42, v99
	v_mad_u64_u32 v[46:47], s[26:27], v44, s23, v[94:95]
	v_addc_co_u32_e32 v43, vcc, 0, v43, vcc
	v_add_co_u32_e32 v42, vcc, s4, v42
	v_addc_co_u32_e32 v43, vcc, v45, v43, vcc
	v_add_u32_e32 v48, s0, v44
	v_add_co_u32_e32 v44, vcc, v46, v4
	v_addc_co_u32_e32 v45, vcc, 0, v47, vcc
	v_mov_b32_e32 v49, s5
	v_add_co_u32_e32 v44, vcc, s4, v44
	v_addc_co_u32_e32 v45, vcc, v49, v45, vcc
	;; [unrolled: 13-line block ×13, first 2 shown]
	v_add_co_u32_e32 v88, vcc, s22, v88
	v_addc_co_u32_e32 v89, vcc, 0, v89, vcc
	v_add_co_u32_e32 v90, vcc, v90, v99
	v_mad_u64_u32 v[96:97], s[26:27], v92, s23, v[94:95]
	v_addc_co_u32_e32 v91, vcc, 0, v91, vcc
	v_add_co_u32_e32 v90, vcc, s4, v90
	v_addc_co_u32_e32 v91, vcc, v93, v91, vcc
	v_add_co_u32_e32 v92, vcc, v96, v4
	v_addc_co_u32_e32 v93, vcc, 0, v97, vcc
	v_mov_b32_e32 v98, s5
	v_add_co_u32_e32 v92, vcc, s4, v92
	v_addc_co_u32_e32 v93, vcc, v98, v93, vcc
	v_add_co_u32_e32 v92, vcc, s22, v92
	v_addc_co_u32_e32 v93, vcc, 0, v93, vcc
	v_add_co_u32_e32 v96, vcc, v96, v99
	s_mul_i32 s25, s21, 0x78
	v_mov_b32_e32 v20, 0x8a40
	v_addc_co_u32_e32 v100, vcc, 0, v97, vcc
	v_mov_b32_e32 v97, s25
	v_lshl_add_u32 v20, v1, 7, v20
	v_lshlrev_b32_e32 v22, 4, v1
	v_mad_i32_i24 v1, s21, v1, v97
	v_mad_u64_u32 v[97:98], s[26:27], v1, s23, v[94:95]
	v_mov_b32_e32 v103, s5
	v_add_co_u32_e32 v1, vcc, s4, v96
	v_addc_co_u32_e32 v94, vcc, v103, v100, vcc
	v_add_co_u32_e32 v4, vcc, v97, v4
	v_addc_co_u32_e32 v95, vcc, 0, v98, vcc
	v_mov_b32_e32 v96, s5
	v_add_co_u32_e32 v4, vcc, s4, v4
	v_lshrrev_b32_e32 v23, 3, v0
	v_addc_co_u32_e32 v96, vcc, v96, v95, vcc
	v_lshlrev_b32_e32 v24, 2, v23
	v_lshlrev_b32_e32 v25, 4, v0
	v_add_co_u32_e32 v95, vcc, s22, v4
	v_cmp_gt_u32_e64 s[0:1], 4, v0
	v_add3_u32 v24, v25, v24, s3
	v_cmp_gt_i32_e64 s[2:3], s8, v34
	v_addc_co_u32_e32 v96, vcc, 0, v96, vcc
	s_ashr_i32 s24, s14, 31
	s_and_b64 s[16:17], s[0:1], s[2:3]
	v_add_co_u32_e32 v4, vcc, v97, v99
	v_addc_co_u32_e32 v98, vcc, 0, v98, vcc
	s_add_u32 s26, s4, s18
	v_add_u32_e32 v21, v20, v99
	v_mov_b32_e32 v99, s5
	v_add_co_u32_e32 v97, vcc, s4, v4
	s_addc_u32 s27, s5, s19
	v_addc_co_u32_e32 v98, vcc, v99, v98, vcc
	v_mov_b32_e32 v100, s27
	v_mov_b32_e32 v99, s26
	v_mad_u64_u32 v[100:101], s[26:27], v101, s23, v[99:100]
	v_mad_u64_u32 v[102:103], s[26:27], v102, s23, 0
	s_movk_i32 s25, 0xd0
	v_add_co_u32_e32 v100, vcc, s25, v100
	v_addc_co_u32_e32 v101, vcc, 0, v101, vcc
	v_mov_b32_e32 v4, s19
	v_add_co_u32_e32 v99, vcc, s18, v102
	v_addc_co_u32_e32 v4, vcc, v4, v103, vcc
	v_add_co_u32_e32 v99, vcc, v99, v107
	v_addc_co_u32_e32 v4, vcc, 0, v4, vcc
	v_mov_b32_e32 v102, s5
	v_add_co_u32_e32 v99, vcc, s4, v99
	v_mad_u64_u32 v[105:106], s[26:27], v104, s23, 0
	v_addc_co_u32_e32 v4, vcc, v102, v4, vcc
	s_movk_i32 s25, 0xc0
	v_add_co_u32_e32 v103, vcc, s25, v99
	v_addc_co_u32_e32 v104, vcc, 0, v4, vcc
	v_mov_b32_e32 v4, s19
	v_add_co_u32_e32 v99, vcc, s18, v105
	v_addc_co_u32_e32 v4, vcc, v4, v106, vcc
	v_add_co_u32_e32 v99, vcc, v99, v107
	v_mul_lo_u32 v34, v34, s9
	v_addc_co_u32_e32 v4, vcc, 0, v4, vcc
	v_add_co_u32_e32 v99, vcc, s4, v99
	v_addc_co_u32_e32 v4, vcc, v102, v4, vcc
	v_add_u32_e32 v9, 0x30c0, v8
	v_add_co_u32_e32 v105, vcc, s25, v99
	v_mov_b32_e32 v6, 0
	v_add_u32_e32 v10, 0x5140, v8
	v_add_u32_e32 v11, 0x5960, v8
	v_add_u32_e32 v12, 0x6180, v8
	v_add_u32_e32 v13, 0x69a0, v8
	v_add_u32_e32 v14, 0x71c0, v8
	v_add_u32_e32 v15, 0x79e0, v8
	v_mul_u32_u24_e32 v25, 0x104, v0
	v_ashrrev_i32_e32 v35, 31, v34
	v_addc_co_u32_e32 v106, vcc, 0, v4, vcc
	s_mov_b32 s18, 0x30303030
	s_movk_i32 s19, 0x3f00
	s_movk_i32 s23, 0xe000
	v_mov_b32_e32 v107, s24
	v_mov_b32_e32 v108, 8
	v_add_u32_e32 v109, 0x800, v8
	v_add_u32_e32 v110, 0x1000, v8
	;; [unrolled: 1-line block ×8, first 2 shown]
	v_mov_b32_e32 v117, v0
	v_mov_b32_e32 v102, 0
	;; [unrolled: 1-line block ×4, first 2 shown]
	s_branch .LBB215_6
.LBB215_4:                              ;   in Loop: Header=BB215_6 Depth=1
	s_or_b64 exec, exec, s[4:5]
	s_waitcnt lgkmcnt(0)
	s_barrier
	ds_read_b128 v[120:123], v20
	ds_read_b128 v[124:127], v20 offset:16
	ds_read_b128 v[128:131], v20 offset:32
	;; [unrolled: 1-line block ×3, first 2 shown]
	ds_read_b32 v119, v26
	ds_read2_b32 v[136:137], v25 offset0:44 offset1:45
	ds_read2_b32 v[138:139], v25 offset0:38 offset1:39
	;; [unrolled: 1-line block ×8, first 2 shown]
	s_waitcnt lgkmcnt(7)
	v_dot4_i32_i8 v118, v136, v132, 0
	v_dot4_i32_i8 v118, v137, v133, v118
	s_waitcnt lgkmcnt(2)
	v_dot4_i32_i8 v118, v146, v134, v118
	v_dot4_i32_i8 v160, v147, v135, v118
	;; [unrolled: 3-line block ×3, first 2 shown]
	v_dot4_i32_i8 v118, v148, v130, v118
	v_dot4_i32_i8 v161, v149, v131, v118
	;; [unrolled: 1-line block ×10, first 2 shown]
	v_add_u32_e32 v118, 0x2118, v25
	ds_read2_b32 v[136:137], v118 offset1:1
	v_add_u32_e32 v118, 0x2110, v25
	v_add_u32_e32 v140, 0x2108, v25
	;; [unrolled: 1-line block ×4, first 2 shown]
	ds_read2_b32 v[138:139], v118 offset1:1
	ds_read2_b32 v[140:141], v140 offset1:1
	ds_read2_b32 v[142:143], v142 offset1:1
	ds_read2_b32 v[144:145], v144 offset1:1
	v_add_u32_e32 v118, 0x2130, v25
	ds_read2_b32 v[146:147], v118 offset1:1
	v_add_u32_e32 v118, 0x2128, v25
	v_add_u32_e32 v150, 0x2120, v25
	;; [unrolled: 1-line block ×3, first 2 shown]
	ds_read2_b32 v[148:149], v118 offset1:1
	ds_read2_b32 v[150:151], v150 offset1:1
	;; [unrolled: 1-line block ×3, first 2 shown]
	s_waitcnt lgkmcnt(3)
	v_dot4_i32_i8 v118, v146, v132, 0
	v_dot4_i32_i8 v118, v147, v133, v118
	;; [unrolled: 1-line block ×4, first 2 shown]
	s_waitcnt lgkmcnt(1)
	v_dot4_i32_i8 v118, v150, v128, 0
	v_dot4_i32_i8 v118, v151, v129, v118
	;; [unrolled: 1-line block ×12, first 2 shown]
	v_add_u32_e32 v136, 0x4190, v25
	v_add_u32_e32 v138, 0x4188, v25
	;; [unrolled: 1-line block ×5, first 2 shown]
	ds_read_b32 v118, v33 offset:384
	ds_read2_b32 v[136:137], v136 offset1:1
	ds_read2_b32 v[138:139], v138 offset1:1
	ds_read2_b32 v[140:141], v140 offset1:1
	ds_read2_b32 v[142:143], v142 offset1:1
	ds_read2_b32 v[144:145], v144 offset1:1
	v_add_u32_e32 v146, 0x41a8, v25
	v_add_u32_e32 v148, 0x41a0, v25
	;; [unrolled: 1-line block ×3, first 2 shown]
	ds_read2_b32 v[146:147], v146 offset1:1
	ds_read2_b32 v[148:149], v148 offset1:1
	;; [unrolled: 1-line block ×3, first 2 shown]
	s_waitcnt lgkmcnt(3)
	v_dot4_i32_i8 v144, v144, v132, 0
	v_dot4_i32_i8 v136, v136, v124, 0
	;; [unrolled: 1-line block ×7, first 2 shown]
	s_waitcnt lgkmcnt(1)
	v_dot4_i32_i8 v142, v148, v128, 0
	v_dot4_i32_i8 v170, v153, v127, v136
	;; [unrolled: 1-line block ×9, first 2 shown]
	v_add_u32_e32 v136, 0x6210, v25
	v_add_u32_e32 v138, 0x6208, v25
	;; [unrolled: 1-line block ×5, first 2 shown]
	ds_read2_b32 v[136:137], v136 offset1:1
	ds_read2_b32 v[138:139], v138 offset1:1
	;; [unrolled: 1-line block ×5, first 2 shown]
	v_add_u32_e32 v146, 0x6228, v25
	v_add_u32_e32 v148, 0x6220, v25
	v_add_u32_e32 v152, 0x6258, v25
	ds_read2_b32 v[146:147], v146 offset1:1
	ds_read2_b32 v[148:149], v148 offset1:1
	;; [unrolled: 1-line block ×3, first 2 shown]
	s_waitcnt lgkmcnt(3)
	v_dot4_i32_i8 v132, v144, v132, 0
	v_dot4_i32_i8 v124, v136, v124, 0
	v_dot4_i32_i8 v120, v140, v120, 0
	s_waitcnt lgkmcnt(1)
	v_dot4_i32_i8 v128, v148, v128, 0
	v_dot4_i32_i8 v132, v145, v133, v132
	;; [unrolled: 1-line block ×13, first 2 shown]
	ds_read_b128 v[120:123], v20 offset:80
	ds_read_b128 v[124:127], v20 offset:64
	;; [unrolled: 1-line block ×4, first 2 shown]
	ds_read2_b32 v[136:137], v25 offset0:62 offset1:63
	ds_read2_b32 v[138:139], v25 offset0:60 offset1:61
	;; [unrolled: 1-line block ×7, first 2 shown]
	s_waitcnt lgkmcnt(5)
	v_dot4_i32_i8 v138, v138, v128, 0
	v_dot4_i32_i8 v138, v139, v129, v138
	v_dot4_i32_i8 v136, v136, v130, v138
	v_dot4_i32_i8 v176, v137, v131, v136
	s_waitcnt lgkmcnt(3)
	v_dot4_i32_i8 v136, v142, v120, 0
	v_dot4_i32_i8 v136, v143, v121, v136
	;; [unrolled: 1-line block ×4, first 2 shown]
	s_waitcnt lgkmcnt(1)
	v_dot4_i32_i8 v136, v146, v124, 0
	v_dot4_i32_i8 v136, v147, v125, v136
	;; [unrolled: 1-line block ×3, first 2 shown]
	v_add_u32_e32 v140, 0x6250, v25
	v_add_u32_e32 v142, 0x6248, v25
	;; [unrolled: 1-line block ×5, first 2 shown]
	v_dot4_i32_i8 v178, v145, v127, v136
	ds_read_b128 v[136:139], v22 offset:36944
	ds_read2_b32 v[140:141], v140 offset1:1
	ds_read2_b32 v[142:143], v142 offset1:1
	;; [unrolled: 1-line block ×5, first 2 shown]
	v_add_u32_e32 v154, 0x6268, v25
	v_add_u32_e32 v156, 0x6260, v25
	;; [unrolled: 1-line block ×3, first 2 shown]
	ds_read2_b32 v[154:155], v154 offset1:1
	ds_read2_b32 v[156:157], v156 offset1:1
	;; [unrolled: 1-line block ×3, first 2 shown]
	s_waitcnt lgkmcnt(3)
	v_dot4_i32_i8 v150, v150, v128, 0
	v_dot4_i32_i8 v150, v151, v129, v150
	;; [unrolled: 1-line block ×4, first 2 shown]
	s_waitcnt lgkmcnt(1)
	v_dot4_i32_i8 v146, v156, v132, 0
	v_dot4_i32_i8 v151, v157, v133, v146
	ds_read_b32 v179, v31 offset:256
	ds_read2_b32 v[146:147], v32 offset0:2 offset1:3
	v_dot4_i32_i8 v140, v140, v120, 0
	v_dot4_i32_i8 v140, v141, v121, v140
	;; [unrolled: 1-line block ×4, first 2 shown]
	s_waitcnt lgkmcnt(0)
	v_bfe_i32 v141, v146, 8, 8
	v_bfe_i32 v152, v147, 8, 8
	v_mul_lo_u32 v140, v140, v152
	v_mul_lo_u32 v141, v174, v141
	v_dot4_i32_i8 v144, v144, v124, 0
	v_dot4_i32_i8 v144, v145, v125, v144
	;; [unrolled: 1-line block ×4, first 2 shown]
	v_bfe_i32 v143, v147, 0, 8
	v_mad_u64_u32 v[142:143], s[4:5], v142, v143, v[140:141]
	v_bfe_i32 v144, v146, 0, 8
	v_add_u32_e32 v156, 0x2160, v25
	v_mad_u64_u32 v[140:141], s[4:5], v175, v144, v[141:142]
	v_dot4_i32_i8 v141, v154, v134, v151
	v_dot4_i32_i8 v143, v155, v135, v141
	v_cvt_f32_i32_e32 v151, v140
	v_ashrrev_i32_e32 v140, 24, v147
	v_ashrrev_i32_e32 v141, 24, v146
	v_mul_lo_u32 v140, v150, v140
	v_mul_lo_u32 v141, v172, v141
	v_cvt_f32_i32_e32 v145, v142
	v_bfe_i32 v142, v147, 16, 8
	v_bfe_i32 v144, v146, 16, 8
	v_mad_u64_u32 v[142:143], s[4:5], v143, v142, v[140:141]
	v_fma_f32 v146, v136, v151, 0
	v_fma_f32 v172, v138, v145, 0
	v_mad_u64_u32 v[140:141], s[4:5], v173, v144, v[141:142]
	ds_read2_b32 v[143:144], v24 offset0:2 offset1:3
	v_cvt_f32_i32_e32 v142, v142
	v_cvt_f32_i32_e32 v147, v140
	ds_read2_b32 v[140:141], v25 offset0:56 offset1:57
	v_add_u32_e32 v150, 0x2178, v25
	v_fmac_f32_e32 v172, v139, v142
	v_fmac_f32_e32 v146, v137, v147
	s_waitcnt lgkmcnt(1)
	v_bfe_i32 v142, v143, 0, 8
	s_waitcnt lgkmcnt(0)
	v_dot4_i32_i8 v140, v140, v132, 0
	v_dot4_i32_i8 v140, v141, v133, v140
	v_bfe_i32 v141, v143, 8, 8
	v_mul_lo_u32 v141, v162, v141
	v_dot4_i32_i8 v140, v148, v134, v140
	v_dot4_i32_i8 v147, v149, v135, v140
	v_bfe_i32 v140, v144, 8, 8
	v_mul_lo_u32 v140, v177, v140
	v_mad_u64_u32 v[141:142], s[4:5], v163, v142, v[141:142]
	v_bfe_i32 v145, v144, 0, 8
	v_fmac_f32_e32 v4, v118, v146
	v_mad_u64_u32 v[145:146], s[4:5], v178, v145, v[140:141]
	v_ashrrev_i32_e32 v140, 24, v144
	v_mul_lo_u32 v140, v176, v140
	v_bfe_i32 v148, v144, 16, 8
	v_ashrrev_i32_e32 v142, 24, v143
	v_bfe_i32 v146, v143, 16, 8
	v_mul_lo_u32 v142, v160, v142
	v_mad_u64_u32 v[143:144], s[4:5], v147, v148, v[140:141]
	v_cvt_f32_i32_e32 v140, v141
	v_cvt_f32_i32_e32 v141, v145
	v_mad_u64_u32 v[146:147], s[4:5], v161, v146, v[142:143]
	v_cvt_f32_i32_e32 v142, v143
	v_fma_f32 v144, v136, v140, 0
	v_cvt_f32_i32_e32 v143, v146
	v_fma_f32 v145, v138, v141, 0
	v_fmac_f32_e32 v145, v139, v142
	v_add_u32_e32 v146, 0x2148, v25
	v_fmac_f32_e32 v144, v137, v143
	v_fmac_f32_e32 v6, v119, v144
	;; [unrolled: 1-line block ×3, first 2 shown]
	v_add_u32_e32 v119, 0x2150, v25
	v_add_u32_e32 v148, 0x2140, v25
	ds_read_b32 v162, v29 offset:128
	ds_read2_b32 v[140:141], v30 offset0:2 offset1:3
	ds_read2_b32 v[142:143], v28 offset0:2 offset1:3
	ds_read2_b32 v[144:145], v119 offset1:1
	ds_read2_b32 v[146:147], v146 offset1:1
	;; [unrolled: 1-line block ×4, first 2 shown]
	v_add_u32_e32 v119, 0x2170, v25
	ds_read2_b32 v[152:153], v119 offset1:1
	v_add_u32_e32 v119, 0x2168, v25
	v_add_u32_e32 v160, 0x41d8, v25
	ds_read2_b32 v[154:155], v119 offset1:1
	ds_read2_b32 v[156:157], v156 offset1:1
	;; [unrolled: 1-line block ×3, first 2 shown]
	v_fmac_f32_e32 v4, v118, v172
	s_waitcnt lgkmcnt(3)
	v_dot4_i32_i8 v119, v152, v128, 0
	v_dot4_i32_i8 v119, v153, v129, v119
	;; [unrolled: 1-line block ×4, first 2 shown]
	s_waitcnt lgkmcnt(1)
	v_dot4_i32_i8 v119, v156, v132, 0
	v_dot4_i32_i8 v119, v157, v133, v119
	;; [unrolled: 1-line block ×11, first 2 shown]
	v_bfe_i32 v144, v142, 8, 8
	v_dot4_i32_i8 v119, v159, v123, v119
	v_bfe_i32 v145, v143, 8, 8
	v_mul_lo_u32 v144, v166, v144
	v_mul_lo_u32 v119, v119, v145
	v_bfe_i32 v145, v142, 0, 8
	v_bfe_i32 v147, v143, 0, 8
	v_mad_u64_u32 v[144:145], s[4:5], v167, v145, v[144:145]
	v_bfe_i32 v148, v142, 16, 8
	v_ashrrev_i32_e32 v142, 24, v142
	v_mad_u64_u32 v[145:146], s[4:5], v146, v147, v[119:120]
	v_ashrrev_i32_e32 v119, 24, v143
	v_mul_lo_u32 v142, v164, v142
	v_mul_lo_u32 v119, v150, v119
	v_bfe_i32 v146, v143, 16, 8
	v_add_u32_e32 v154, 0x41e0, v25
	v_mad_u64_u32 v[142:143], s[4:5], v165, v148, v[142:143]
	v_mad_u64_u32 v[146:147], s[4:5], v151, v146, v[119:120]
	v_cvt_f32_i32_e32 v119, v144
	v_cvt_f32_i32_e32 v143, v145
	;; [unrolled: 1-line block ×4, first 2 shown]
	v_fma_f32 v119, v136, v119, 0
	v_fma_f32 v143, v138, v143, 0
	v_fmac_f32_e32 v119, v137, v142
	v_fmac_f32_e32 v143, v139, v144
	;; [unrolled: 1-line block ×3, first 2 shown]
	v_add_u32_e32 v119, 0x41d0, v25
	v_add_u32_e32 v144, 0x41c8, v25
	;; [unrolled: 1-line block ×4, first 2 shown]
	v_fmac_f32_e32 v102, v162, v143
	ds_read2_b32 v[142:143], v119 offset1:1
	ds_read2_b32 v[144:145], v144 offset1:1
	;; [unrolled: 1-line block ×4, first 2 shown]
	v_add_u32_e32 v119, 0x41f0, v25
	ds_read2_b32 v[150:151], v119 offset1:1
	v_add_u32_e32 v119, 0x41e8, v25
	ds_read2_b32 v[152:153], v119 offset1:1
	ds_read2_b32 v[154:155], v154 offset1:1
	s_waitcnt lgkmcnt(0)
	s_barrier
	v_dot4_i32_i8 v119, v150, v128, 0
	v_dot4_i32_i8 v119, v151, v129, v119
	;; [unrolled: 1-line block ×15, first 2 shown]
	v_bfe_i32 v120, v140, 8, 8
	v_mul_lo_u32 v120, v170, v120
	v_dot4_i32_i8 v119, v161, v123, v119
	v_bfe_i32 v121, v141, 8, 8
	v_mul_lo_u32 v119, v119, v121
	v_bfe_i32 v121, v140, 0, 8
	v_mad_u64_u32 v[120:121], s[4:5], v171, v121, v[120:121]
	v_bfe_i32 v123, v141, 0, 8
	v_bfe_i32 v125, v140, 16, 8
	v_mad_u64_u32 v[121:122], s[4:5], v122, v123, v[119:120]
	v_ashrrev_i32_e32 v119, 24, v141
	v_mul_lo_u32 v119, v128, v119
	v_bfe_i32 v123, v141, 16, 8
	v_ashrrev_i32_e32 v122, 24, v140
	v_mul_lo_u32 v122, v168, v122
	v_mad_u64_u32 v[123:124], s[4:5], v129, v123, v[119:120]
	v_cvt_f32_i32_e32 v119, v120
	v_cvt_f32_i32_e32 v120, v121
	v_mad_u64_u32 v[124:125], s[4:5], v169, v125, v[122:123]
	v_cvt_f32_i32_e32 v121, v123
	v_fma_f32 v119, v136, v119, 0
	v_cvt_f32_i32_e32 v122, v124
	v_fma_f32 v120, v138, v120, 0
	v_fmac_f32_e32 v120, v139, v121
	v_fmac_f32_e32 v119, v137, v122
	;; [unrolled: 1-line block ×4, first 2 shown]
.LBB215_5:                              ;   in Loop: Header=BB215_6 Depth=1
	v_add_co_u32_e32 v36, vcc, 0xd2, v36
	v_addc_co_u32_e32 v37, vcc, 0, v37, vcc
	v_add_co_u32_e32 v38, vcc, 0xd2, v38
	v_addc_co_u32_e32 v39, vcc, 0, v39, vcc
	;; [unrolled: 2-line block ×34, first 2 shown]
	s_add_i32 s21, s21, -1
	s_addk_i32 s22, 0x100
	v_add_co_u32_e32 v105, vcc, 0xd2, v105
	v_add_u32_e32 v27, 8, v27
	v_add_u32_e32 v23, 8, v23
	;; [unrolled: 1-line block ×3, first 2 shown]
	s_cmp_eq_u32 s21, 0
	v_addc_co_u32_e32 v106, vcc, 0, v106, vcc
	s_cbranch_scc1 .LBB215_17
.LBB215_6:                              ; =>This Inner Loop Header: Depth=1
	v_add_co_u32_e32 v118, vcc, s14, v38
	v_addc_co_u32_e32 v119, vcc, v39, v107, vcc
	global_load_dword v122, v[118:119], off
	v_add_co_u32_e32 v118, vcc, s14, v36
	v_addc_co_u32_e32 v119, vcc, v37, v107, vcc
	global_load_dword v123, v[118:119], off
	;; [unrolled: 3-line block ×4, first 2 shown]
	v_add_co_u32_e32 v118, vcc, s14, v46
	v_addc_co_u32_e32 v119, vcc, v47, v107, vcc
	v_add_co_u32_e32 v120, vcc, s14, v44
	v_addc_co_u32_e32 v121, vcc, v45, v107, vcc
	global_load_dword v127, v[120:121], off
	global_load_dword v126, v[118:119], off
	v_add_co_u32_e32 v118, vcc, s14, v50
	v_addc_co_u32_e32 v119, vcc, v51, v107, vcc
	v_add_co_u32_e32 v120, vcc, s14, v48
	v_addc_co_u32_e32 v121, vcc, v49, v107, vcc
	global_load_dword v128, v[118:119], off
	s_nop 0
	global_load_dword v120, v[120:121], off
	s_add_i32 s4, s22, 0xffffff80
	s_cmp_lt_i32 s4, s15
	s_waitcnt vmcnt(7)
	v_lshrrev_b32_e32 v119, 4, v122
	v_and_b32_e32 v118, 0xf0f0f0f, v122
	v_and_b32_e32 v119, 0xf0f0f0f, v119
	s_waitcnt vmcnt(6)
	v_ashrrev_i32_e32 v121, v7, v123
	v_and_or_b32 v119, v121, s18, v119
	v_lshlrev_b16_e32 v130, 8, v119
	v_and_b32_sdwa v131, v119, s19 dst_sel:DWORD dst_unused:UNUSED_PAD src0_sel:WORD_1 src1_sel:DWORD
	v_add_u16_e32 v130, 0xe000, v130
	s_waitcnt vmcnt(5)
	v_and_b32_e32 v122, 0xf0f0f0f, v124
	v_lshrrev_b32_e32 v123, 4, v124
	v_and_b32_e32 v123, 0xf0f0f0f, v123
	s_waitcnt vmcnt(4)
	v_ashrrev_i32_e32 v124, v7, v125
	v_lshlrev_b32_e32 v125, 4, v121
	v_lshlrev_b32_e32 v129, 4, v124
	v_and_or_b32 v118, v125, s18, v118
	v_and_or_b32 v121, v129, s18, v122
	;; [unrolled: 1-line block ×3, first 2 shown]
	v_and_b32_e32 v123, 0x3f00, v118
	v_lshlrev_b16_e32 v124, 8, v118
	v_and_b32_sdwa v125, v118, s19 dst_sel:DWORD dst_unused:UNUSED_PAD src0_sel:WORD_1 src1_sel:DWORD
	v_lshlrev_b16_sdwa v118, v108, v118 dst_sel:DWORD dst_unused:UNUSED_PAD src0_sel:DWORD src1_sel:WORD_1
	v_and_b32_e32 v129, 0x3f00, v119
	v_lshlrev_b16_sdwa v119, v108, v119 dst_sel:DWORD dst_unused:UNUSED_PAD src0_sel:DWORD src1_sel:WORD_1
	v_add_u16_e32 v124, 0xe000, v124
	v_add_u16_e32 v118, 0xe000, v118
	;; [unrolled: 1-line block ×3, first 2 shown]
	v_or_b32_sdwa v123, v123, v124 dst_sel:DWORD dst_unused:UNUSED_PAD src0_sel:DWORD src1_sel:BYTE_1
	v_or_b32_sdwa v118, v125, v118 dst_sel:DWORD dst_unused:UNUSED_PAD src0_sel:DWORD src1_sel:BYTE_1
	;; [unrolled: 1-line block ×4, first 2 shown]
	v_add_u16_e32 v123, 0xe000, v123
	v_add_u16_sdwa v118, v118, s23 dst_sel:WORD_1 dst_unused:UNUSED_PAD src0_sel:DWORD src1_sel:DWORD
	v_add_u16_e32 v124, 0xe000, v124
	v_add_u16_sdwa v119, v119, s23 dst_sel:WORD_1 dst_unused:UNUSED_PAD src0_sel:DWORD src1_sel:DWORD
	v_lshlrev_b16_e32 v136, 8, v122
	v_or_b32_e32 v118, v123, v118
	v_or_b32_e32 v119, v124, v119
	v_and_b32_e32 v132, 0x3f00, v121
	v_lshlrev_b16_e32 v133, 8, v121
	v_and_b32_sdwa v134, v121, s19 dst_sel:DWORD dst_unused:UNUSED_PAD src0_sel:WORD_1 src1_sel:DWORD
	v_lshlrev_b16_sdwa v121, v108, v121 dst_sel:DWORD dst_unused:UNUSED_PAD src0_sel:DWORD src1_sel:WORD_1
	v_and_b32_e32 v135, 0x3f00, v122
	ds_write2_b32 v8, v118, v119 offset1:16
	v_add_u16_e32 v118, 0xe000, v136
	v_add_u16_e32 v133, 0xe000, v133
	;; [unrolled: 1-line block ×3, first 2 shown]
	v_or_b32_sdwa v118, v135, v118 dst_sel:DWORD dst_unused:UNUSED_PAD src0_sel:DWORD src1_sel:BYTE_1
	v_or_b32_sdwa v125, v132, v133 dst_sel:DWORD dst_unused:UNUSED_PAD src0_sel:DWORD src1_sel:BYTE_1
	;; [unrolled: 1-line block ×3, first 2 shown]
	v_add_u16_e32 v123, 0xe000, v118
	v_add_co_u32_e32 v118, vcc, s14, v54
	v_add_u16_e32 v125, 0xe000, v125
	v_add_u16_sdwa v121, v121, s23 dst_sel:WORD_1 dst_unused:UNUSED_PAD src0_sel:DWORD src1_sel:DWORD
	v_addc_co_u32_e32 v119, vcc, v55, v107, vcc
	v_or_b32_e32 v121, v125, v121
	global_load_dword v125, v[118:119], off
	v_add_co_u32_e32 v118, vcc, s14, v52
	v_addc_co_u32_e32 v119, vcc, v53, v107, vcc
	global_load_dword v129, v[118:119], off
	v_lshlrev_b16_sdwa v118, v108, v122 dst_sel:DWORD dst_unused:UNUSED_PAD src0_sel:DWORD src1_sel:WORD_1
	v_and_b32_sdwa v124, v122, s19 dst_sel:DWORD dst_unused:UNUSED_PAD src0_sel:WORD_1 src1_sel:DWORD
	v_add_u16_e32 v118, 0xe000, v118
	v_or_b32_sdwa v118, v124, v118 dst_sel:DWORD dst_unused:UNUSED_PAD src0_sel:DWORD src1_sel:BYTE_1
	v_add_u16_sdwa v118, v118, s23 dst_sel:WORD_1 dst_unused:UNUSED_PAD src0_sel:DWORD src1_sel:DWORD
	v_or_b32_e32 v118, v123, v118
	ds_write2_b32 v109, v121, v118 offset0:8 offset1:24
	s_waitcnt vmcnt(5)
	v_ashrrev_i32_e32 v121, v7, v127
	s_waitcnt vmcnt(4)
	v_and_b32_e32 v118, 0xf0f0f0f, v126
	v_lshlrev_b32_e32 v122, 4, v121
	v_and_or_b32 v118, v122, s18, v118
	v_lshlrev_b16_e32 v123, 8, v118
	v_and_b32_e32 v122, 0x3f00, v118
	v_add_u16_e32 v123, 0xe000, v123
	v_or_b32_sdwa v122, v122, v123 dst_sel:DWORD dst_unused:UNUSED_PAD src0_sel:DWORD src1_sel:BYTE_1
	v_and_b32_sdwa v123, v118, s19 dst_sel:DWORD dst_unused:UNUSED_PAD src0_sel:WORD_1 src1_sel:DWORD
	v_lshlrev_b16_sdwa v118, v108, v118 dst_sel:DWORD dst_unused:UNUSED_PAD src0_sel:DWORD src1_sel:WORD_1
	v_lshrrev_b32_e32 v119, 4, v126
	v_add_u16_e32 v118, 0xe000, v118
	v_and_b32_e32 v119, 0xf0f0f0f, v119
	v_or_b32_sdwa v118, v123, v118 dst_sel:DWORD dst_unused:UNUSED_PAD src0_sel:DWORD src1_sel:BYTE_1
	v_add_u16_e32 v122, 0xe000, v122
	v_add_u16_sdwa v118, v118, s23 dst_sel:WORD_1 dst_unused:UNUSED_PAD src0_sel:DWORD src1_sel:DWORD
	v_and_or_b32 v119, v121, s18, v119
	v_or_b32_e32 v118, v122, v118
	v_lshlrev_b16_e32 v122, 8, v119
	v_and_b32_e32 v121, 0x3f00, v119
	v_add_u16_e32 v122, 0xe000, v122
	v_or_b32_sdwa v121, v121, v122 dst_sel:DWORD dst_unused:UNUSED_PAD src0_sel:DWORD src1_sel:BYTE_1
	v_and_b32_sdwa v122, v119, s19 dst_sel:DWORD dst_unused:UNUSED_PAD src0_sel:WORD_1 src1_sel:DWORD
	v_lshlrev_b16_sdwa v119, v108, v119 dst_sel:DWORD dst_unused:UNUSED_PAD src0_sel:DWORD src1_sel:WORD_1
	v_add_u16_e32 v119, 0xe000, v119
	v_or_b32_sdwa v119, v122, v119 dst_sel:DWORD dst_unused:UNUSED_PAD src0_sel:DWORD src1_sel:BYTE_1
	v_add_u16_e32 v121, 0xe000, v121
	v_add_u16_sdwa v119, v119, s23 dst_sel:WORD_1 dst_unused:UNUSED_PAD src0_sel:DWORD src1_sel:DWORD
	v_or_b32_e32 v119, v121, v119
	ds_write2_b32 v110, v118, v119 offset0:16 offset1:32
	s_waitcnt vmcnt(3)
	v_lshrrev_b32_e32 v118, 4, v128
	v_and_b32_e32 v122, 0xf0f0f0f, v118
	v_add_co_u32_e32 v118, vcc, s14, v58
	v_addc_co_u32_e32 v119, vcc, v59, v107, vcc
	global_load_dword v123, v[118:119], off
	v_add_co_u32_e32 v118, vcc, s14, v56
	v_addc_co_u32_e32 v119, vcc, v57, v107, vcc
	global_load_dword v124, v[118:119], off
	s_waitcnt vmcnt(4)
	v_ashrrev_i32_e32 v120, v7, v120
	v_and_b32_e32 v121, 0xf0f0f0f, v128
	v_lshlrev_b32_e32 v118, 4, v120
	v_and_or_b32 v118, v118, s18, v121
	v_lshlrev_b16_e32 v121, 8, v118
	v_and_b32_e32 v119, 0x3f00, v118
	v_add_u16_e32 v121, 0xe000, v121
	v_or_b32_sdwa v119, v119, v121 dst_sel:DWORD dst_unused:UNUSED_PAD src0_sel:DWORD src1_sel:BYTE_1
	v_and_b32_sdwa v121, v118, s19 dst_sel:DWORD dst_unused:UNUSED_PAD src0_sel:WORD_1 src1_sel:DWORD
	v_lshlrev_b16_sdwa v118, v108, v118 dst_sel:DWORD dst_unused:UNUSED_PAD src0_sel:DWORD src1_sel:WORD_1
	v_add_u16_e32 v118, 0xe000, v118
	v_or_b32_sdwa v118, v121, v118 dst_sel:DWORD dst_unused:UNUSED_PAD src0_sel:DWORD src1_sel:BYTE_1
	v_add_u16_e32 v119, 0xe000, v119
	v_add_u16_sdwa v118, v118, s23 dst_sel:WORD_1 dst_unused:UNUSED_PAD src0_sel:DWORD src1_sel:DWORD
	v_or_b32_e32 v118, v119, v118
	v_and_or_b32 v119, v120, s18, v122
	v_lshlrev_b16_e32 v121, 8, v119
	v_and_b32_e32 v120, 0x3f00, v119
	v_add_u16_e32 v121, 0xe000, v121
	v_or_b32_sdwa v120, v120, v121 dst_sel:DWORD dst_unused:UNUSED_PAD src0_sel:DWORD src1_sel:BYTE_1
	v_and_b32_sdwa v121, v119, s19 dst_sel:DWORD dst_unused:UNUSED_PAD src0_sel:WORD_1 src1_sel:DWORD
	v_lshlrev_b16_sdwa v119, v108, v119 dst_sel:DWORD dst_unused:UNUSED_PAD src0_sel:DWORD src1_sel:WORD_1
	v_add_u16_e32 v119, 0xe000, v119
	v_or_b32_sdwa v119, v121, v119 dst_sel:DWORD dst_unused:UNUSED_PAD src0_sel:DWORD src1_sel:BYTE_1
	v_add_u16_e32 v120, 0xe000, v120
	v_add_u16_sdwa v119, v119, s23 dst_sel:WORD_1 dst_unused:UNUSED_PAD src0_sel:DWORD src1_sel:DWORD
	v_or_b32_e32 v119, v120, v119
	ds_write2_b32 v111, v118, v119 offset0:24 offset1:40
	s_waitcnt vmcnt(3)
	v_lshrrev_b32_e32 v118, 4, v125
	v_and_b32_e32 v121, 0xf0f0f0f, v118
	v_add_co_u32_e32 v118, vcc, s14, v62
	v_addc_co_u32_e32 v119, vcc, v63, v107, vcc
	v_and_b32_e32 v120, 0xf0f0f0f, v125
	global_load_dword v125, v[118:119], off
	v_add_co_u32_e32 v118, vcc, s14, v60
	v_addc_co_u32_e32 v119, vcc, v61, v107, vcc
	global_load_dword v126, v[118:119], off
	s_waitcnt vmcnt(4)
	v_ashrrev_i32_e32 v122, v7, v129
	v_lshlrev_b32_e32 v118, 4, v122
	v_and_or_b32 v118, v118, s18, v120
	v_lshlrev_b16_e32 v120, 8, v118
	v_and_b32_e32 v119, 0x3f00, v118
	v_add_u16_e32 v120, 0xe000, v120
	v_or_b32_sdwa v119, v119, v120 dst_sel:DWORD dst_unused:UNUSED_PAD src0_sel:DWORD src1_sel:BYTE_1
	v_and_b32_sdwa v120, v118, s19 dst_sel:DWORD dst_unused:UNUSED_PAD src0_sel:WORD_1 src1_sel:DWORD
	v_lshlrev_b16_sdwa v118, v108, v118 dst_sel:DWORD dst_unused:UNUSED_PAD src0_sel:DWORD src1_sel:WORD_1
	v_add_u16_e32 v118, 0xe000, v118
	v_or_b32_sdwa v118, v120, v118 dst_sel:DWORD dst_unused:UNUSED_PAD src0_sel:DWORD src1_sel:BYTE_1
	v_add_u16_e32 v119, 0xe000, v119
	v_add_u16_sdwa v118, v118, s23 dst_sel:WORD_1 dst_unused:UNUSED_PAD src0_sel:DWORD src1_sel:DWORD
	v_and_or_b32 v121, v122, s18, v121
	v_or_b32_e32 v120, v119, v118
	v_lshlrev_b16_e32 v119, 8, v121
	v_and_b32_e32 v118, 0x3f00, v121
	v_add_u16_e32 v119, 0xe000, v119
	v_or_b32_sdwa v118, v118, v119 dst_sel:DWORD dst_unused:UNUSED_PAD src0_sel:DWORD src1_sel:BYTE_1
	v_add_u16_e32 v122, 0xe000, v118
	v_add_co_u32_e32 v118, vcc, s14, v66
	v_addc_co_u32_e32 v119, vcc, v67, v107, vcc
	global_load_dword v128, v[118:119], off
	v_add_co_u32_e32 v118, vcc, s14, v64
	v_addc_co_u32_e32 v119, vcc, v65, v107, vcc
	global_load_dword v129, v[118:119], off
	v_lshlrev_b16_sdwa v118, v108, v121 dst_sel:DWORD dst_unused:UNUSED_PAD src0_sel:DWORD src1_sel:WORD_1
	v_and_b32_sdwa v127, v121, s19 dst_sel:DWORD dst_unused:UNUSED_PAD src0_sel:WORD_1 src1_sel:DWORD
	v_add_u16_e32 v118, 0xe000, v118
	v_or_b32_sdwa v118, v127, v118 dst_sel:DWORD dst_unused:UNUSED_PAD src0_sel:DWORD src1_sel:BYTE_1
	v_add_u16_sdwa v118, v118, s23 dst_sel:WORD_1 dst_unused:UNUSED_PAD src0_sel:DWORD src1_sel:DWORD
	v_or_b32_e32 v118, v122, v118
	ds_write2_b32 v112, v120, v118 offset0:32 offset1:48
	s_waitcnt vmcnt(5)
	v_and_b32_e32 v118, 0xf0f0f0f, v123
	s_waitcnt vmcnt(4)
	v_ashrrev_i32_e32 v120, v7, v124
	v_lshlrev_b32_e32 v121, 4, v120
	v_and_or_b32 v118, v121, s18, v118
	v_lshlrev_b16_e32 v122, 8, v118
	v_and_b32_e32 v121, 0x3f00, v118
	v_add_u16_e32 v122, 0xe000, v122
	v_lshrrev_b32_e32 v119, 4, v123
	v_or_b32_sdwa v121, v121, v122 dst_sel:DWORD dst_unused:UNUSED_PAD src0_sel:DWORD src1_sel:BYTE_1
	v_and_b32_sdwa v122, v118, s19 dst_sel:DWORD dst_unused:UNUSED_PAD src0_sel:WORD_1 src1_sel:DWORD
	v_lshlrev_b16_sdwa v118, v108, v118 dst_sel:DWORD dst_unused:UNUSED_PAD src0_sel:DWORD src1_sel:WORD_1
	v_and_b32_e32 v119, 0xf0f0f0f, v119
	v_add_u16_e32 v118, 0xe000, v118
	v_or_b32_sdwa v118, v122, v118 dst_sel:DWORD dst_unused:UNUSED_PAD src0_sel:DWORD src1_sel:BYTE_1
	v_and_or_b32 v120, v120, s18, v119
	v_add_u16_e32 v121, 0xe000, v121
	v_add_u16_sdwa v118, v118, s23 dst_sel:WORD_1 dst_unused:UNUSED_PAD src0_sel:DWORD src1_sel:DWORD
	v_lshlrev_b16_e32 v119, 8, v120
	v_or_b32_e32 v121, v121, v118
	v_and_b32_e32 v118, 0x3f00, v120
	v_add_u16_e32 v119, 0xe000, v119
	v_or_b32_sdwa v118, v118, v119 dst_sel:DWORD dst_unused:UNUSED_PAD src0_sel:DWORD src1_sel:BYTE_1
	v_add_u16_e32 v122, 0xe000, v118
	v_add_co_u32_e32 v118, vcc, s14, v70
	v_addc_co_u32_e32 v119, vcc, v71, v107, vcc
	global_load_dword v124, v[118:119], off
	v_add_co_u32_e32 v118, vcc, s14, v68
	v_addc_co_u32_e32 v119, vcc, v69, v107, vcc
	global_load_dword v127, v[118:119], off
	v_lshlrev_b16_sdwa v118, v108, v120 dst_sel:DWORD dst_unused:UNUSED_PAD src0_sel:DWORD src1_sel:WORD_1
	v_and_b32_sdwa v123, v120, s19 dst_sel:DWORD dst_unused:UNUSED_PAD src0_sel:WORD_1 src1_sel:DWORD
	v_add_u16_e32 v118, 0xe000, v118
	v_or_b32_sdwa v118, v123, v118 dst_sel:DWORD dst_unused:UNUSED_PAD src0_sel:DWORD src1_sel:BYTE_1
	v_add_u16_sdwa v118, v118, s23 dst_sel:WORD_1 dst_unused:UNUSED_PAD src0_sel:DWORD src1_sel:DWORD
	v_or_b32_e32 v118, v122, v118
	ds_write2_b32 v113, v121, v118 offset0:40 offset1:56
	s_waitcnt vmcnt(5)
	v_and_b32_e32 v118, 0xf0f0f0f, v125
	v_lshrrev_b32_e32 v119, 4, v125
	s_waitcnt vmcnt(4)
	v_ashrrev_i32_e32 v120, v7, v126
	v_lshlrev_b32_e32 v121, 4, v120
	v_and_or_b32 v118, v121, s18, v118
	v_lshlrev_b16_e32 v122, 8, v118
	v_and_b32_e32 v121, 0x3f00, v118
	v_add_u16_e32 v122, 0xe000, v122
	v_or_b32_sdwa v121, v121, v122 dst_sel:DWORD dst_unused:UNUSED_PAD src0_sel:DWORD src1_sel:BYTE_1
	v_and_b32_sdwa v122, v118, s19 dst_sel:DWORD dst_unused:UNUSED_PAD src0_sel:WORD_1 src1_sel:DWORD
	v_lshlrev_b16_sdwa v118, v108, v118 dst_sel:DWORD dst_unused:UNUSED_PAD src0_sel:DWORD src1_sel:WORD_1
	v_add_u16_e32 v118, 0xe000, v118
	v_and_b32_e32 v119, 0xf0f0f0f, v119
	v_or_b32_sdwa v118, v122, v118 dst_sel:DWORD dst_unused:UNUSED_PAD src0_sel:DWORD src1_sel:BYTE_1
	v_add_u16_e32 v121, 0xe000, v121
	v_add_u16_sdwa v118, v118, s23 dst_sel:WORD_1 dst_unused:UNUSED_PAD src0_sel:DWORD src1_sel:DWORD
	v_and_or_b32 v119, v120, s18, v119
	v_or_b32_e32 v118, v121, v118
	v_lshlrev_b16_e32 v121, 8, v119
	v_and_b32_e32 v120, 0x3f00, v119
	v_add_u16_e32 v121, 0xe000, v121
	v_or_b32_sdwa v120, v120, v121 dst_sel:DWORD dst_unused:UNUSED_PAD src0_sel:DWORD src1_sel:BYTE_1
	v_and_b32_sdwa v121, v119, s19 dst_sel:DWORD dst_unused:UNUSED_PAD src0_sel:WORD_1 src1_sel:DWORD
	v_lshlrev_b16_sdwa v119, v108, v119 dst_sel:DWORD dst_unused:UNUSED_PAD src0_sel:DWORD src1_sel:WORD_1
	v_add_u16_e32 v119, 0xe000, v119
	v_or_b32_sdwa v119, v121, v119 dst_sel:DWORD dst_unused:UNUSED_PAD src0_sel:DWORD src1_sel:BYTE_1
	v_add_u16_e32 v120, 0xe000, v120
	v_add_u16_sdwa v119, v119, s23 dst_sel:WORD_1 dst_unused:UNUSED_PAD src0_sel:DWORD src1_sel:DWORD
	v_or_b32_e32 v119, v120, v119
	ds_write2_b32 v9, v118, v119 offset1:16
	s_waitcnt vmcnt(3)
	v_lshrrev_b32_e32 v118, 4, v128
	v_and_b32_e32 v121, 0xf0f0f0f, v118
	v_add_co_u32_e32 v118, vcc, s14, v74
	v_addc_co_u32_e32 v119, vcc, v75, v107, vcc
	global_load_dword v123, v[118:119], off
	v_add_co_u32_e32 v118, vcc, s14, v72
	s_waitcnt vmcnt(3)
	v_ashrrev_i32_e32 v122, v7, v129
	v_addc_co_u32_e32 v119, vcc, v73, v107, vcc
	v_and_b32_e32 v120, 0xf0f0f0f, v128
	global_load_dword v125, v[118:119], off
	v_lshlrev_b32_e32 v118, 4, v122
	v_and_or_b32 v118, v118, s18, v120
	v_lshlrev_b16_e32 v120, 8, v118
	v_and_b32_e32 v119, 0x3f00, v118
	v_add_u16_e32 v120, 0xe000, v120
	v_or_b32_sdwa v119, v119, v120 dst_sel:DWORD dst_unused:UNUSED_PAD src0_sel:DWORD src1_sel:BYTE_1
	v_and_b32_sdwa v120, v118, s19 dst_sel:DWORD dst_unused:UNUSED_PAD src0_sel:WORD_1 src1_sel:DWORD
	v_lshlrev_b16_sdwa v118, v108, v118 dst_sel:DWORD dst_unused:UNUSED_PAD src0_sel:DWORD src1_sel:WORD_1
	v_add_u16_e32 v118, 0xe000, v118
	v_or_b32_sdwa v118, v120, v118 dst_sel:DWORD dst_unused:UNUSED_PAD src0_sel:DWORD src1_sel:BYTE_1
	v_add_u16_e32 v119, 0xe000, v119
	v_add_u16_sdwa v118, v118, s23 dst_sel:WORD_1 dst_unused:UNUSED_PAD src0_sel:DWORD src1_sel:DWORD
	v_or_b32_e32 v118, v119, v118
	v_and_or_b32 v119, v122, s18, v121
	v_lshlrev_b16_e32 v121, 8, v119
	v_and_b32_e32 v120, 0x3f00, v119
	v_add_u16_e32 v121, 0xe000, v121
	v_or_b32_sdwa v120, v120, v121 dst_sel:DWORD dst_unused:UNUSED_PAD src0_sel:DWORD src1_sel:BYTE_1
	v_and_b32_sdwa v121, v119, s19 dst_sel:DWORD dst_unused:UNUSED_PAD src0_sel:WORD_1 src1_sel:DWORD
	v_lshlrev_b16_sdwa v119, v108, v119 dst_sel:DWORD dst_unused:UNUSED_PAD src0_sel:DWORD src1_sel:WORD_1
	v_add_u16_e32 v119, 0xe000, v119
	v_or_b32_sdwa v119, v121, v119 dst_sel:DWORD dst_unused:UNUSED_PAD src0_sel:DWORD src1_sel:BYTE_1
	v_add_u16_e32 v120, 0xe000, v120
	v_add_u16_sdwa v119, v119, s23 dst_sel:WORD_1 dst_unused:UNUSED_PAD src0_sel:DWORD src1_sel:DWORD
	v_or_b32_e32 v119, v120, v119
	ds_write2_b32 v114, v118, v119 offset0:8 offset1:24
	s_waitcnt vmcnt(3)
	v_lshrrev_b32_e32 v118, 4, v124
	v_and_b32_e32 v121, 0xf0f0f0f, v118
	v_add_co_u32_e32 v118, vcc, s14, v78
	v_addc_co_u32_e32 v119, vcc, v79, v107, vcc
	v_and_b32_e32 v120, 0xf0f0f0f, v124
	global_load_dword v124, v[118:119], off
	v_add_co_u32_e32 v118, vcc, s14, v76
	v_addc_co_u32_e32 v119, vcc, v77, v107, vcc
	global_load_dword v126, v[118:119], off
	s_waitcnt vmcnt(4)
	v_ashrrev_i32_e32 v122, v7, v127
	v_lshlrev_b32_e32 v118, 4, v122
	v_and_or_b32 v118, v118, s18, v120
	v_lshlrev_b16_e32 v120, 8, v118
	v_and_b32_e32 v119, 0x3f00, v118
	v_add_u16_e32 v120, 0xe000, v120
	v_or_b32_sdwa v119, v119, v120 dst_sel:DWORD dst_unused:UNUSED_PAD src0_sel:DWORD src1_sel:BYTE_1
	v_and_b32_sdwa v120, v118, s19 dst_sel:DWORD dst_unused:UNUSED_PAD src0_sel:WORD_1 src1_sel:DWORD
	v_lshlrev_b16_sdwa v118, v108, v118 dst_sel:DWORD dst_unused:UNUSED_PAD src0_sel:DWORD src1_sel:WORD_1
	v_add_u16_e32 v118, 0xe000, v118
	v_or_b32_sdwa v118, v120, v118 dst_sel:DWORD dst_unused:UNUSED_PAD src0_sel:DWORD src1_sel:BYTE_1
	v_add_u16_e32 v119, 0xe000, v119
	v_add_u16_sdwa v118, v118, s23 dst_sel:WORD_1 dst_unused:UNUSED_PAD src0_sel:DWORD src1_sel:DWORD
	v_and_or_b32 v121, v122, s18, v121
	v_or_b32_e32 v120, v119, v118
	v_lshlrev_b16_e32 v119, 8, v121
	v_and_b32_e32 v118, 0x3f00, v121
	v_add_u16_e32 v119, 0xe000, v119
	v_or_b32_sdwa v118, v118, v119 dst_sel:DWORD dst_unused:UNUSED_PAD src0_sel:DWORD src1_sel:BYTE_1
	v_add_u16_e32 v122, 0xe000, v118
	v_add_co_u32_e32 v118, vcc, s14, v82
	v_addc_co_u32_e32 v119, vcc, v83, v107, vcc
	global_load_dword v128, v[118:119], off
	v_add_co_u32_e32 v118, vcc, s14, v80
	v_addc_co_u32_e32 v119, vcc, v81, v107, vcc
	global_load_dword v129, v[118:119], off
	v_lshlrev_b16_sdwa v118, v108, v121 dst_sel:DWORD dst_unused:UNUSED_PAD src0_sel:DWORD src1_sel:WORD_1
	v_and_b32_sdwa v127, v121, s19 dst_sel:DWORD dst_unused:UNUSED_PAD src0_sel:WORD_1 src1_sel:DWORD
	v_add_u16_e32 v118, 0xe000, v118
	v_or_b32_sdwa v118, v127, v118 dst_sel:DWORD dst_unused:UNUSED_PAD src0_sel:DWORD src1_sel:BYTE_1
	v_add_u16_sdwa v118, v118, s23 dst_sel:WORD_1 dst_unused:UNUSED_PAD src0_sel:DWORD src1_sel:DWORD
	v_or_b32_e32 v118, v122, v118
	ds_write2_b32 v115, v120, v118 offset0:16 offset1:32
	s_waitcnt vmcnt(5)
	v_and_b32_e32 v118, 0xf0f0f0f, v123
	v_lshrrev_b32_e32 v119, 4, v123
	v_and_b32_e32 v119, 0xf0f0f0f, v119
	s_waitcnt vmcnt(4)
	v_ashrrev_i32_e32 v120, v7, v125
	v_lshlrev_b32_e32 v121, 4, v120
	v_and_or_b32 v118, v121, s18, v118
	v_lshlrev_b16_e32 v122, 8, v118
	v_and_b32_e32 v121, 0x3f00, v118
	v_add_u16_e32 v122, 0xe000, v122
	v_or_b32_sdwa v121, v121, v122 dst_sel:DWORD dst_unused:UNUSED_PAD src0_sel:DWORD src1_sel:BYTE_1
	v_and_b32_sdwa v122, v118, s19 dst_sel:DWORD dst_unused:UNUSED_PAD src0_sel:WORD_1 src1_sel:DWORD
	v_lshlrev_b16_sdwa v118, v108, v118 dst_sel:DWORD dst_unused:UNUSED_PAD src0_sel:DWORD src1_sel:WORD_1
	v_add_u16_e32 v118, 0xe000, v118
	v_or_b32_sdwa v118, v122, v118 dst_sel:DWORD dst_unused:UNUSED_PAD src0_sel:DWORD src1_sel:BYTE_1
	v_and_or_b32 v120, v120, s18, v119
	v_add_u16_e32 v121, 0xe000, v121
	v_add_u16_sdwa v118, v118, s23 dst_sel:WORD_1 dst_unused:UNUSED_PAD src0_sel:DWORD src1_sel:DWORD
	v_lshlrev_b16_e32 v119, 8, v120
	v_or_b32_e32 v121, v121, v118
	v_and_b32_e32 v118, 0x3f00, v120
	v_add_u16_e32 v119, 0xe000, v119
	v_or_b32_sdwa v118, v118, v119 dst_sel:DWORD dst_unused:UNUSED_PAD src0_sel:DWORD src1_sel:BYTE_1
	v_add_u16_e32 v122, 0xe000, v118
	v_add_co_u32_e32 v118, vcc, s14, v86
	v_addc_co_u32_e32 v119, vcc, v87, v107, vcc
	global_load_dword v125, v[118:119], off
	v_add_co_u32_e32 v118, vcc, s14, v84
	v_addc_co_u32_e32 v119, vcc, v85, v107, vcc
	global_load_dword v127, v[118:119], off
	v_lshlrev_b16_sdwa v118, v108, v120 dst_sel:DWORD dst_unused:UNUSED_PAD src0_sel:DWORD src1_sel:WORD_1
	v_and_b32_sdwa v123, v120, s19 dst_sel:DWORD dst_unused:UNUSED_PAD src0_sel:WORD_1 src1_sel:DWORD
	v_add_u16_e32 v118, 0xe000, v118
	v_or_b32_sdwa v118, v123, v118 dst_sel:DWORD dst_unused:UNUSED_PAD src0_sel:DWORD src1_sel:BYTE_1
	v_add_u16_sdwa v118, v118, s23 dst_sel:WORD_1 dst_unused:UNUSED_PAD src0_sel:DWORD src1_sel:DWORD
	v_or_b32_e32 v118, v122, v118
	ds_write2_b32 v116, v121, v118 offset0:24 offset1:40
	s_waitcnt vmcnt(5)
	v_and_b32_e32 v118, 0xf0f0f0f, v124
	v_lshrrev_b32_e32 v119, 4, v124
	s_waitcnt vmcnt(4)
	v_ashrrev_i32_e32 v120, v7, v126
	v_lshlrev_b32_e32 v121, 4, v120
	v_and_or_b32 v118, v121, s18, v118
	v_lshlrev_b16_e32 v122, 8, v118
	v_and_b32_e32 v121, 0x3f00, v118
	v_add_u16_e32 v122, 0xe000, v122
	v_or_b32_sdwa v121, v121, v122 dst_sel:DWORD dst_unused:UNUSED_PAD src0_sel:DWORD src1_sel:BYTE_1
	v_and_b32_sdwa v122, v118, s19 dst_sel:DWORD dst_unused:UNUSED_PAD src0_sel:WORD_1 src1_sel:DWORD
	v_lshlrev_b16_sdwa v118, v108, v118 dst_sel:DWORD dst_unused:UNUSED_PAD src0_sel:DWORD src1_sel:WORD_1
	v_add_u16_e32 v118, 0xe000, v118
	v_and_b32_e32 v119, 0xf0f0f0f, v119
	v_or_b32_sdwa v118, v122, v118 dst_sel:DWORD dst_unused:UNUSED_PAD src0_sel:DWORD src1_sel:BYTE_1
	v_add_u16_e32 v121, 0xe000, v121
	v_add_u16_sdwa v118, v118, s23 dst_sel:WORD_1 dst_unused:UNUSED_PAD src0_sel:DWORD src1_sel:DWORD
	v_and_or_b32 v119, v120, s18, v119
	v_or_b32_e32 v118, v121, v118
	v_lshlrev_b16_e32 v121, 8, v119
	v_and_b32_e32 v120, 0x3f00, v119
	v_add_u16_e32 v121, 0xe000, v121
	v_or_b32_sdwa v120, v120, v121 dst_sel:DWORD dst_unused:UNUSED_PAD src0_sel:DWORD src1_sel:BYTE_1
	v_and_b32_sdwa v121, v119, s19 dst_sel:DWORD dst_unused:UNUSED_PAD src0_sel:WORD_1 src1_sel:DWORD
	v_lshlrev_b16_sdwa v119, v108, v119 dst_sel:DWORD dst_unused:UNUSED_PAD src0_sel:DWORD src1_sel:WORD_1
	v_add_u16_e32 v119, 0xe000, v119
	v_or_b32_sdwa v119, v121, v119 dst_sel:DWORD dst_unused:UNUSED_PAD src0_sel:DWORD src1_sel:BYTE_1
	v_add_u16_e32 v120, 0xe000, v120
	v_add_u16_sdwa v119, v119, s23 dst_sel:WORD_1 dst_unused:UNUSED_PAD src0_sel:DWORD src1_sel:DWORD
	v_or_b32_e32 v119, v120, v119
	ds_write2_b32 v10, v118, v119 offset1:16
	s_waitcnt vmcnt(3)
	v_lshrrev_b32_e32 v118, 4, v128
	v_and_b32_e32 v121, 0xf0f0f0f, v118
	v_add_co_u32_e32 v118, vcc, s14, v90
	v_addc_co_u32_e32 v119, vcc, v91, v107, vcc
	global_load_dword v123, v[118:119], off
	v_add_co_u32_e32 v118, vcc, s14, v88
	v_addc_co_u32_e32 v119, vcc, v89, v107, vcc
	global_load_dword v124, v[118:119], off
	s_waitcnt vmcnt(4)
	v_ashrrev_i32_e32 v122, v7, v129
	v_and_b32_e32 v120, 0xf0f0f0f, v128
	v_lshlrev_b32_e32 v118, 4, v122
	v_and_or_b32 v118, v118, s18, v120
	v_lshlrev_b16_e32 v120, 8, v118
	v_and_b32_e32 v119, 0x3f00, v118
	v_add_u16_e32 v120, 0xe000, v120
	v_or_b32_sdwa v119, v119, v120 dst_sel:DWORD dst_unused:UNUSED_PAD src0_sel:DWORD src1_sel:BYTE_1
	v_and_b32_sdwa v120, v118, s19 dst_sel:DWORD dst_unused:UNUSED_PAD src0_sel:WORD_1 src1_sel:DWORD
	v_lshlrev_b16_sdwa v118, v108, v118 dst_sel:DWORD dst_unused:UNUSED_PAD src0_sel:DWORD src1_sel:WORD_1
	v_add_u16_e32 v118, 0xe000, v118
	v_or_b32_sdwa v118, v120, v118 dst_sel:DWORD dst_unused:UNUSED_PAD src0_sel:DWORD src1_sel:BYTE_1
	v_add_u16_e32 v119, 0xe000, v119
	v_add_u16_sdwa v118, v118, s23 dst_sel:WORD_1 dst_unused:UNUSED_PAD src0_sel:DWORD src1_sel:DWORD
	v_or_b32_e32 v118, v119, v118
	v_and_or_b32 v119, v122, s18, v121
	v_lshlrev_b16_e32 v121, 8, v119
	v_and_b32_e32 v120, 0x3f00, v119
	v_add_u16_e32 v121, 0xe000, v121
	v_or_b32_sdwa v120, v120, v121 dst_sel:DWORD dst_unused:UNUSED_PAD src0_sel:DWORD src1_sel:BYTE_1
	v_and_b32_sdwa v121, v119, s19 dst_sel:DWORD dst_unused:UNUSED_PAD src0_sel:WORD_1 src1_sel:DWORD
	v_lshlrev_b16_sdwa v119, v108, v119 dst_sel:DWORD dst_unused:UNUSED_PAD src0_sel:DWORD src1_sel:WORD_1
	v_add_u16_e32 v119, 0xe000, v119
	v_or_b32_sdwa v119, v121, v119 dst_sel:DWORD dst_unused:UNUSED_PAD src0_sel:DWORD src1_sel:BYTE_1
	v_add_u16_e32 v120, 0xe000, v120
	v_add_u16_sdwa v119, v119, s23 dst_sel:WORD_1 dst_unused:UNUSED_PAD src0_sel:DWORD src1_sel:DWORD
	v_or_b32_e32 v119, v120, v119
	ds_write2_b32 v11, v118, v119 offset1:16
	s_waitcnt vmcnt(3)
	v_lshrrev_b32_e32 v119, 4, v125
	v_and_b32_e32 v118, 0xf0f0f0f, v125
	s_waitcnt vmcnt(2)
	v_ashrrev_i32_e32 v121, v7, v127
	v_and_b32_e32 v120, 0xf0f0f0f, v119
	v_lshlrev_b32_e32 v119, 4, v121
	v_and_or_b32 v122, v119, s18, v118
	v_lshlrev_b16_e32 v118, 8, v122
	v_add_u16_e32 v126, 0xe000, v118
	v_add_co_u32_e32 v118, vcc, s14, v1
	v_addc_co_u32_e32 v119, vcc, v94, v107, vcc
	global_load_dword v127, v[118:119], off
	v_add_co_u32_e32 v118, vcc, s14, v92
	v_addc_co_u32_e32 v119, vcc, v93, v107, vcc
	global_load_dword v128, v[118:119], off
	v_and_b32_e32 v125, 0x3f00, v122
	v_and_b32_sdwa v119, v122, s19 dst_sel:DWORD dst_unused:UNUSED_PAD src0_sel:WORD_1 src1_sel:DWORD
	v_lshlrev_b16_sdwa v122, v108, v122 dst_sel:DWORD dst_unused:UNUSED_PAD src0_sel:DWORD src1_sel:WORD_1
	v_add_u16_e32 v122, 0xe000, v122
	v_or_b32_sdwa v118, v125, v126 dst_sel:DWORD dst_unused:UNUSED_PAD src0_sel:DWORD src1_sel:BYTE_1
	v_or_b32_sdwa v119, v119, v122 dst_sel:DWORD dst_unused:UNUSED_PAD src0_sel:DWORD src1_sel:BYTE_1
	v_add_u16_e32 v118, 0xe000, v118
	v_add_u16_sdwa v119, v119, s23 dst_sel:WORD_1 dst_unused:UNUSED_PAD src0_sel:DWORD src1_sel:DWORD
	v_or_b32_e32 v122, v118, v119
	v_and_or_b32 v118, v121, s18, v120
	v_lshlrev_b16_e32 v120, 8, v118
	v_and_b32_e32 v119, 0x3f00, v118
	v_add_u16_e32 v120, 0xe000, v120
	v_or_b32_sdwa v119, v119, v120 dst_sel:DWORD dst_unused:UNUSED_PAD src0_sel:DWORD src1_sel:BYTE_1
	v_and_b32_sdwa v120, v118, s19 dst_sel:DWORD dst_unused:UNUSED_PAD src0_sel:WORD_1 src1_sel:DWORD
	v_lshlrev_b16_sdwa v118, v108, v118 dst_sel:DWORD dst_unused:UNUSED_PAD src0_sel:DWORD src1_sel:WORD_1
	v_add_u16_e32 v118, 0xe000, v118
	v_or_b32_sdwa v118, v120, v118 dst_sel:DWORD dst_unused:UNUSED_PAD src0_sel:DWORD src1_sel:BYTE_1
	v_add_u16_e32 v119, 0xe000, v119
	v_add_u16_sdwa v118, v118, s23 dst_sel:WORD_1 dst_unused:UNUSED_PAD src0_sel:DWORD src1_sel:DWORD
	v_or_b32_e32 v120, v119, v118
	v_add_co_u32_e32 v118, vcc, s14, v97
	v_addc_co_u32_e32 v119, vcc, v98, v107, vcc
	global_load_dword v121, v[118:119], off
	v_add_co_u32_e32 v118, vcc, s14, v95
	v_addc_co_u32_e32 v119, vcc, v96, v107, vcc
	global_load_dword v125, v[118:119], off
	ds_write2_b32 v12, v122, v120 offset1:16
	s_waitcnt vmcnt(5)
	v_lshrrev_b32_e32 v119, 4, v123
	s_waitcnt vmcnt(4)
	v_ashrrev_i32_e32 v122, v7, v124
	v_and_b32_e32 v118, 0xf0f0f0f, v123
	v_and_b32_e32 v120, 0xf0f0f0f, v119
	v_lshlrev_b32_e32 v119, 4, v122
	v_and_or_b32 v118, v119, s18, v118
	v_lshlrev_b16_e32 v123, 8, v118
	v_and_b32_e32 v119, 0x3f00, v118
	v_add_u16_e32 v123, 0xe000, v123
	v_or_b32_sdwa v119, v119, v123 dst_sel:DWORD dst_unused:UNUSED_PAD src0_sel:DWORD src1_sel:BYTE_1
	v_add_u16_e32 v123, 0xe000, v119
	v_and_b32_sdwa v119, v118, s19 dst_sel:DWORD dst_unused:UNUSED_PAD src0_sel:WORD_1 src1_sel:DWORD
	v_lshlrev_b16_sdwa v118, v108, v118 dst_sel:DWORD dst_unused:UNUSED_PAD src0_sel:DWORD src1_sel:WORD_1
	v_add_u16_e32 v118, 0xe000, v118
	v_or_b32_sdwa v118, v119, v118 dst_sel:DWORD dst_unused:UNUSED_PAD src0_sel:DWORD src1_sel:BYTE_1
	v_add_u16_sdwa v124, v118, s23 dst_sel:WORD_1 dst_unused:UNUSED_PAD src0_sel:DWORD src1_sel:DWORD
	v_add_co_u32_e32 v118, vcc, s14, v100
	v_addc_co_u32_e32 v119, vcc, v101, v107, vcc
	global_load_ushort v126, v[118:119], off
	v_add_co_u32_e32 v118, vcc, s14, v103
	v_addc_co_u32_e32 v119, vcc, v104, v107, vcc
	global_load_dword v129, v[118:119], off
	v_add_co_u32_e32 v118, vcc, s14, v105
	v_addc_co_u32_e32 v119, vcc, v106, v107, vcc
	global_load_dword v118, v[118:119], off
	v_and_or_b32 v120, v122, s18, v120
	v_or_b32_e32 v119, v123, v124
	v_lshlrev_b16_e32 v123, 8, v120
	v_and_b32_e32 v122, 0x3f00, v120
	v_add_u16_e32 v123, 0xe000, v123
	v_or_b32_sdwa v122, v122, v123 dst_sel:DWORD dst_unused:UNUSED_PAD src0_sel:DWORD src1_sel:BYTE_1
	v_and_b32_sdwa v123, v120, s19 dst_sel:DWORD dst_unused:UNUSED_PAD src0_sel:WORD_1 src1_sel:DWORD
	v_lshlrev_b16_sdwa v120, v108, v120 dst_sel:DWORD dst_unused:UNUSED_PAD src0_sel:DWORD src1_sel:WORD_1
	v_add_u16_e32 v120, 0xe000, v120
	v_or_b32_sdwa v120, v123, v120 dst_sel:DWORD dst_unused:UNUSED_PAD src0_sel:DWORD src1_sel:BYTE_1
	v_add_u16_e32 v122, 0xe000, v122
	v_add_u16_sdwa v120, v120, s23 dst_sel:WORD_1 dst_unused:UNUSED_PAD src0_sel:DWORD src1_sel:DWORD
	v_or_b32_e32 v120, v122, v120
	ds_write2_b32 v13, v119, v120 offset1:16
	s_waitcnt vmcnt(6)
	v_and_b32_e32 v119, 0xf0f0f0f, v127
	v_lshrrev_b32_e32 v120, 4, v127
	s_waitcnt vmcnt(5)
	v_ashrrev_i32_e32 v122, v7, v128
	v_lshlrev_b32_e32 v123, 4, v122
	v_and_or_b32 v119, v123, s18, v119
	v_lshlrev_b16_e32 v124, 8, v119
	v_and_b32_e32 v123, 0x3f00, v119
	v_add_u16_e32 v124, 0xe000, v124
	v_or_b32_sdwa v123, v123, v124 dst_sel:DWORD dst_unused:UNUSED_PAD src0_sel:DWORD src1_sel:BYTE_1
	v_and_b32_sdwa v124, v119, s19 dst_sel:DWORD dst_unused:UNUSED_PAD src0_sel:WORD_1 src1_sel:DWORD
	v_lshlrev_b16_sdwa v119, v108, v119 dst_sel:DWORD dst_unused:UNUSED_PAD src0_sel:DWORD src1_sel:WORD_1
	v_add_u16_e32 v119, 0xe000, v119
	v_and_b32_e32 v120, 0xf0f0f0f, v120
	v_or_b32_sdwa v119, v124, v119 dst_sel:DWORD dst_unused:UNUSED_PAD src0_sel:DWORD src1_sel:BYTE_1
	v_add_u16_e32 v123, 0xe000, v123
	v_add_u16_sdwa v119, v119, s23 dst_sel:WORD_1 dst_unused:UNUSED_PAD src0_sel:DWORD src1_sel:DWORD
	v_and_or_b32 v120, v122, s18, v120
	v_or_b32_e32 v119, v123, v119
	v_lshlrev_b16_e32 v123, 8, v120
	v_and_b32_e32 v122, 0x3f00, v120
	v_add_u16_e32 v123, 0xe000, v123
	v_or_b32_sdwa v122, v122, v123 dst_sel:DWORD dst_unused:UNUSED_PAD src0_sel:DWORD src1_sel:BYTE_1
	v_and_b32_sdwa v123, v120, s19 dst_sel:DWORD dst_unused:UNUSED_PAD src0_sel:WORD_1 src1_sel:DWORD
	v_lshlrev_b16_sdwa v120, v108, v120 dst_sel:DWORD dst_unused:UNUSED_PAD src0_sel:DWORD src1_sel:WORD_1
	v_add_u16_e32 v120, 0xe000, v120
	v_or_b32_sdwa v120, v123, v120 dst_sel:DWORD dst_unused:UNUSED_PAD src0_sel:DWORD src1_sel:BYTE_1
	v_add_u16_e32 v122, 0xe000, v122
	v_add_u16_sdwa v120, v120, s23 dst_sel:WORD_1 dst_unused:UNUSED_PAD src0_sel:DWORD src1_sel:DWORD
	v_or_b32_e32 v120, v122, v120
	ds_write2_b32 v14, v119, v120 offset1:16
	s_waitcnt vmcnt(4)
	v_and_b32_e32 v119, 0xf0f0f0f, v121
	v_lshrrev_b32_e32 v120, 4, v121
	v_and_b32_e32 v120, 0xf0f0f0f, v120
	s_waitcnt vmcnt(3)
	v_ashrrev_i32_e32 v121, v7, v125
	v_lshlrev_b32_e32 v122, 4, v121
	v_and_or_b32 v119, v122, s18, v119
	v_lshlrev_b16_e32 v123, 8, v119
	v_and_b32_e32 v122, 0x3f00, v119
	v_add_u16_e32 v123, 0xe000, v123
	v_or_b32_sdwa v122, v122, v123 dst_sel:DWORD dst_unused:UNUSED_PAD src0_sel:DWORD src1_sel:BYTE_1
	v_and_b32_sdwa v123, v119, s19 dst_sel:DWORD dst_unused:UNUSED_PAD src0_sel:WORD_1 src1_sel:DWORD
	v_lshlrev_b16_sdwa v119, v108, v119 dst_sel:DWORD dst_unused:UNUSED_PAD src0_sel:DWORD src1_sel:WORD_1
	v_add_u16_e32 v119, 0xe000, v119
	v_or_b32_sdwa v119, v123, v119 dst_sel:DWORD dst_unused:UNUSED_PAD src0_sel:DWORD src1_sel:BYTE_1
	v_add_u16_e32 v122, 0xe000, v122
	v_add_u16_sdwa v119, v119, s23 dst_sel:WORD_1 dst_unused:UNUSED_PAD src0_sel:DWORD src1_sel:DWORD
	v_and_or_b32 v120, v121, s18, v120
	v_or_b32_e32 v119, v122, v119
	v_lshlrev_b16_e32 v122, 8, v120
	v_and_b32_e32 v121, 0x3f00, v120
	v_add_u16_e32 v122, 0xe000, v122
	v_or_b32_sdwa v121, v121, v122 dst_sel:DWORD dst_unused:UNUSED_PAD src0_sel:DWORD src1_sel:BYTE_1
	v_and_b32_sdwa v122, v120, s19 dst_sel:DWORD dst_unused:UNUSED_PAD src0_sel:WORD_1 src1_sel:DWORD
	v_lshlrev_b16_sdwa v120, v108, v120 dst_sel:DWORD dst_unused:UNUSED_PAD src0_sel:DWORD src1_sel:WORD_1
	v_add_u16_e32 v120, 0xe000, v120
	v_or_b32_sdwa v120, v122, v120 dst_sel:DWORD dst_unused:UNUSED_PAD src0_sel:DWORD src1_sel:BYTE_1
	s_waitcnt vmcnt(2)
	v_cvt_f32_f16_e32 v122, v126
	v_add_u16_e32 v121, 0xe000, v121
	v_add_u16_sdwa v120, v120, s23 dst_sel:WORD_1 dst_unused:UNUSED_PAD src0_sel:DWORD src1_sel:DWORD
	v_or_b32_e32 v120, v121, v120
	ds_write2_b32 v15, v119, v120 offset1:16
	ds_write_b32 v16, v122
	s_waitcnt vmcnt(1)
	ds_write_b32 v17, v129
	s_waitcnt vmcnt(0)
	ds_write_b32 v18, v118
	s_cbranch_scc0 .LBB215_5
; %bb.7:                                ;   in Loop: Header=BB215_6 Depth=1
	v_cmp_gt_i32_e32 vcc, s9, v23
	s_and_b64 s[24:25], s[2:3], vcc
	s_and_saveexec_b64 s[4:5], s[24:25]
	s_cbranch_execz .LBB215_9
; %bb.8:                                ;   in Loop: Header=BB215_6 Depth=1
	v_add_u32_e32 v118, v34, v23
	v_mad_i64_i32 v[118:119], s[24:25], v118, 36, v[2:3]
	global_load_dword v118, v[118:119], off offset:4
	s_waitcnt vmcnt(0)
	ds_write_b32 v21, v118
.LBB215_9:                              ;   in Loop: Header=BB215_6 Depth=1
	s_or_b64 exec, exec, s[4:5]
	v_cmp_gt_i32_e32 vcc, s9, v117
	s_and_b64 s[24:25], s[16:17], vcc
	s_and_saveexec_b64 s[4:5], s[24:25]
	s_cbranch_execz .LBB215_11
; %bb.10:                               ;   in Loop: Header=BB215_6 Depth=1
	v_add_u32_e32 v118, v34, v117
	v_mad_i64_i32 v[118:119], s[24:25], v118, 36, s[6:7]
	global_load_dword v118, v[118:119], off
	v_add_u32_e32 v119, v19, v22
	s_waitcnt vmcnt(0)
	v_cvt_f32_f16_e32 v118, v118
	ds_write_b32 v119, v118
.LBB215_11:                             ;   in Loop: Header=BB215_6 Depth=1
	s_or_b64 exec, exec, s[4:5]
	s_waitcnt lgkmcnt(0)
	s_barrier
	ds_read_b128 v[120:123], v20
	ds_read_b128 v[124:127], v20 offset:16
	ds_read_b128 v[128:131], v20 offset:32
	;; [unrolled: 1-line block ×3, first 2 shown]
	ds_read_b32 v119, v26
	ds_read2_b32 v[136:137], v25 offset0:12 offset1:13
	ds_read2_b32 v[138:139], v25 offset0:6 offset1:7
	;; [unrolled: 1-line block ×4, first 2 shown]
	ds_read2_b32 v[144:145], v25 offset1:1
	ds_read2_b32 v[146:147], v25 offset0:14 offset1:15
	ds_read2_b32 v[148:149], v25 offset0:10 offset1:11
	ds_read2_b32 v[150:151], v25 offset0:8 offset1:9
	s_waitcnt lgkmcnt(7)
	v_dot4_i32_i8 v118, v136, v132, 0
	v_dot4_i32_i8 v118, v137, v133, v118
	s_waitcnt lgkmcnt(2)
	v_dot4_i32_i8 v118, v146, v134, v118
	v_dot4_i32_i8 v160, v147, v135, v118
	s_waitcnt lgkmcnt(0)
	v_dot4_i32_i8 v118, v150, v128, 0
	v_dot4_i32_i8 v118, v151, v129, v118
	v_dot4_i32_i8 v118, v148, v130, v118
	v_dot4_i32_i8 v161, v149, v131, v118
	;; [unrolled: 1-line block ×10, first 2 shown]
	v_add_u32_e32 v118, 0x2098, v25
	ds_read2_b32 v[136:137], v118 offset1:1
	v_add_u32_e32 v118, 0x2090, v25
	v_add_u32_e32 v140, 0x2088, v25
	;; [unrolled: 1-line block ×4, first 2 shown]
	ds_read2_b32 v[138:139], v118 offset1:1
	ds_read2_b32 v[140:141], v140 offset1:1
	;; [unrolled: 1-line block ×4, first 2 shown]
	v_add_u32_e32 v118, 0x20b0, v25
	ds_read2_b32 v[146:147], v118 offset1:1
	v_add_u32_e32 v118, 0x20a8, v25
	v_add_u32_e32 v150, 0x20a0, v25
	;; [unrolled: 1-line block ×3, first 2 shown]
	ds_read2_b32 v[148:149], v118 offset1:1
	ds_read2_b32 v[150:151], v150 offset1:1
	;; [unrolled: 1-line block ×3, first 2 shown]
	s_waitcnt lgkmcnt(3)
	v_dot4_i32_i8 v118, v146, v132, 0
	v_dot4_i32_i8 v118, v147, v133, v118
	;; [unrolled: 1-line block ×4, first 2 shown]
	s_waitcnt lgkmcnt(1)
	v_dot4_i32_i8 v118, v150, v128, 0
	v_dot4_i32_i8 v118, v151, v129, v118
	v_dot4_i32_i8 v118, v148, v130, v118
	v_dot4_i32_i8 v165, v149, v131, v118
	v_dot4_i32_i8 v118, v138, v124, 0
	v_dot4_i32_i8 v138, v139, v125, v118
	v_dot4_i32_i8 v136, v136, v126, v138
	v_dot4_i32_i8 v166, v137, v127, v136
	v_dot4_i32_i8 v136, v142, v120, 0
	v_dot4_i32_i8 v136, v143, v121, v136
	v_dot4_i32_i8 v136, v140, v122, v136
	v_dot4_i32_i8 v167, v141, v123, v136
	v_add_u32_e32 v136, 0x4110, v25
	v_add_u32_e32 v138, 0x4108, v25
	;; [unrolled: 1-line block ×5, first 2 shown]
	ds_read_b32 v118, v33 offset:384
	ds_read2_b32 v[136:137], v136 offset1:1
	ds_read2_b32 v[138:139], v138 offset1:1
	;; [unrolled: 1-line block ×5, first 2 shown]
	v_add_u32_e32 v146, 0x4128, v25
	v_add_u32_e32 v148, 0x4120, v25
	;; [unrolled: 1-line block ×3, first 2 shown]
	ds_read2_b32 v[146:147], v146 offset1:1
	ds_read2_b32 v[148:149], v148 offset1:1
	;; [unrolled: 1-line block ×3, first 2 shown]
	s_waitcnt lgkmcnt(3)
	v_dot4_i32_i8 v144, v144, v132, 0
	v_dot4_i32_i8 v136, v136, v124, 0
	;; [unrolled: 1-line block ×7, first 2 shown]
	s_waitcnt lgkmcnt(1)
	v_dot4_i32_i8 v142, v148, v128, 0
	v_dot4_i32_i8 v170, v153, v127, v136
	;; [unrolled: 1-line block ×9, first 2 shown]
	v_add_u32_e32 v136, 0x6190, v25
	v_add_u32_e32 v138, 0x6188, v25
	;; [unrolled: 1-line block ×5, first 2 shown]
	ds_read2_b32 v[136:137], v136 offset1:1
	ds_read2_b32 v[138:139], v138 offset1:1
	;; [unrolled: 1-line block ×5, first 2 shown]
	v_add_u32_e32 v146, 0x61a8, v25
	v_add_u32_e32 v148, 0x61a0, v25
	;; [unrolled: 1-line block ×3, first 2 shown]
	ds_read2_b32 v[146:147], v146 offset1:1
	ds_read2_b32 v[148:149], v148 offset1:1
	;; [unrolled: 1-line block ×3, first 2 shown]
	s_waitcnt lgkmcnt(3)
	v_dot4_i32_i8 v132, v144, v132, 0
	v_dot4_i32_i8 v124, v136, v124, 0
	;; [unrolled: 1-line block ×3, first 2 shown]
	s_waitcnt lgkmcnt(1)
	v_dot4_i32_i8 v128, v148, v128, 0
	v_dot4_i32_i8 v132, v145, v133, v132
	;; [unrolled: 1-line block ×13, first 2 shown]
	ds_read_b128 v[120:123], v20 offset:80
	ds_read_b128 v[124:127], v20 offset:64
	;; [unrolled: 1-line block ×4, first 2 shown]
	ds_read2_b32 v[136:137], v25 offset0:30 offset1:31
	ds_read2_b32 v[138:139], v25 offset0:28 offset1:29
	;; [unrolled: 1-line block ×7, first 2 shown]
	s_waitcnt lgkmcnt(5)
	v_dot4_i32_i8 v138, v138, v128, 0
	v_dot4_i32_i8 v138, v139, v129, v138
	;; [unrolled: 1-line block ×4, first 2 shown]
	s_waitcnt lgkmcnt(3)
	v_dot4_i32_i8 v136, v142, v120, 0
	v_dot4_i32_i8 v136, v143, v121, v136
	v_dot4_i32_i8 v136, v140, v122, v136
	v_dot4_i32_i8 v177, v141, v123, v136
	s_waitcnt lgkmcnt(1)
	v_dot4_i32_i8 v136, v146, v124, 0
	v_dot4_i32_i8 v136, v147, v125, v136
	;; [unrolled: 1-line block ×3, first 2 shown]
	v_add_u32_e32 v140, 0x61d0, v25
	v_add_u32_e32 v142, 0x61c8, v25
	;; [unrolled: 1-line block ×5, first 2 shown]
	v_dot4_i32_i8 v178, v145, v127, v136
	ds_read_b128 v[136:139], v22 offset:36944
	ds_read2_b32 v[140:141], v140 offset1:1
	ds_read2_b32 v[142:143], v142 offset1:1
	;; [unrolled: 1-line block ×5, first 2 shown]
	v_add_u32_e32 v154, 0x61e8, v25
	v_add_u32_e32 v156, 0x61e0, v25
	;; [unrolled: 1-line block ×3, first 2 shown]
	ds_read2_b32 v[154:155], v154 offset1:1
	ds_read2_b32 v[156:157], v156 offset1:1
	;; [unrolled: 1-line block ×3, first 2 shown]
	s_waitcnt lgkmcnt(3)
	v_dot4_i32_i8 v150, v150, v128, 0
	v_dot4_i32_i8 v150, v151, v129, v150
	;; [unrolled: 1-line block ×4, first 2 shown]
	s_waitcnt lgkmcnt(1)
	v_dot4_i32_i8 v146, v156, v132, 0
	v_dot4_i32_i8 v151, v157, v133, v146
	ds_read_b32 v179, v31 offset:256
	ds_read2_b32 v[146:147], v32 offset1:1
	v_dot4_i32_i8 v140, v140, v120, 0
	v_dot4_i32_i8 v140, v141, v121, v140
	;; [unrolled: 1-line block ×4, first 2 shown]
	s_waitcnt lgkmcnt(0)
	v_bfe_i32 v141, v146, 8, 8
	v_bfe_i32 v152, v147, 8, 8
	v_mul_lo_u32 v140, v140, v152
	v_mul_lo_u32 v141, v174, v141
	v_dot4_i32_i8 v144, v144, v124, 0
	v_dot4_i32_i8 v144, v145, v125, v144
	v_dot4_i32_i8 v142, v142, v126, v144
	v_dot4_i32_i8 v142, v143, v127, v142
	v_bfe_i32 v143, v147, 0, 8
	v_mad_u64_u32 v[142:143], s[4:5], v142, v143, v[140:141]
	v_bfe_i32 v144, v146, 0, 8
	v_add_u32_e32 v156, 0x20e0, v25
	v_mad_u64_u32 v[140:141], s[4:5], v175, v144, v[141:142]
	v_dot4_i32_i8 v141, v154, v134, v151
	v_dot4_i32_i8 v143, v155, v135, v141
	v_cvt_f32_i32_e32 v151, v140
	v_ashrrev_i32_e32 v140, 24, v147
	v_ashrrev_i32_e32 v141, 24, v146
	v_mul_lo_u32 v140, v150, v140
	v_mul_lo_u32 v141, v172, v141
	v_cvt_f32_i32_e32 v145, v142
	v_bfe_i32 v142, v147, 16, 8
	v_bfe_i32 v144, v146, 16, 8
	v_mad_u64_u32 v[142:143], s[4:5], v143, v142, v[140:141]
	v_fma_f32 v146, v136, v151, 0
	v_fma_f32 v172, v138, v145, 0
	v_mad_u64_u32 v[140:141], s[4:5], v173, v144, v[141:142]
	ds_read2_b32 v[143:144], v24 offset1:1
	v_cvt_f32_i32_e32 v142, v142
	v_cvt_f32_i32_e32 v147, v140
	ds_read2_b32 v[140:141], v25 offset0:24 offset1:25
	v_add_u32_e32 v150, 0x20f8, v25
	v_fmac_f32_e32 v172, v139, v142
	v_fmac_f32_e32 v146, v137, v147
	s_waitcnt lgkmcnt(1)
	v_bfe_i32 v142, v143, 0, 8
	s_waitcnt lgkmcnt(0)
	v_dot4_i32_i8 v140, v140, v132, 0
	v_dot4_i32_i8 v140, v141, v133, v140
	v_bfe_i32 v141, v143, 8, 8
	v_mul_lo_u32 v141, v162, v141
	v_dot4_i32_i8 v140, v148, v134, v140
	v_dot4_i32_i8 v147, v149, v135, v140
	v_bfe_i32 v140, v144, 8, 8
	v_mul_lo_u32 v140, v177, v140
	v_mad_u64_u32 v[141:142], s[4:5], v163, v142, v[141:142]
	v_bfe_i32 v145, v144, 0, 8
	v_fmac_f32_e32 v4, v118, v146
	v_mad_u64_u32 v[145:146], s[4:5], v178, v145, v[140:141]
	v_ashrrev_i32_e32 v140, 24, v144
	v_mul_lo_u32 v140, v176, v140
	v_bfe_i32 v148, v144, 16, 8
	v_ashrrev_i32_e32 v142, 24, v143
	v_bfe_i32 v146, v143, 16, 8
	v_mul_lo_u32 v142, v160, v142
	v_mad_u64_u32 v[143:144], s[4:5], v147, v148, v[140:141]
	v_cvt_f32_i32_e32 v140, v141
	v_cvt_f32_i32_e32 v141, v145
	v_mad_u64_u32 v[146:147], s[4:5], v161, v146, v[142:143]
	v_cvt_f32_i32_e32 v142, v143
	v_fma_f32 v144, v136, v140, 0
	v_cvt_f32_i32_e32 v143, v146
	v_fma_f32 v145, v138, v141, 0
	v_fmac_f32_e32 v145, v139, v142
	v_add_u32_e32 v146, 0x20c8, v25
	v_fmac_f32_e32 v144, v137, v143
	v_fmac_f32_e32 v6, v119, v144
	v_fmac_f32_e32 v6, v119, v145
	v_add_u32_e32 v119, 0x20d0, v25
	v_add_u32_e32 v148, 0x20c0, v25
	ds_read_b32 v162, v29 offset:128
	ds_read2_b32 v[140:141], v30 offset1:1
	ds_read2_b32 v[142:143], v28 offset1:1
	;; [unrolled: 1-line block ×6, first 2 shown]
	v_add_u32_e32 v119, 0x20f0, v25
	ds_read2_b32 v[152:153], v119 offset1:1
	v_add_u32_e32 v119, 0x20e8, v25
	v_add_u32_e32 v160, 0x4158, v25
	ds_read2_b32 v[154:155], v119 offset1:1
	ds_read2_b32 v[156:157], v156 offset1:1
	;; [unrolled: 1-line block ×3, first 2 shown]
	v_fmac_f32_e32 v4, v118, v172
	s_waitcnt lgkmcnt(3)
	v_dot4_i32_i8 v119, v152, v128, 0
	v_dot4_i32_i8 v119, v153, v129, v119
	;; [unrolled: 1-line block ×4, first 2 shown]
	s_waitcnt lgkmcnt(1)
	v_dot4_i32_i8 v119, v156, v132, 0
	v_dot4_i32_i8 v119, v157, v133, v119
	;; [unrolled: 1-line block ×11, first 2 shown]
	v_bfe_i32 v144, v142, 8, 8
	v_dot4_i32_i8 v119, v159, v123, v119
	v_bfe_i32 v145, v143, 8, 8
	v_mul_lo_u32 v144, v166, v144
	v_mul_lo_u32 v119, v119, v145
	v_bfe_i32 v145, v142, 0, 8
	v_bfe_i32 v147, v143, 0, 8
	v_mad_u64_u32 v[144:145], s[4:5], v167, v145, v[144:145]
	v_bfe_i32 v148, v142, 16, 8
	v_ashrrev_i32_e32 v142, 24, v142
	v_mad_u64_u32 v[145:146], s[4:5], v146, v147, v[119:120]
	v_ashrrev_i32_e32 v119, 24, v143
	v_mul_lo_u32 v142, v164, v142
	v_mul_lo_u32 v119, v150, v119
	v_bfe_i32 v146, v143, 16, 8
	v_add_u32_e32 v154, 0x4160, v25
	v_mad_u64_u32 v[142:143], s[4:5], v165, v148, v[142:143]
	v_mad_u64_u32 v[146:147], s[4:5], v151, v146, v[119:120]
	v_cvt_f32_i32_e32 v119, v144
	v_cvt_f32_i32_e32 v143, v145
	;; [unrolled: 1-line block ×4, first 2 shown]
	v_fma_f32 v119, v136, v119, 0
	v_fma_f32 v143, v138, v143, 0
	v_fmac_f32_e32 v119, v137, v142
	v_fmac_f32_e32 v143, v139, v144
	;; [unrolled: 1-line block ×3, first 2 shown]
	v_add_u32_e32 v119, 0x4150, v25
	v_add_u32_e32 v144, 0x4148, v25
	;; [unrolled: 1-line block ×4, first 2 shown]
	v_fmac_f32_e32 v102, v162, v143
	ds_read2_b32 v[142:143], v119 offset1:1
	ds_read2_b32 v[144:145], v144 offset1:1
	;; [unrolled: 1-line block ×4, first 2 shown]
	v_add_u32_e32 v119, 0x4170, v25
	ds_read2_b32 v[150:151], v119 offset1:1
	v_add_u32_e32 v119, 0x4168, v25
	ds_read2_b32 v[152:153], v119 offset1:1
	ds_read2_b32 v[154:155], v154 offset1:1
	s_cmp_ge_i32 s22, s15
	s_waitcnt lgkmcnt(0)
	v_dot4_i32_i8 v119, v150, v128, 0
	v_dot4_i32_i8 v119, v151, v129, v119
	;; [unrolled: 1-line block ×15, first 2 shown]
	v_bfe_i32 v120, v140, 8, 8
	v_mul_lo_u32 v120, v170, v120
	v_dot4_i32_i8 v119, v161, v123, v119
	v_bfe_i32 v121, v141, 8, 8
	v_mul_lo_u32 v119, v119, v121
	v_bfe_i32 v121, v140, 0, 8
	v_mad_u64_u32 v[120:121], s[4:5], v171, v121, v[120:121]
	v_bfe_i32 v123, v141, 0, 8
	v_bfe_i32 v125, v140, 16, 8
	v_mad_u64_u32 v[121:122], s[4:5], v122, v123, v[119:120]
	v_ashrrev_i32_e32 v119, 24, v141
	v_mul_lo_u32 v119, v128, v119
	v_bfe_i32 v123, v141, 16, 8
	v_ashrrev_i32_e32 v122, 24, v140
	v_mul_lo_u32 v122, v168, v122
	v_mad_u64_u32 v[123:124], s[4:5], v129, v123, v[119:120]
	v_cvt_f32_i32_e32 v119, v120
	v_cvt_f32_i32_e32 v120, v121
	v_mad_u64_u32 v[124:125], s[4:5], v169, v125, v[122:123]
	v_cvt_f32_i32_e32 v121, v123
	v_fma_f32 v119, v136, v119, 0
	v_cvt_f32_i32_e32 v122, v124
	v_fma_f32 v120, v138, v120, 0
	v_fmac_f32_e32 v120, v139, v121
	s_barrier
	v_fmac_f32_e32 v119, v137, v122
	v_fmac_f32_e32 v99, v179, v119
	;; [unrolled: 1-line block ×3, first 2 shown]
	s_cbranch_scc1 .LBB215_5
; %bb.12:                               ;   in Loop: Header=BB215_6 Depth=1
	v_cmp_gt_i32_e32 vcc, s9, v27
	s_and_b64 s[24:25], s[2:3], vcc
	s_and_saveexec_b64 s[4:5], s[24:25]
	s_cbranch_execz .LBB215_14
; %bb.13:                               ;   in Loop: Header=BB215_6 Depth=1
	v_add_u32_e32 v118, v34, v27
	v_mad_i64_i32 v[118:119], s[24:25], v118, 36, v[2:3]
	global_load_dword v118, v[118:119], off offset:4
	s_waitcnt vmcnt(0)
	ds_write_b32 v21, v118
.LBB215_14:                             ;   in Loop: Header=BB215_6 Depth=1
	s_or_b64 exec, exec, s[4:5]
	s_and_saveexec_b64 s[4:5], s[0:1]
	s_cbranch_execz .LBB215_4
; %bb.15:                               ;   in Loop: Header=BB215_6 Depth=1
	v_add_u32_e32 v118, 4, v117
	v_cmp_gt_i32_e32 vcc, s9, v118
	s_and_b64 s[24:25], s[2:3], vcc
	s_and_b64 exec, exec, s[24:25]
	s_cbranch_execz .LBB215_4
; %bb.16:                               ;   in Loop: Header=BB215_6 Depth=1
	v_ashrrev_i32_e32 v118, 31, v117
	v_add_co_u32_e32 v119, vcc, v34, v117
	v_addc_co_u32_e32 v120, vcc, v35, v118, vcc
	v_mad_u64_u32 v[118:119], s[24:25], v119, 36, s[6:7]
	v_mad_i32_i24 v119, v120, 36, v119
	global_load_dword v118, v[118:119], off offset:144
	v_add_u32_e32 v119, v19, v22
	s_waitcnt vmcnt(0)
	v_cvt_f32_f16_e32 v118, v118
	ds_write_b32 v119, v118
	s_branch .LBB215_4
.LBB215_17:
	s_mul_i32 s0, s11, s8
	s_waitcnt vmcnt(0)
	v_cmp_gt_i32_e32 vcc, s0, v5
	s_and_saveexec_b64 s[0:1], vcc
	s_cbranch_execz .LBB215_26
; %bb.18:
	v_mul_lo_u32 v1, v5, s10
	v_add_u32_e32 v0, s20, v0
	v_cmp_gt_u32_e32 vcc, s10, v0
	s_and_saveexec_b64 s[0:1], vcc
	s_cbranch_execz .LBB215_20
; %bb.19:
	v_add_u32_e32 v2, v1, v0
	v_mov_b32_e32 v3, 0
	v_lshlrev_b64 v[2:3], 1, v[2:3]
	v_cvt_f16_f32_e32 v6, v6
	v_mov_b32_e32 v5, s13
	v_add_co_u32_e32 v2, vcc, s12, v2
	v_addc_co_u32_e32 v3, vcc, v5, v3, vcc
	global_store_short v[2:3], v6, off
.LBB215_20:
	s_or_b64 exec, exec, s[0:1]
	v_add_u32_e32 v2, 32, v0
	v_cmp_gt_u32_e32 vcc, s10, v2
	s_and_saveexec_b64 s[0:1], vcc
	s_cbranch_execz .LBB215_22
; %bb.21:
	v_add_u32_e32 v2, v1, v2
	v_mov_b32_e32 v3, 0
	v_lshlrev_b64 v[2:3], 1, v[2:3]
	v_cvt_f16_f32_e32 v6, v102
	v_mov_b32_e32 v5, s13
	v_add_co_u32_e32 v2, vcc, s12, v2
	v_addc_co_u32_e32 v3, vcc, v5, v3, vcc
	global_store_short v[2:3], v6, off
.LBB215_22:
	s_or_b64 exec, exec, s[0:1]
	;; [unrolled: 15-line block ×3, first 2 shown]
	v_add_u32_e32 v0, 0x60, v0
	v_cmp_gt_u32_e32 vcc, s10, v0
	s_and_b64 exec, exec, vcc
	s_cbranch_execz .LBB215_26
; %bb.25:
	v_add_u32_e32 v0, v1, v0
	v_mov_b32_e32 v1, 0
	v_lshlrev_b64 v[0:1], 1, v[0:1]
	v_cvt_f16_f32_e32 v3, v4
	v_mov_b32_e32 v2, s13
	v_add_co_u32_e32 v0, vcc, s12, v0
	v_addc_co_u32_e32 v1, vcc, v2, v1, vcc
	global_store_short v[0:1], v3, off
.LBB215_26:
	s_endpgm
	.section	.rodata,"a",@progbits
	.p2align	6, 0x0
	.amdhsa_kernel _ZL8moe_q6_KIN3c104HalfELb0EEvPKvS3_PT_PKiS7_S7_iiiiiii
		.amdhsa_group_segment_fixed_size 37072
		.amdhsa_private_segment_fixed_size 0
		.amdhsa_kernarg_size 76
		.amdhsa_user_sgpr_count 6
		.amdhsa_user_sgpr_private_segment_buffer 1
		.amdhsa_user_sgpr_dispatch_ptr 0
		.amdhsa_user_sgpr_queue_ptr 0
		.amdhsa_user_sgpr_kernarg_segment_ptr 1
		.amdhsa_user_sgpr_dispatch_id 0
		.amdhsa_user_sgpr_flat_scratch_init 0
		.amdhsa_user_sgpr_private_segment_size 0
		.amdhsa_uses_dynamic_stack 0
		.amdhsa_system_sgpr_private_segment_wavefront_offset 0
		.amdhsa_system_sgpr_workgroup_id_x 1
		.amdhsa_system_sgpr_workgroup_id_y 1
		.amdhsa_system_sgpr_workgroup_id_z 0
		.amdhsa_system_sgpr_workgroup_info 0
		.amdhsa_system_vgpr_workitem_id 1
		.amdhsa_next_free_vgpr 180
		.amdhsa_next_free_sgpr 98
		.amdhsa_reserve_vcc 1
		.amdhsa_reserve_flat_scratch 0
		.amdhsa_float_round_mode_32 0
		.amdhsa_float_round_mode_16_64 0
		.amdhsa_float_denorm_mode_32 3
		.amdhsa_float_denorm_mode_16_64 3
		.amdhsa_dx10_clamp 1
		.amdhsa_ieee_mode 1
		.amdhsa_fp16_overflow 0
		.amdhsa_exception_fp_ieee_invalid_op 0
		.amdhsa_exception_fp_denorm_src 0
		.amdhsa_exception_fp_ieee_div_zero 0
		.amdhsa_exception_fp_ieee_overflow 0
		.amdhsa_exception_fp_ieee_underflow 0
		.amdhsa_exception_fp_ieee_inexact 0
		.amdhsa_exception_int_div_zero 0
	.end_amdhsa_kernel
	.section	.text._ZL8moe_q6_KIN3c104HalfELb0EEvPKvS3_PT_PKiS7_S7_iiiiiii,"axG",@progbits,_ZL8moe_q6_KIN3c104HalfELb0EEvPKvS3_PT_PKiS7_S7_iiiiiii,comdat
.Lfunc_end215:
	.size	_ZL8moe_q6_KIN3c104HalfELb0EEvPKvS3_PT_PKiS7_S7_iiiiiii, .Lfunc_end215-_ZL8moe_q6_KIN3c104HalfELb0EEvPKvS3_PT_PKiS7_S7_iiiiiii
                                        ; -- End function
	.set _ZL8moe_q6_KIN3c104HalfELb0EEvPKvS3_PT_PKiS7_S7_iiiiiii.num_vgpr, 180
	.set _ZL8moe_q6_KIN3c104HalfELb0EEvPKvS3_PT_PKiS7_S7_iiiiiii.num_agpr, 0
	.set _ZL8moe_q6_KIN3c104HalfELb0EEvPKvS3_PT_PKiS7_S7_iiiiiii.numbered_sgpr, 28
	.set _ZL8moe_q6_KIN3c104HalfELb0EEvPKvS3_PT_PKiS7_S7_iiiiiii.num_named_barrier, 0
	.set _ZL8moe_q6_KIN3c104HalfELb0EEvPKvS3_PT_PKiS7_S7_iiiiiii.private_seg_size, 0
	.set _ZL8moe_q6_KIN3c104HalfELb0EEvPKvS3_PT_PKiS7_S7_iiiiiii.uses_vcc, 1
	.set _ZL8moe_q6_KIN3c104HalfELb0EEvPKvS3_PT_PKiS7_S7_iiiiiii.uses_flat_scratch, 0
	.set _ZL8moe_q6_KIN3c104HalfELb0EEvPKvS3_PT_PKiS7_S7_iiiiiii.has_dyn_sized_stack, 0
	.set _ZL8moe_q6_KIN3c104HalfELb0EEvPKvS3_PT_PKiS7_S7_iiiiiii.has_recursion, 0
	.set _ZL8moe_q6_KIN3c104HalfELb0EEvPKvS3_PT_PKiS7_S7_iiiiiii.has_indirect_call, 0
	.section	.AMDGPU.csdata,"",@progbits
; Kernel info:
; codeLenInByte = 12900
; TotalNumSgprs: 32
; NumVgprs: 180
; ScratchSize: 0
; MemoryBound: 0
; FloatMode: 240
; IeeeMode: 1
; LDSByteSize: 37072 bytes/workgroup (compile time only)
; SGPRBlocks: 12
; VGPRBlocks: 44
; NumSGPRsForWavesPerEU: 102
; NumVGPRsForWavesPerEU: 180
; Occupancy: 1
; WaveLimiterHint : 1
; COMPUTE_PGM_RSRC2:SCRATCH_EN: 0
; COMPUTE_PGM_RSRC2:USER_SGPR: 6
; COMPUTE_PGM_RSRC2:TRAP_HANDLER: 0
; COMPUTE_PGM_RSRC2:TGID_X_EN: 1
; COMPUTE_PGM_RSRC2:TGID_Y_EN: 1
; COMPUTE_PGM_RSRC2:TGID_Z_EN: 0
; COMPUTE_PGM_RSRC2:TIDIG_COMP_CNT: 1
	.section	.text._ZL8moe_q6_KIN3c104HalfELb1EEvPKvS3_PT_PKiS7_S7_iiiiiii,"axG",@progbits,_ZL8moe_q6_KIN3c104HalfELb1EEvPKvS3_PT_PKiS7_S7_iiiiiii,comdat
	.globl	_ZL8moe_q6_KIN3c104HalfELb1EEvPKvS3_PT_PKiS7_S7_iiiiiii ; -- Begin function _ZL8moe_q6_KIN3c104HalfELb1EEvPKvS3_PT_PKiS7_S7_iiiiiii
	.p2align	8
	.type	_ZL8moe_q6_KIN3c104HalfELb1EEvPKvS3_PT_PKiS7_S7_iiiiiii,@function
_ZL8moe_q6_KIN3c104HalfELb1EEvPKvS3_PT_PKiS7_S7_iiiiiii: ; @_ZL8moe_q6_KIN3c104HalfELb1EEvPKvS3_PT_PKiS7_S7_iiiiiii
; %bb.0:
	s_load_dwordx4 s[0:3], s[4:5], 0x18
	s_mov_b32 s8, s7
	s_mov_b32 s9, 0
	s_lshl_b64 s[10:11], s[8:9], 2
	s_waitcnt lgkmcnt(0)
	s_add_u32 s2, s2, s10
	s_addc_u32 s3, s3, s11
	s_load_dword s2, s[2:3], 0x0
	s_waitcnt lgkmcnt(0)
	s_cmpk_gt_u32 s2, 0xff
	s_cbranch_scc1 .LBB216_26
; %bb.1:
	s_load_dwordx2 s[10:11], s[4:5], 0x28
	s_lshl_b32 s3, s8, 3
	s_waitcnt lgkmcnt(0)
	s_load_dword s7, s[10:11], 0x0
	s_waitcnt lgkmcnt(0)
	s_cmp_gt_u32 s3, s7
	s_cbranch_scc1 .LBB216_26
; %bb.2:
	v_add_u32_e32 v19, s3, v1
	v_mov_b32_e32 v20, 0
	v_lshlrev_b64 v[2:3], 2, v[19:20]
	v_mov_b32_e32 v4, s1
	v_add_co_u32_e32 v2, vcc, s0, v2
	v_addc_co_u32_e32 v3, vcc, v4, v3, vcc
	global_load_dword v21, v[2:3], off
	s_load_dwordx8 s[8:15], s[4:5], 0x30
	s_load_dwordx2 s[16:17], s[4:5], 0x10
	s_waitcnt lgkmcnt(0)
	s_lshl_b32 s15, s6, 7
	v_mov_b32_e32 v105, v20
	v_mov_b32_e32 v108, v20
	s_cmpk_lt_i32 s9, 0x100
	v_mov_b32_e32 v22, v20
	s_cbranch_scc1 .LBB216_17
; %bb.3:
	s_ashr_i32 s0, s9, 31
	s_lshr_b32 s0, s0, 24
	s_add_i32 s0, s9, s0
	s_ashr_i32 s22, s0, 8
	s_ashr_i32 s0, s12, 31
	s_lshr_b32 s0, s0, 27
	v_and_b32_e32 v2, 31, v0
	s_add_i32 s0, s12, s0
	v_add_u16_e32 v4, -16, v2
	v_cmp_gt_u32_e32 vcc, 16, v2
	s_ashr_i32 s12, s0, 5
	s_not_b32 s0, s15
	v_lshlrev_b32_e32 v3, 1, v2
	v_lshlrev_b32_e32 v20, 2, v2
	v_cndmask_b32_e32 v2, v4, v2, vcc
	s_mul_i32 s8, s2, s8
	s_add_i32 s2, s10, s0
	v_cmp_lt_u16_e64 s[0:1], 7, v2
	v_add_u32_e32 v2, 0xe0, v3
	v_cndmask_b32_e32 v2, v2, v3, vcc
	v_and_b32_e32 v2, 0xfe, v2
	v_sub_u32_e32 v2, v3, v2
	v_and_b32_e32 v3, 15, v0
	v_min_i32_e32 v4, s2, v1
	v_add_lshl_u32 v18, v2, v3, 2
	s_movk_i32 s3, 0x104
	v_cndmask_b32_e64 v23, 0, 2, s[0:1]
	v_mad_u64_u32 v[2:3], s[0:1], v4, s3, v[18:19]
	v_add_u32_e32 v3, 8, v1
	v_min_i32_e32 v3, s2, v3
	v_mul_lo_u32 v43, v4, s22
	v_mul_lo_u32 v46, v3, s22
	v_mad_u64_u32 v[3:4], s[0:1], v3, s3, v[18:19]
	v_add_u32_e32 v4, 16, v1
	v_min_i32_e32 v4, s2, v4
	v_mul_lo_u32 v49, v4, s22
	v_mad_u64_u32 v[4:5], s[0:1], v4, s3, v[18:19]
	v_add_u32_e32 v5, 24, v1
	v_min_i32_e32 v5, s2, v5
	v_mul_lo_u32 v53, v5, s22
	v_mad_u64_u32 v[5:6], s[0:1], v5, s3, v[18:19]
	v_add_u32_e32 v6, 32, v1
	v_min_i32_e32 v6, s2, v6
	v_mul_lo_u32 v57, v6, s22
	v_mad_u64_u32 v[6:7], s[0:1], v6, s3, v[18:19]
	v_add_u32_e32 v7, 40, v1
	v_min_i32_e32 v7, s2, v7
	v_mul_lo_u32 v61, v7, s22
	v_mad_u64_u32 v[7:8], s[0:1], v7, s3, v[18:19]
	v_add_u32_e32 v8, 48, v1
	v_min_i32_e32 v8, s2, v8
	v_mul_lo_u32 v65, v8, s22
	v_mad_u64_u32 v[8:9], s[0:1], v8, s3, v[18:19]
	v_add_u32_e32 v9, 56, v1
	v_min_i32_e32 v9, s2, v9
	v_mul_lo_u32 v69, v9, s22
	v_mad_u64_u32 v[9:10], s[0:1], v9, s3, v[18:19]
	v_add_u32_e32 v10, 64, v1
	v_min_i32_e32 v10, s2, v10
	v_mul_lo_u32 v73, v10, s22
	v_mad_u64_u32 v[10:11], s[0:1], v10, s3, v[18:19]
	v_add_u32_e32 v11, 0x48, v1
	v_min_i32_e32 v11, s2, v11
	v_mul_lo_u32 v77, v11, s22
	v_mad_u64_u32 v[11:12], s[0:1], v11, s3, v[18:19]
	v_add_u32_e32 v12, 0x50, v1
	v_min_i32_e32 v12, s2, v12
	v_mul_lo_u32 v81, v12, s22
	v_mad_u64_u32 v[12:13], s[0:1], v12, s3, v[18:19]
	v_add_u32_e32 v13, 0x58, v1
	v_min_i32_e32 v13, s2, v13
	v_mul_lo_u32 v85, v13, s22
	v_mad_u64_u32 v[13:14], s[0:1], v13, s3, v[18:19]
	v_add_u32_e32 v14, 0x60, v1
	v_min_i32_e32 v14, s2, v14
	v_mul_lo_u32 v89, v14, s22
	v_mad_u64_u32 v[14:15], s[0:1], v14, s3, v[18:19]
	v_add_u32_e32 v15, 0x68, v1
	v_min_i32_e32 v15, s2, v15
	v_mul_lo_u32 v93, v15, s22
	v_mad_u64_u32 v[15:16], s[0:1], v15, s3, v[18:19]
	v_add_u32_e32 v16, 0x70, v1
	v_min_i32_e32 v16, s2, v16
	v_mul_lo_u32 v97, v16, s22
	v_mad_u64_u32 v[16:17], s[0:1], v16, s3, v[18:19]
	v_add_u32_e32 v17, 0x78, v1
	v_min_i32_e32 v17, s2, v17
	v_mul_lo_u32 v103, v17, s22
	v_mad_u64_u32 v[17:18], s[0:1], v17, s3, v[18:19]
	v_lshl_add_u32 v18, v1, 5, v0
	v_and_b32_e32 v18, 0x7f, v18
	v_min_i32_e32 v18, s2, v18
	v_ashrrev_i32_e32 v19, 31, v18
	v_lshrrev_b32_e32 v19, 27, v19
	v_add_u32_e32 v19, v18, v19
	v_ashrrev_i32_e32 v19, 5, v19
	v_mul_lo_u32 v107, v18, s22
	v_lshlrev_b32_e32 v19, 2, v19
	v_lshlrev_b32_e32 v18, 2, v18
	s_mov_b32 s3, 0x8e40
	v_add3_u32 v24, v19, v18, s3
	v_lshrrev_b32_e32 v18, 2, v0
	v_lshl_add_u32 v18, v1, 3, v18
	v_and_b32_e32 v19, 3, v0
	v_and_b32_e32 v18, 0x7f, v18
	v_lshlrev_b32_e32 v113, 2, v19
	v_min_i32_e32 v19, s2, v18
	v_xor_b32_e32 v18, 64, v18
	v_min_i32_e32 v18, s2, v18
	s_abs_i32 s2, s14
	v_cvt_f32_u32_e32 v35, s2
	v_add_u32_e32 v36, 64, v0
	v_lshrrev_b32_e32 v37, 3, v36
	s_mov_b32 s10, 0x8200
	v_rcp_iflag_f32_e32 v35, v35
	v_lshlrev_b32_e32 v38, 2, v37
	v_lshlrev_b32_e32 v36, 4, v36
	s_sub_i32 s19, 0, s2
	v_mul_f32_e32 v35, 0x4f7ffffe, v35
	v_cvt_u32_f32_e32 v39, v35
	v_add3_u32 v35, v36, v38, s10
	v_and_b32_e32 v36, 60, v37
	s_waitcnt vmcnt(0)
	v_sub_u32_e32 v44, 0, v21
	v_mul_lo_u32 v37, s19, v39
	v_max_i32_e32 v44, v21, v44
	v_add_u32_e32 v38, 0x60, v0
	v_lshrrev_b32_e32 v40, 3, v38
	v_mul_hi_u32 v37, v39, v37
	v_lshlrev_b32_e32 v41, 2, v40
	v_ashrrev_i32_e32 v25, 31, v19
	v_lshrrev_b32_e32 v25, 29, v25
	v_add_u32_e32 v37, v39, v37
	v_mul_hi_u32 v39, v44, v37
	v_lshlrev_b32_e32 v37, 4, v38
	v_and_b32_e32 v38, 60, v40
	v_mul_lo_u32 v108, v19, s22
	v_mul_lo_u32 v40, v39, s2
	v_add_u32_e32 v25, v19, v25
	v_lshlrev_b32_e32 v115, 4, v19
	v_ashrrev_i32_e32 v19, 31, v18
	v_lshrrev_b32_e32 v19, 29, v19
	v_add_u32_e32 v33, 32, v0
	v_sub_u32_e32 v40, v44, v40
	v_add_u32_e32 v19, v18, v19
	v_lshrrev_b32_e32 v32, 3, v33
	v_add3_u32 v37, v37, v41, s10
	v_add_u32_e32 v41, 1, v39
	v_cmp_le_u32_e32 vcc, s2, v40
	s_load_dwordx4 s[4:7], s[4:5], 0x0
	v_lshrrev_b32_e32 v42, 5, v0
	v_ashrrev_i32_e32 v25, 3, v25
	v_ashrrev_i32_e32 v19, 3, v19
	v_lshlrev_b32_e32 v34, 2, v32
	v_lshlrev_b32_e32 v33, 4, v33
	v_cndmask_b32_e32 v39, v39, v41, vcc
	v_subrev_u32_e32 v41, s2, v40
	v_lshlrev_b32_e32 v25, 2, v25
	v_mul_lo_u32 v110, v18, s22
	v_lshlrev_b32_e32 v19, 2, v19
	v_lshlrev_b32_e32 v117, 4, v18
	;; [unrolled: 1-line block ×4, first 2 shown]
	v_add3_u32 v33, v33, v34, s10
	v_and_b32_e32 v34, 60, v32
	v_cndmask_b32_e32 v40, v40, v41, vcc
	v_add3_u32 v114, v25, v113, s10
	v_add3_u32 v116, v19, v113, s10
	v_add_u32_e32 v25, 0x9050, v18
	v_and_b32_e32 v19, 28, v18
	v_add3_u32 v31, v18, v31, s3
	v_add3_u32 v34, v18, v34, s3
	;; [unrolled: 1-line block ×4, first 2 shown]
	v_xor_b32_e32 v18, s14, v21
	v_add_u32_e32 v41, 1, v39
	v_cmp_le_u32_e32 vcc, s2, v40
	v_ashrrev_i32_e32 v18, 31, v18
	v_cndmask_b32_e32 v39, v39, v41, vcc
	s_mul_i32 s18, s22, s15
	v_xor_b32_e32 v39, v39, v18
	v_sub_u32_e32 v39, v39, v18
	s_waitcnt lgkmcnt(0)
	v_mov_b32_e32 v40, s7
	v_add_co_u32_e32 v18, vcc, s6, v19
	s_mul_hi_i32 s21, s18, 0xd2
	v_addc_co_u32_e32 v19, vcc, 0, v40, vcc
	s_mul_i32 s20, s18, 0xd2
	v_mov_b32_e32 v41, s21
	s_movk_i32 s23, 0xd2
	v_mov_b32_e32 v40, s20
	v_mad_u64_u32 v[99:100], s[18:19], v42, s23, v[40:41]
	v_and_b32_e32 v45, 7, v0
	v_lshlrev_b32_e32 v41, 1, v0
	v_mad_i64_i32 v[43:44], s[26:27], v43, s23, v[99:100]
	v_lshlrev_b32_e32 v42, 2, v45
	v_and_or_b32 v105, v41, 32, v42
	v_add_co_u32_e32 v41, vcc, v43, v105
	v_lshrrev_b32_e32 v28, 3, v0
	v_addc_co_u32_e32 v42, vcc, 0, v44, vcc
	v_lshlrev_b32_e32 v29, 2, v28
	v_lshlrev_b32_e32 v30, 4, v0
	v_mov_b32_e32 v45, s5
	v_add_co_u32_e32 v41, vcc, s4, v41
	v_add3_u32 v29, v30, v29, s10
	v_addc_co_u32_e32 v42, vcc, v45, v42, vcc
	s_movk_i32 s10, 0x80
	v_add_co_u32_e32 v41, vcc, s10, v41
	v_addc_co_u32_e32 v42, vcc, 0, v42, vcc
	v_add_co_u32_e32 v43, vcc, v43, v20
	v_mad_i64_i32 v[47:48], s[26:27], v46, s23, v[99:100]
	v_addc_co_u32_e32 v44, vcc, 0, v44, vcc
	v_add_co_u32_e32 v43, vcc, s4, v43
	v_addc_co_u32_e32 v44, vcc, v45, v44, vcc
	v_add_co_u32_e32 v45, vcc, v47, v105
	v_addc_co_u32_e32 v46, vcc, 0, v48, vcc
	v_mov_b32_e32 v50, s5
	v_add_co_u32_e32 v45, vcc, s4, v45
	v_addc_co_u32_e32 v46, vcc, v50, v46, vcc
	v_add_co_u32_e32 v45, vcc, s10, v45
	v_addc_co_u32_e32 v46, vcc, 0, v46, vcc
	v_add_co_u32_e32 v47, vcc, v47, v20
	v_mad_i64_i32 v[51:52], s[26:27], v49, s23, v[99:100]
	v_addc_co_u32_e32 v48, vcc, 0, v48, vcc
	v_add_co_u32_e32 v47, vcc, s4, v47
	v_addc_co_u32_e32 v48, vcc, v50, v48, vcc
	v_add_co_u32_e32 v49, vcc, v51, v105
	v_addc_co_u32_e32 v50, vcc, 0, v52, vcc
	v_mov_b32_e32 v54, s5
	v_add_co_u32_e32 v49, vcc, s4, v49
	v_addc_co_u32_e32 v50, vcc, v54, v50, vcc
	;; [unrolled: 12-line block ×14, first 2 shown]
	v_add_co_u32_e32 v97, vcc, s10, v97
	v_addc_co_u32_e32 v98, vcc, 0, v98, vcc
	v_add_co_u32_e32 v101, vcc, v101, v20
	v_mad_i64_i32 v[103:104], s[26:27], v103, s23, v[99:100]
	v_addc_co_u32_e32 v102, vcc, 0, v102, vcc
	v_mov_b32_e32 v106, s5
	v_add_co_u32_e32 v99, vcc, s4, v101
	v_addc_co_u32_e32 v100, vcc, v106, v102, vcc
	v_add_co_u32_e32 v101, vcc, v103, v105
	v_addc_co_u32_e32 v102, vcc, 0, v104, vcc
	v_mov_b32_e32 v105, s5
	v_add_co_u32_e32 v101, vcc, s4, v101
	v_addc_co_u32_e32 v102, vcc, v105, v102, vcc
	v_mov_b32_e32 v26, 0x8a40
	v_add_co_u32_e32 v101, vcc, s10, v101
	v_lshl_add_u32 v26, v1, 7, v26
	v_cmp_gt_u32_e64 s[0:1], 4, v0
	v_cmp_gt_i32_e64 s[2:3], s11, v39
	v_addc_co_u32_e32 v102, vcc, 0, v102, vcc
	s_ashr_i32 s24, s8, 31
	v_add_u32_e32 v27, v26, v20
	s_and_b64 s[18:19], s[0:1], s[2:3]
	v_add_co_u32_e32 v20, vcc, v103, v20
	v_addc_co_u32_e32 v104, vcc, 0, v104, vcc
	s_add_u32 s26, s4, s20
	v_add_co_u32_e32 v103, vcc, s4, v20
	s_addc_u32 s27, s5, s21
	v_addc_co_u32_e32 v104, vcc, v105, v104, vcc
	v_mov_b32_e32 v106, s27
	v_mov_b32_e32 v105, s26
	v_mad_i64_i32 v[106:107], s[26:27], v107, s23, v[105:106]
	v_mad_i64_i32 v[108:109], s[26:27], v108, s23, 0
	s_movk_i32 s25, 0xd0
	v_add_co_u32_e32 v106, vcc, s25, v106
	v_addc_co_u32_e32 v107, vcc, 0, v107, vcc
	v_mov_b32_e32 v20, s21
	v_add_co_u32_e32 v105, vcc, s20, v108
	v_addc_co_u32_e32 v20, vcc, v20, v109, vcc
	v_add_co_u32_e32 v105, vcc, v105, v113
	v_addc_co_u32_e32 v20, vcc, 0, v20, vcc
	v_mov_b32_e32 v108, s5
	v_add_co_u32_e32 v105, vcc, s4, v105
	v_mad_i64_i32 v[111:112], s[26:27], v110, s23, 0
	v_addc_co_u32_e32 v20, vcc, v108, v20, vcc
	s_movk_i32 s25, 0xc0
	v_add_co_u32_e32 v109, vcc, s25, v105
	v_addc_co_u32_e32 v110, vcc, 0, v20, vcc
	v_mov_b32_e32 v20, s21
	v_add_co_u32_e32 v105, vcc, s20, v111
	v_addc_co_u32_e32 v20, vcc, v20, v112, vcc
	v_add_co_u32_e32 v105, vcc, v105, v113
	v_mul_lo_u32 v39, v39, s12
	v_addc_co_u32_e32 v20, vcc, 0, v20, vcc
	v_add_co_u32_e32 v105, vcc, s4, v105
	v_addc_co_u32_e32 v20, vcc, v108, v20, vcc
	v_add_co_u32_e32 v111, vcc, s25, v105
	v_mov_b32_e32 v22, 0
	v_lshlrev_b32_e32 v1, 4, v1
	v_mul_u32_u24_e32 v30, 0x104, v0
	v_ashrrev_i32_e32 v40, 31, v39
	v_addc_co_u32_e32 v112, vcc, 0, v20, vcc
	s_mov_b32 s20, 0x30303030
	s_movk_i32 s21, 0x3f00
	s_movk_i32 s23, 0xe000
	v_add_u32_e32 v113, v114, v115
	v_add_u32_e32 v114, v116, v117
	v_mov_b32_e32 v115, s24
	v_mov_b32_e32 v116, 8
	;; [unrolled: 1-line block ×6, first 2 shown]
	s_branch .LBB216_6
.LBB216_4:                              ;   in Loop: Header=BB216_6 Depth=1
	s_or_b64 exec, exec, s[4:5]
	s_waitcnt lgkmcnt(0)
	s_barrier
	ds_read_b128 v[120:123], v26
	ds_read_b128 v[124:127], v26 offset:16
	ds_read_b128 v[128:131], v26 offset:32
	;; [unrolled: 1-line block ×3, first 2 shown]
	ds_read_b32 v119, v31
	ds_read2_b32 v[136:137], v30 offset0:44 offset1:45
	ds_read2_b32 v[138:139], v30 offset0:38 offset1:39
	ds_read2_b32 v[140:141], v30 offset0:36 offset1:37
	ds_read2_b32 v[142:143], v30 offset0:34 offset1:35
	ds_read2_b32 v[144:145], v30 offset0:32 offset1:33
	ds_read2_b32 v[146:147], v30 offset0:46 offset1:47
	ds_read2_b32 v[148:149], v30 offset0:42 offset1:43
	ds_read2_b32 v[150:151], v30 offset0:40 offset1:41
	s_waitcnt lgkmcnt(7)
	v_dot4_i32_i8 v118, v136, v132, 0
	v_dot4_i32_i8 v118, v137, v133, v118
	s_waitcnt lgkmcnt(2)
	v_dot4_i32_i8 v118, v146, v134, v118
	v_dot4_i32_i8 v160, v147, v135, v118
	;; [unrolled: 3-line block ×3, first 2 shown]
	v_dot4_i32_i8 v118, v148, v130, v118
	v_dot4_i32_i8 v161, v149, v131, v118
	;; [unrolled: 1-line block ×10, first 2 shown]
	v_add_u32_e32 v118, 0x2118, v30
	ds_read2_b32 v[136:137], v118 offset1:1
	v_add_u32_e32 v118, 0x2110, v30
	v_add_u32_e32 v140, 0x2108, v30
	;; [unrolled: 1-line block ×4, first 2 shown]
	ds_read2_b32 v[138:139], v118 offset1:1
	ds_read2_b32 v[140:141], v140 offset1:1
	;; [unrolled: 1-line block ×4, first 2 shown]
	v_add_u32_e32 v118, 0x2130, v30
	ds_read2_b32 v[146:147], v118 offset1:1
	v_add_u32_e32 v118, 0x2128, v30
	v_add_u32_e32 v150, 0x2120, v30
	;; [unrolled: 1-line block ×3, first 2 shown]
	ds_read2_b32 v[148:149], v118 offset1:1
	ds_read2_b32 v[150:151], v150 offset1:1
	;; [unrolled: 1-line block ×3, first 2 shown]
	s_waitcnt lgkmcnt(3)
	v_dot4_i32_i8 v118, v146, v132, 0
	v_dot4_i32_i8 v118, v147, v133, v118
	;; [unrolled: 1-line block ×4, first 2 shown]
	s_waitcnt lgkmcnt(1)
	v_dot4_i32_i8 v118, v150, v128, 0
	v_dot4_i32_i8 v118, v151, v129, v118
	;; [unrolled: 1-line block ×12, first 2 shown]
	v_add_u32_e32 v136, 0x4190, v30
	v_add_u32_e32 v138, 0x4188, v30
	;; [unrolled: 1-line block ×5, first 2 shown]
	ds_read_b32 v118, v38 offset:384
	ds_read2_b32 v[136:137], v136 offset1:1
	ds_read2_b32 v[138:139], v138 offset1:1
	ds_read2_b32 v[140:141], v140 offset1:1
	ds_read2_b32 v[142:143], v142 offset1:1
	ds_read2_b32 v[144:145], v144 offset1:1
	v_add_u32_e32 v146, 0x41a8, v30
	v_add_u32_e32 v148, 0x41a0, v30
	;; [unrolled: 1-line block ×3, first 2 shown]
	ds_read2_b32 v[146:147], v146 offset1:1
	ds_read2_b32 v[148:149], v148 offset1:1
	;; [unrolled: 1-line block ×3, first 2 shown]
	s_waitcnt lgkmcnt(3)
	v_dot4_i32_i8 v144, v144, v132, 0
	v_dot4_i32_i8 v136, v136, v124, 0
	;; [unrolled: 1-line block ×7, first 2 shown]
	s_waitcnt lgkmcnt(1)
	v_dot4_i32_i8 v142, v148, v128, 0
	v_dot4_i32_i8 v170, v153, v127, v136
	;; [unrolled: 1-line block ×9, first 2 shown]
	v_add_u32_e32 v136, 0x6210, v30
	v_add_u32_e32 v138, 0x6208, v30
	;; [unrolled: 1-line block ×5, first 2 shown]
	ds_read2_b32 v[136:137], v136 offset1:1
	ds_read2_b32 v[138:139], v138 offset1:1
	ds_read2_b32 v[140:141], v140 offset1:1
	ds_read2_b32 v[142:143], v142 offset1:1
	ds_read2_b32 v[144:145], v144 offset1:1
	v_add_u32_e32 v146, 0x6228, v30
	v_add_u32_e32 v148, 0x6220, v30
	;; [unrolled: 1-line block ×3, first 2 shown]
	ds_read2_b32 v[146:147], v146 offset1:1
	ds_read2_b32 v[148:149], v148 offset1:1
	;; [unrolled: 1-line block ×3, first 2 shown]
	s_waitcnt lgkmcnt(3)
	v_dot4_i32_i8 v132, v144, v132, 0
	v_dot4_i32_i8 v124, v136, v124, 0
	;; [unrolled: 1-line block ×3, first 2 shown]
	s_waitcnt lgkmcnt(1)
	v_dot4_i32_i8 v128, v148, v128, 0
	v_dot4_i32_i8 v132, v145, v133, v132
	;; [unrolled: 1-line block ×13, first 2 shown]
	ds_read_b128 v[120:123], v26 offset:80
	ds_read_b128 v[124:127], v26 offset:64
	;; [unrolled: 1-line block ×4, first 2 shown]
	ds_read2_b32 v[136:137], v30 offset0:62 offset1:63
	ds_read2_b32 v[138:139], v30 offset0:60 offset1:61
	ds_read2_b32 v[140:141], v30 offset0:54 offset1:55
	ds_read2_b32 v[142:143], v30 offset0:52 offset1:53
	ds_read2_b32 v[144:145], v30 offset0:50 offset1:51
	ds_read2_b32 v[146:147], v30 offset0:48 offset1:49
	ds_read2_b32 v[148:149], v30 offset0:58 offset1:59
	s_waitcnt lgkmcnt(5)
	v_dot4_i32_i8 v138, v138, v128, 0
	v_dot4_i32_i8 v138, v139, v129, v138
	;; [unrolled: 1-line block ×4, first 2 shown]
	s_waitcnt lgkmcnt(3)
	v_dot4_i32_i8 v136, v142, v120, 0
	v_dot4_i32_i8 v136, v143, v121, v136
	;; [unrolled: 1-line block ×4, first 2 shown]
	s_waitcnt lgkmcnt(1)
	v_dot4_i32_i8 v136, v146, v124, 0
	v_dot4_i32_i8 v136, v147, v125, v136
	;; [unrolled: 1-line block ×3, first 2 shown]
	v_add_u32_e32 v140, 0x6250, v30
	v_add_u32_e32 v142, 0x6248, v30
	;; [unrolled: 1-line block ×5, first 2 shown]
	v_dot4_i32_i8 v178, v145, v127, v136
	ds_read_b128 v[136:139], v1 offset:36944
	ds_read2_b32 v[140:141], v140 offset1:1
	ds_read2_b32 v[142:143], v142 offset1:1
	;; [unrolled: 1-line block ×5, first 2 shown]
	v_add_u32_e32 v154, 0x6268, v30
	v_add_u32_e32 v156, 0x6260, v30
	;; [unrolled: 1-line block ×3, first 2 shown]
	ds_read2_b32 v[154:155], v154 offset1:1
	ds_read2_b32 v[156:157], v156 offset1:1
	;; [unrolled: 1-line block ×3, first 2 shown]
	s_waitcnt lgkmcnt(3)
	v_dot4_i32_i8 v150, v150, v128, 0
	v_dot4_i32_i8 v150, v151, v129, v150
	;; [unrolled: 1-line block ×4, first 2 shown]
	s_waitcnt lgkmcnt(1)
	v_dot4_i32_i8 v146, v156, v132, 0
	v_dot4_i32_i8 v151, v157, v133, v146
	ds_read_b32 v179, v36 offset:256
	ds_read2_b32 v[146:147], v37 offset0:2 offset1:3
	v_dot4_i32_i8 v140, v140, v120, 0
	v_dot4_i32_i8 v140, v141, v121, v140
	;; [unrolled: 1-line block ×4, first 2 shown]
	s_waitcnt lgkmcnt(0)
	v_bfe_i32 v141, v146, 8, 8
	v_bfe_i32 v152, v147, 8, 8
	v_mul_lo_u32 v140, v140, v152
	v_mul_lo_u32 v141, v174, v141
	v_dot4_i32_i8 v144, v144, v124, 0
	v_dot4_i32_i8 v144, v145, v125, v144
	;; [unrolled: 1-line block ×4, first 2 shown]
	v_bfe_i32 v143, v147, 0, 8
	v_mad_u64_u32 v[142:143], s[4:5], v142, v143, v[140:141]
	v_bfe_i32 v144, v146, 0, 8
	v_add_u32_e32 v156, 0x2160, v30
	v_mad_u64_u32 v[140:141], s[4:5], v175, v144, v[141:142]
	v_dot4_i32_i8 v141, v154, v134, v151
	v_dot4_i32_i8 v143, v155, v135, v141
	v_cvt_f32_i32_e32 v151, v140
	v_ashrrev_i32_e32 v140, 24, v147
	v_ashrrev_i32_e32 v141, 24, v146
	v_mul_lo_u32 v140, v150, v140
	v_mul_lo_u32 v141, v172, v141
	v_cvt_f32_i32_e32 v145, v142
	v_bfe_i32 v142, v147, 16, 8
	v_bfe_i32 v144, v146, 16, 8
	v_mad_u64_u32 v[142:143], s[4:5], v143, v142, v[140:141]
	v_fma_f32 v146, v136, v151, 0
	v_fma_f32 v172, v138, v145, 0
	v_mad_u64_u32 v[140:141], s[4:5], v173, v144, v[141:142]
	ds_read2_b32 v[143:144], v29 offset0:2 offset1:3
	v_cvt_f32_i32_e32 v142, v142
	v_cvt_f32_i32_e32 v147, v140
	ds_read2_b32 v[140:141], v30 offset0:56 offset1:57
	v_add_u32_e32 v150, 0x2178, v30
	v_fmac_f32_e32 v172, v139, v142
	v_fmac_f32_e32 v146, v137, v147
	s_waitcnt lgkmcnt(1)
	v_bfe_i32 v142, v143, 0, 8
	s_waitcnt lgkmcnt(0)
	v_dot4_i32_i8 v140, v140, v132, 0
	v_dot4_i32_i8 v140, v141, v133, v140
	v_bfe_i32 v141, v143, 8, 8
	v_mul_lo_u32 v141, v162, v141
	v_dot4_i32_i8 v140, v148, v134, v140
	v_dot4_i32_i8 v147, v149, v135, v140
	v_bfe_i32 v140, v144, 8, 8
	v_mul_lo_u32 v140, v177, v140
	v_mad_u64_u32 v[141:142], s[4:5], v163, v142, v[141:142]
	v_bfe_i32 v145, v144, 0, 8
	v_fmac_f32_e32 v20, v118, v146
	v_mad_u64_u32 v[145:146], s[4:5], v178, v145, v[140:141]
	v_ashrrev_i32_e32 v140, 24, v144
	v_mul_lo_u32 v140, v176, v140
	v_bfe_i32 v148, v144, 16, 8
	v_ashrrev_i32_e32 v142, 24, v143
	v_bfe_i32 v146, v143, 16, 8
	v_mul_lo_u32 v142, v160, v142
	v_mad_u64_u32 v[143:144], s[4:5], v147, v148, v[140:141]
	v_cvt_f32_i32_e32 v140, v141
	v_cvt_f32_i32_e32 v141, v145
	v_mad_u64_u32 v[146:147], s[4:5], v161, v146, v[142:143]
	v_cvt_f32_i32_e32 v142, v143
	v_fma_f32 v144, v136, v140, 0
	v_cvt_f32_i32_e32 v143, v146
	v_fma_f32 v145, v138, v141, 0
	v_fmac_f32_e32 v145, v139, v142
	v_add_u32_e32 v146, 0x2148, v30
	v_fmac_f32_e32 v144, v137, v143
	v_fmac_f32_e32 v22, v119, v144
	;; [unrolled: 1-line block ×3, first 2 shown]
	v_add_u32_e32 v119, 0x2150, v30
	v_add_u32_e32 v148, 0x2140, v30
	ds_read_b32 v162, v34 offset:128
	ds_read2_b32 v[140:141], v35 offset0:2 offset1:3
	ds_read2_b32 v[142:143], v33 offset0:2 offset1:3
	ds_read2_b32 v[144:145], v119 offset1:1
	ds_read2_b32 v[146:147], v146 offset1:1
	ds_read2_b32 v[148:149], v148 offset1:1
	ds_read2_b32 v[150:151], v150 offset1:1
	v_add_u32_e32 v119, 0x2170, v30
	ds_read2_b32 v[152:153], v119 offset1:1
	v_add_u32_e32 v119, 0x2168, v30
	v_add_u32_e32 v160, 0x41d8, v30
	ds_read2_b32 v[154:155], v119 offset1:1
	ds_read2_b32 v[156:157], v156 offset1:1
	;; [unrolled: 1-line block ×3, first 2 shown]
	v_fmac_f32_e32 v20, v118, v172
	s_waitcnt lgkmcnt(3)
	v_dot4_i32_i8 v119, v152, v128, 0
	v_dot4_i32_i8 v119, v153, v129, v119
	;; [unrolled: 1-line block ×4, first 2 shown]
	s_waitcnt lgkmcnt(1)
	v_dot4_i32_i8 v119, v156, v132, 0
	v_dot4_i32_i8 v119, v157, v133, v119
	;; [unrolled: 1-line block ×11, first 2 shown]
	v_bfe_i32 v144, v142, 8, 8
	v_dot4_i32_i8 v119, v159, v123, v119
	v_bfe_i32 v145, v143, 8, 8
	v_mul_lo_u32 v144, v166, v144
	v_mul_lo_u32 v119, v119, v145
	v_bfe_i32 v145, v142, 0, 8
	v_bfe_i32 v147, v143, 0, 8
	v_mad_u64_u32 v[144:145], s[4:5], v167, v145, v[144:145]
	v_bfe_i32 v148, v142, 16, 8
	v_ashrrev_i32_e32 v142, 24, v142
	v_mad_u64_u32 v[145:146], s[4:5], v146, v147, v[119:120]
	v_ashrrev_i32_e32 v119, 24, v143
	v_mul_lo_u32 v142, v164, v142
	v_mul_lo_u32 v119, v150, v119
	v_bfe_i32 v146, v143, 16, 8
	v_add_u32_e32 v154, 0x41e0, v30
	v_mad_u64_u32 v[142:143], s[4:5], v165, v148, v[142:143]
	v_mad_u64_u32 v[146:147], s[4:5], v151, v146, v[119:120]
	v_cvt_f32_i32_e32 v119, v144
	v_cvt_f32_i32_e32 v143, v145
	;; [unrolled: 1-line block ×4, first 2 shown]
	v_fma_f32 v119, v136, v119, 0
	v_fma_f32 v143, v138, v143, 0
	v_fmac_f32_e32 v119, v137, v142
	v_fmac_f32_e32 v143, v139, v144
	;; [unrolled: 1-line block ×3, first 2 shown]
	v_add_u32_e32 v119, 0x41d0, v30
	v_add_u32_e32 v144, 0x41c8, v30
	;; [unrolled: 1-line block ×4, first 2 shown]
	v_fmac_f32_e32 v108, v162, v143
	ds_read2_b32 v[142:143], v119 offset1:1
	ds_read2_b32 v[144:145], v144 offset1:1
	;; [unrolled: 1-line block ×4, first 2 shown]
	v_add_u32_e32 v119, 0x41f0, v30
	ds_read2_b32 v[150:151], v119 offset1:1
	v_add_u32_e32 v119, 0x41e8, v30
	ds_read2_b32 v[152:153], v119 offset1:1
	ds_read2_b32 v[154:155], v154 offset1:1
	s_waitcnt lgkmcnt(0)
	s_barrier
	v_dot4_i32_i8 v119, v150, v128, 0
	v_dot4_i32_i8 v119, v151, v129, v119
	;; [unrolled: 1-line block ×15, first 2 shown]
	v_bfe_i32 v120, v140, 8, 8
	v_mul_lo_u32 v120, v170, v120
	v_dot4_i32_i8 v119, v161, v123, v119
	v_bfe_i32 v121, v141, 8, 8
	v_mul_lo_u32 v119, v119, v121
	v_bfe_i32 v121, v140, 0, 8
	v_mad_u64_u32 v[120:121], s[4:5], v171, v121, v[120:121]
	v_bfe_i32 v123, v141, 0, 8
	v_bfe_i32 v125, v140, 16, 8
	v_mad_u64_u32 v[121:122], s[4:5], v122, v123, v[119:120]
	v_ashrrev_i32_e32 v119, 24, v141
	v_mul_lo_u32 v119, v128, v119
	v_bfe_i32 v123, v141, 16, 8
	v_ashrrev_i32_e32 v122, 24, v140
	v_mul_lo_u32 v122, v168, v122
	v_mad_u64_u32 v[123:124], s[4:5], v129, v123, v[119:120]
	v_cvt_f32_i32_e32 v119, v120
	v_cvt_f32_i32_e32 v120, v121
	v_mad_u64_u32 v[124:125], s[4:5], v169, v125, v[122:123]
	v_cvt_f32_i32_e32 v121, v123
	v_fma_f32 v119, v136, v119, 0
	v_cvt_f32_i32_e32 v122, v124
	v_fma_f32 v120, v138, v120, 0
	v_fmac_f32_e32 v120, v139, v121
	v_fmac_f32_e32 v119, v137, v122
	;; [unrolled: 1-line block ×4, first 2 shown]
.LBB216_5:                              ;   in Loop: Header=BB216_6 Depth=1
	v_add_co_u32_e32 v41, vcc, 0xd2, v41
	v_addc_co_u32_e32 v42, vcc, 0, v42, vcc
	v_add_co_u32_e32 v43, vcc, 0xd2, v43
	v_addc_co_u32_e32 v44, vcc, 0, v44, vcc
	;; [unrolled: 2-line block ×34, first 2 shown]
	s_add_i32 s22, s22, -1
	s_addk_i32 s10, 0x100
	v_add_co_u32_e32 v111, vcc, 0xd2, v111
	v_add_u32_e32 v32, 8, v32
	v_add_u32_e32 v28, 8, v28
	;; [unrolled: 1-line block ×3, first 2 shown]
	s_cmp_eq_u32 s22, 0
	v_addc_co_u32_e32 v112, vcc, 0, v112, vcc
	s_cbranch_scc1 .LBB216_17
.LBB216_6:                              ; =>This Inner Loop Header: Depth=1
	v_add_co_u32_e32 v118, vcc, s8, v43
	v_addc_co_u32_e32 v119, vcc, v44, v115, vcc
	global_load_dword v122, v[118:119], off
	v_add_co_u32_e32 v118, vcc, s8, v41
	v_addc_co_u32_e32 v119, vcc, v42, v115, vcc
	global_load_dword v123, v[118:119], off
	;; [unrolled: 3-line block ×4, first 2 shown]
	v_add_co_u32_e32 v118, vcc, s8, v51
	v_addc_co_u32_e32 v119, vcc, v52, v115, vcc
	v_add_co_u32_e32 v120, vcc, s8, v49
	v_addc_co_u32_e32 v121, vcc, v50, v115, vcc
	global_load_dword v127, v[120:121], off
	global_load_dword v126, v[118:119], off
	v_add_co_u32_e32 v118, vcc, s8, v55
	v_addc_co_u32_e32 v119, vcc, v56, v115, vcc
	v_add_co_u32_e32 v120, vcc, s8, v53
	v_addc_co_u32_e32 v121, vcc, v54, v115, vcc
	global_load_dword v128, v[118:119], off
	s_nop 0
	global_load_dword v120, v[120:121], off
	s_add_i32 s4, s10, 0xffffff80
	s_cmp_lt_i32 s4, s9
	s_waitcnt vmcnt(7)
	v_lshrrev_b32_e32 v119, 4, v122
	v_and_b32_e32 v118, 0xf0f0f0f, v122
	v_and_b32_e32 v119, 0xf0f0f0f, v119
	s_waitcnt vmcnt(6)
	v_ashrrev_i32_e32 v121, v23, v123
	v_and_or_b32 v119, v121, s20, v119
	v_lshlrev_b16_e32 v130, 8, v119
	v_and_b32_sdwa v131, v119, s21 dst_sel:DWORD dst_unused:UNUSED_PAD src0_sel:WORD_1 src1_sel:DWORD
	v_add_u16_e32 v130, 0xe000, v130
	s_waitcnt vmcnt(5)
	v_and_b32_e32 v122, 0xf0f0f0f, v124
	v_lshrrev_b32_e32 v123, 4, v124
	v_and_b32_e32 v123, 0xf0f0f0f, v123
	s_waitcnt vmcnt(4)
	v_ashrrev_i32_e32 v124, v23, v125
	v_lshlrev_b32_e32 v125, 4, v121
	v_lshlrev_b32_e32 v129, 4, v124
	v_and_or_b32 v118, v125, s20, v118
	v_and_or_b32 v121, v129, s20, v122
	;; [unrolled: 1-line block ×3, first 2 shown]
	v_and_b32_e32 v123, 0x3f00, v118
	v_lshlrev_b16_e32 v124, 8, v118
	v_and_b32_sdwa v125, v118, s21 dst_sel:DWORD dst_unused:UNUSED_PAD src0_sel:WORD_1 src1_sel:DWORD
	v_lshlrev_b16_sdwa v118, v116, v118 dst_sel:DWORD dst_unused:UNUSED_PAD src0_sel:DWORD src1_sel:WORD_1
	v_and_b32_e32 v129, 0x3f00, v119
	v_lshlrev_b16_sdwa v119, v116, v119 dst_sel:DWORD dst_unused:UNUSED_PAD src0_sel:DWORD src1_sel:WORD_1
	v_add_u16_e32 v124, 0xe000, v124
	v_add_u16_e32 v118, 0xe000, v118
	;; [unrolled: 1-line block ×3, first 2 shown]
	v_or_b32_sdwa v123, v123, v124 dst_sel:DWORD dst_unused:UNUSED_PAD src0_sel:DWORD src1_sel:BYTE_1
	v_or_b32_sdwa v118, v125, v118 dst_sel:DWORD dst_unused:UNUSED_PAD src0_sel:DWORD src1_sel:BYTE_1
	;; [unrolled: 1-line block ×4, first 2 shown]
	v_add_u16_e32 v123, 0xe000, v123
	v_add_u16_sdwa v118, v118, s23 dst_sel:WORD_1 dst_unused:UNUSED_PAD src0_sel:DWORD src1_sel:DWORD
	v_add_u16_e32 v124, 0xe000, v124
	v_add_u16_sdwa v119, v119, s23 dst_sel:WORD_1 dst_unused:UNUSED_PAD src0_sel:DWORD src1_sel:DWORD
	v_lshlrev_b16_e32 v136, 8, v122
	v_or_b32_e32 v118, v123, v118
	v_or_b32_e32 v119, v124, v119
	v_and_b32_e32 v132, 0x3f00, v121
	v_lshlrev_b16_e32 v133, 8, v121
	v_and_b32_sdwa v134, v121, s21 dst_sel:DWORD dst_unused:UNUSED_PAD src0_sel:WORD_1 src1_sel:DWORD
	v_lshlrev_b16_sdwa v121, v116, v121 dst_sel:DWORD dst_unused:UNUSED_PAD src0_sel:DWORD src1_sel:WORD_1
	v_and_b32_e32 v135, 0x3f00, v122
	ds_write2_b32 v2, v118, v119 offset1:16
	v_add_u16_e32 v118, 0xe000, v136
	v_add_u16_e32 v133, 0xe000, v133
	;; [unrolled: 1-line block ×3, first 2 shown]
	v_or_b32_sdwa v118, v135, v118 dst_sel:DWORD dst_unused:UNUSED_PAD src0_sel:DWORD src1_sel:BYTE_1
	v_or_b32_sdwa v125, v132, v133 dst_sel:DWORD dst_unused:UNUSED_PAD src0_sel:DWORD src1_sel:BYTE_1
	;; [unrolled: 1-line block ×3, first 2 shown]
	v_add_u16_e32 v123, 0xe000, v118
	v_add_co_u32_e32 v118, vcc, s8, v59
	v_add_u16_e32 v125, 0xe000, v125
	v_add_u16_sdwa v121, v121, s23 dst_sel:WORD_1 dst_unused:UNUSED_PAD src0_sel:DWORD src1_sel:DWORD
	v_addc_co_u32_e32 v119, vcc, v60, v115, vcc
	v_or_b32_e32 v121, v125, v121
	global_load_dword v125, v[118:119], off
	v_add_co_u32_e32 v118, vcc, s8, v57
	v_addc_co_u32_e32 v119, vcc, v58, v115, vcc
	global_load_dword v129, v[118:119], off
	v_lshlrev_b16_sdwa v118, v116, v122 dst_sel:DWORD dst_unused:UNUSED_PAD src0_sel:DWORD src1_sel:WORD_1
	v_and_b32_sdwa v124, v122, s21 dst_sel:DWORD dst_unused:UNUSED_PAD src0_sel:WORD_1 src1_sel:DWORD
	v_add_u16_e32 v118, 0xe000, v118
	v_or_b32_sdwa v118, v124, v118 dst_sel:DWORD dst_unused:UNUSED_PAD src0_sel:DWORD src1_sel:BYTE_1
	v_add_u16_sdwa v118, v118, s23 dst_sel:WORD_1 dst_unused:UNUSED_PAD src0_sel:DWORD src1_sel:DWORD
	v_or_b32_e32 v118, v123, v118
	ds_write2_b32 v3, v121, v118 offset1:16
	s_waitcnt vmcnt(5)
	v_ashrrev_i32_e32 v121, v23, v127
	s_waitcnt vmcnt(4)
	v_and_b32_e32 v118, 0xf0f0f0f, v126
	v_lshlrev_b32_e32 v122, 4, v121
	v_and_or_b32 v118, v122, s20, v118
	v_lshlrev_b16_e32 v123, 8, v118
	v_and_b32_e32 v122, 0x3f00, v118
	v_add_u16_e32 v123, 0xe000, v123
	v_or_b32_sdwa v122, v122, v123 dst_sel:DWORD dst_unused:UNUSED_PAD src0_sel:DWORD src1_sel:BYTE_1
	v_and_b32_sdwa v123, v118, s21 dst_sel:DWORD dst_unused:UNUSED_PAD src0_sel:WORD_1 src1_sel:DWORD
	v_lshlrev_b16_sdwa v118, v116, v118 dst_sel:DWORD dst_unused:UNUSED_PAD src0_sel:DWORD src1_sel:WORD_1
	v_lshrrev_b32_e32 v119, 4, v126
	v_add_u16_e32 v118, 0xe000, v118
	v_and_b32_e32 v119, 0xf0f0f0f, v119
	v_or_b32_sdwa v118, v123, v118 dst_sel:DWORD dst_unused:UNUSED_PAD src0_sel:DWORD src1_sel:BYTE_1
	v_add_u16_e32 v122, 0xe000, v122
	v_add_u16_sdwa v118, v118, s23 dst_sel:WORD_1 dst_unused:UNUSED_PAD src0_sel:DWORD src1_sel:DWORD
	v_and_or_b32 v119, v121, s20, v119
	v_or_b32_e32 v118, v122, v118
	v_lshlrev_b16_e32 v122, 8, v119
	v_and_b32_e32 v121, 0x3f00, v119
	v_add_u16_e32 v122, 0xe000, v122
	v_or_b32_sdwa v121, v121, v122 dst_sel:DWORD dst_unused:UNUSED_PAD src0_sel:DWORD src1_sel:BYTE_1
	v_and_b32_sdwa v122, v119, s21 dst_sel:DWORD dst_unused:UNUSED_PAD src0_sel:WORD_1 src1_sel:DWORD
	v_lshlrev_b16_sdwa v119, v116, v119 dst_sel:DWORD dst_unused:UNUSED_PAD src0_sel:DWORD src1_sel:WORD_1
	v_add_u16_e32 v119, 0xe000, v119
	v_or_b32_sdwa v119, v122, v119 dst_sel:DWORD dst_unused:UNUSED_PAD src0_sel:DWORD src1_sel:BYTE_1
	v_add_u16_e32 v121, 0xe000, v121
	v_add_u16_sdwa v119, v119, s23 dst_sel:WORD_1 dst_unused:UNUSED_PAD src0_sel:DWORD src1_sel:DWORD
	v_or_b32_e32 v119, v121, v119
	ds_write2_b32 v4, v118, v119 offset1:16
	s_waitcnt vmcnt(3)
	v_lshrrev_b32_e32 v118, 4, v128
	v_and_b32_e32 v122, 0xf0f0f0f, v118
	v_add_co_u32_e32 v118, vcc, s8, v63
	v_addc_co_u32_e32 v119, vcc, v64, v115, vcc
	global_load_dword v123, v[118:119], off
	v_add_co_u32_e32 v118, vcc, s8, v61
	v_addc_co_u32_e32 v119, vcc, v62, v115, vcc
	global_load_dword v124, v[118:119], off
	s_waitcnt vmcnt(4)
	v_ashrrev_i32_e32 v120, v23, v120
	v_and_b32_e32 v121, 0xf0f0f0f, v128
	v_lshlrev_b32_e32 v118, 4, v120
	v_and_or_b32 v118, v118, s20, v121
	v_lshlrev_b16_e32 v121, 8, v118
	v_and_b32_e32 v119, 0x3f00, v118
	v_add_u16_e32 v121, 0xe000, v121
	v_or_b32_sdwa v119, v119, v121 dst_sel:DWORD dst_unused:UNUSED_PAD src0_sel:DWORD src1_sel:BYTE_1
	v_and_b32_sdwa v121, v118, s21 dst_sel:DWORD dst_unused:UNUSED_PAD src0_sel:WORD_1 src1_sel:DWORD
	v_lshlrev_b16_sdwa v118, v116, v118 dst_sel:DWORD dst_unused:UNUSED_PAD src0_sel:DWORD src1_sel:WORD_1
	v_add_u16_e32 v118, 0xe000, v118
	v_or_b32_sdwa v118, v121, v118 dst_sel:DWORD dst_unused:UNUSED_PAD src0_sel:DWORD src1_sel:BYTE_1
	v_add_u16_e32 v119, 0xe000, v119
	v_add_u16_sdwa v118, v118, s23 dst_sel:WORD_1 dst_unused:UNUSED_PAD src0_sel:DWORD src1_sel:DWORD
	v_or_b32_e32 v118, v119, v118
	v_and_or_b32 v119, v120, s20, v122
	v_lshlrev_b16_e32 v121, 8, v119
	v_and_b32_e32 v120, 0x3f00, v119
	v_add_u16_e32 v121, 0xe000, v121
	v_or_b32_sdwa v120, v120, v121 dst_sel:DWORD dst_unused:UNUSED_PAD src0_sel:DWORD src1_sel:BYTE_1
	v_and_b32_sdwa v121, v119, s21 dst_sel:DWORD dst_unused:UNUSED_PAD src0_sel:WORD_1 src1_sel:DWORD
	v_lshlrev_b16_sdwa v119, v116, v119 dst_sel:DWORD dst_unused:UNUSED_PAD src0_sel:DWORD src1_sel:WORD_1
	v_add_u16_e32 v119, 0xe000, v119
	v_or_b32_sdwa v119, v121, v119 dst_sel:DWORD dst_unused:UNUSED_PAD src0_sel:DWORD src1_sel:BYTE_1
	v_add_u16_e32 v120, 0xe000, v120
	v_add_u16_sdwa v119, v119, s23 dst_sel:WORD_1 dst_unused:UNUSED_PAD src0_sel:DWORD src1_sel:DWORD
	v_or_b32_e32 v119, v120, v119
	ds_write2_b32 v5, v118, v119 offset1:16
	s_waitcnt vmcnt(3)
	v_lshrrev_b32_e32 v118, 4, v125
	v_and_b32_e32 v121, 0xf0f0f0f, v118
	v_add_co_u32_e32 v118, vcc, s8, v67
	v_addc_co_u32_e32 v119, vcc, v68, v115, vcc
	v_and_b32_e32 v120, 0xf0f0f0f, v125
	global_load_dword v125, v[118:119], off
	v_add_co_u32_e32 v118, vcc, s8, v65
	v_addc_co_u32_e32 v119, vcc, v66, v115, vcc
	global_load_dword v126, v[118:119], off
	s_waitcnt vmcnt(4)
	v_ashrrev_i32_e32 v122, v23, v129
	v_lshlrev_b32_e32 v118, 4, v122
	v_and_or_b32 v118, v118, s20, v120
	v_lshlrev_b16_e32 v120, 8, v118
	v_and_b32_e32 v119, 0x3f00, v118
	v_add_u16_e32 v120, 0xe000, v120
	v_or_b32_sdwa v119, v119, v120 dst_sel:DWORD dst_unused:UNUSED_PAD src0_sel:DWORD src1_sel:BYTE_1
	v_and_b32_sdwa v120, v118, s21 dst_sel:DWORD dst_unused:UNUSED_PAD src0_sel:WORD_1 src1_sel:DWORD
	v_lshlrev_b16_sdwa v118, v116, v118 dst_sel:DWORD dst_unused:UNUSED_PAD src0_sel:DWORD src1_sel:WORD_1
	v_add_u16_e32 v118, 0xe000, v118
	v_or_b32_sdwa v118, v120, v118 dst_sel:DWORD dst_unused:UNUSED_PAD src0_sel:DWORD src1_sel:BYTE_1
	v_add_u16_e32 v119, 0xe000, v119
	v_add_u16_sdwa v118, v118, s23 dst_sel:WORD_1 dst_unused:UNUSED_PAD src0_sel:DWORD src1_sel:DWORD
	v_and_or_b32 v121, v122, s20, v121
	v_or_b32_e32 v120, v119, v118
	v_lshlrev_b16_e32 v119, 8, v121
	v_and_b32_e32 v118, 0x3f00, v121
	v_add_u16_e32 v119, 0xe000, v119
	v_or_b32_sdwa v118, v118, v119 dst_sel:DWORD dst_unused:UNUSED_PAD src0_sel:DWORD src1_sel:BYTE_1
	v_add_u16_e32 v122, 0xe000, v118
	v_add_co_u32_e32 v118, vcc, s8, v71
	v_addc_co_u32_e32 v119, vcc, v72, v115, vcc
	global_load_dword v128, v[118:119], off
	v_add_co_u32_e32 v118, vcc, s8, v69
	v_addc_co_u32_e32 v119, vcc, v70, v115, vcc
	global_load_dword v129, v[118:119], off
	v_lshlrev_b16_sdwa v118, v116, v121 dst_sel:DWORD dst_unused:UNUSED_PAD src0_sel:DWORD src1_sel:WORD_1
	v_and_b32_sdwa v127, v121, s21 dst_sel:DWORD dst_unused:UNUSED_PAD src0_sel:WORD_1 src1_sel:DWORD
	v_add_u16_e32 v118, 0xe000, v118
	v_or_b32_sdwa v118, v127, v118 dst_sel:DWORD dst_unused:UNUSED_PAD src0_sel:DWORD src1_sel:BYTE_1
	v_add_u16_sdwa v118, v118, s23 dst_sel:WORD_1 dst_unused:UNUSED_PAD src0_sel:DWORD src1_sel:DWORD
	v_or_b32_e32 v118, v122, v118
	ds_write2_b32 v6, v120, v118 offset1:16
	s_waitcnt vmcnt(5)
	v_and_b32_e32 v118, 0xf0f0f0f, v123
	s_waitcnt vmcnt(4)
	v_ashrrev_i32_e32 v120, v23, v124
	v_lshlrev_b32_e32 v121, 4, v120
	v_and_or_b32 v118, v121, s20, v118
	v_lshlrev_b16_e32 v122, 8, v118
	v_and_b32_e32 v121, 0x3f00, v118
	v_add_u16_e32 v122, 0xe000, v122
	v_lshrrev_b32_e32 v119, 4, v123
	v_or_b32_sdwa v121, v121, v122 dst_sel:DWORD dst_unused:UNUSED_PAD src0_sel:DWORD src1_sel:BYTE_1
	v_and_b32_sdwa v122, v118, s21 dst_sel:DWORD dst_unused:UNUSED_PAD src0_sel:WORD_1 src1_sel:DWORD
	v_lshlrev_b16_sdwa v118, v116, v118 dst_sel:DWORD dst_unused:UNUSED_PAD src0_sel:DWORD src1_sel:WORD_1
	v_and_b32_e32 v119, 0xf0f0f0f, v119
	v_add_u16_e32 v118, 0xe000, v118
	v_or_b32_sdwa v118, v122, v118 dst_sel:DWORD dst_unused:UNUSED_PAD src0_sel:DWORD src1_sel:BYTE_1
	v_and_or_b32 v120, v120, s20, v119
	v_add_u16_e32 v121, 0xe000, v121
	v_add_u16_sdwa v118, v118, s23 dst_sel:WORD_1 dst_unused:UNUSED_PAD src0_sel:DWORD src1_sel:DWORD
	v_lshlrev_b16_e32 v119, 8, v120
	v_or_b32_e32 v121, v121, v118
	v_and_b32_e32 v118, 0x3f00, v120
	v_add_u16_e32 v119, 0xe000, v119
	v_or_b32_sdwa v118, v118, v119 dst_sel:DWORD dst_unused:UNUSED_PAD src0_sel:DWORD src1_sel:BYTE_1
	v_add_u16_e32 v122, 0xe000, v118
	v_add_co_u32_e32 v118, vcc, s8, v75
	v_addc_co_u32_e32 v119, vcc, v76, v115, vcc
	global_load_dword v124, v[118:119], off
	v_add_co_u32_e32 v118, vcc, s8, v73
	v_addc_co_u32_e32 v119, vcc, v74, v115, vcc
	global_load_dword v127, v[118:119], off
	v_lshlrev_b16_sdwa v118, v116, v120 dst_sel:DWORD dst_unused:UNUSED_PAD src0_sel:DWORD src1_sel:WORD_1
	v_and_b32_sdwa v123, v120, s21 dst_sel:DWORD dst_unused:UNUSED_PAD src0_sel:WORD_1 src1_sel:DWORD
	v_add_u16_e32 v118, 0xe000, v118
	v_or_b32_sdwa v118, v123, v118 dst_sel:DWORD dst_unused:UNUSED_PAD src0_sel:DWORD src1_sel:BYTE_1
	v_add_u16_sdwa v118, v118, s23 dst_sel:WORD_1 dst_unused:UNUSED_PAD src0_sel:DWORD src1_sel:DWORD
	v_or_b32_e32 v118, v122, v118
	ds_write2_b32 v7, v121, v118 offset1:16
	s_waitcnt vmcnt(5)
	v_and_b32_e32 v118, 0xf0f0f0f, v125
	v_lshrrev_b32_e32 v119, 4, v125
	s_waitcnt vmcnt(4)
	v_ashrrev_i32_e32 v120, v23, v126
	v_lshlrev_b32_e32 v121, 4, v120
	v_and_or_b32 v118, v121, s20, v118
	v_lshlrev_b16_e32 v122, 8, v118
	v_and_b32_e32 v121, 0x3f00, v118
	v_add_u16_e32 v122, 0xe000, v122
	v_or_b32_sdwa v121, v121, v122 dst_sel:DWORD dst_unused:UNUSED_PAD src0_sel:DWORD src1_sel:BYTE_1
	v_and_b32_sdwa v122, v118, s21 dst_sel:DWORD dst_unused:UNUSED_PAD src0_sel:WORD_1 src1_sel:DWORD
	v_lshlrev_b16_sdwa v118, v116, v118 dst_sel:DWORD dst_unused:UNUSED_PAD src0_sel:DWORD src1_sel:WORD_1
	v_add_u16_e32 v118, 0xe000, v118
	v_and_b32_e32 v119, 0xf0f0f0f, v119
	v_or_b32_sdwa v118, v122, v118 dst_sel:DWORD dst_unused:UNUSED_PAD src0_sel:DWORD src1_sel:BYTE_1
	v_add_u16_e32 v121, 0xe000, v121
	v_add_u16_sdwa v118, v118, s23 dst_sel:WORD_1 dst_unused:UNUSED_PAD src0_sel:DWORD src1_sel:DWORD
	v_and_or_b32 v119, v120, s20, v119
	v_or_b32_e32 v118, v121, v118
	v_lshlrev_b16_e32 v121, 8, v119
	v_and_b32_e32 v120, 0x3f00, v119
	v_add_u16_e32 v121, 0xe000, v121
	v_or_b32_sdwa v120, v120, v121 dst_sel:DWORD dst_unused:UNUSED_PAD src0_sel:DWORD src1_sel:BYTE_1
	v_and_b32_sdwa v121, v119, s21 dst_sel:DWORD dst_unused:UNUSED_PAD src0_sel:WORD_1 src1_sel:DWORD
	v_lshlrev_b16_sdwa v119, v116, v119 dst_sel:DWORD dst_unused:UNUSED_PAD src0_sel:DWORD src1_sel:WORD_1
	v_add_u16_e32 v119, 0xe000, v119
	v_or_b32_sdwa v119, v121, v119 dst_sel:DWORD dst_unused:UNUSED_PAD src0_sel:DWORD src1_sel:BYTE_1
	v_add_u16_e32 v120, 0xe000, v120
	v_add_u16_sdwa v119, v119, s23 dst_sel:WORD_1 dst_unused:UNUSED_PAD src0_sel:DWORD src1_sel:DWORD
	v_or_b32_e32 v119, v120, v119
	ds_write2_b32 v8, v118, v119 offset1:16
	s_waitcnt vmcnt(3)
	v_lshrrev_b32_e32 v118, 4, v128
	v_and_b32_e32 v121, 0xf0f0f0f, v118
	v_add_co_u32_e32 v118, vcc, s8, v79
	v_addc_co_u32_e32 v119, vcc, v80, v115, vcc
	global_load_dword v123, v[118:119], off
	v_add_co_u32_e32 v118, vcc, s8, v77
	s_waitcnt vmcnt(3)
	v_ashrrev_i32_e32 v122, v23, v129
	v_addc_co_u32_e32 v119, vcc, v78, v115, vcc
	v_and_b32_e32 v120, 0xf0f0f0f, v128
	global_load_dword v125, v[118:119], off
	v_lshlrev_b32_e32 v118, 4, v122
	v_and_or_b32 v118, v118, s20, v120
	v_lshlrev_b16_e32 v120, 8, v118
	v_and_b32_e32 v119, 0x3f00, v118
	v_add_u16_e32 v120, 0xe000, v120
	v_or_b32_sdwa v119, v119, v120 dst_sel:DWORD dst_unused:UNUSED_PAD src0_sel:DWORD src1_sel:BYTE_1
	v_and_b32_sdwa v120, v118, s21 dst_sel:DWORD dst_unused:UNUSED_PAD src0_sel:WORD_1 src1_sel:DWORD
	v_lshlrev_b16_sdwa v118, v116, v118 dst_sel:DWORD dst_unused:UNUSED_PAD src0_sel:DWORD src1_sel:WORD_1
	v_add_u16_e32 v118, 0xe000, v118
	v_or_b32_sdwa v118, v120, v118 dst_sel:DWORD dst_unused:UNUSED_PAD src0_sel:DWORD src1_sel:BYTE_1
	v_add_u16_e32 v119, 0xe000, v119
	v_add_u16_sdwa v118, v118, s23 dst_sel:WORD_1 dst_unused:UNUSED_PAD src0_sel:DWORD src1_sel:DWORD
	v_or_b32_e32 v118, v119, v118
	v_and_or_b32 v119, v122, s20, v121
	v_lshlrev_b16_e32 v121, 8, v119
	v_and_b32_e32 v120, 0x3f00, v119
	v_add_u16_e32 v121, 0xe000, v121
	v_or_b32_sdwa v120, v120, v121 dst_sel:DWORD dst_unused:UNUSED_PAD src0_sel:DWORD src1_sel:BYTE_1
	v_and_b32_sdwa v121, v119, s21 dst_sel:DWORD dst_unused:UNUSED_PAD src0_sel:WORD_1 src1_sel:DWORD
	v_lshlrev_b16_sdwa v119, v116, v119 dst_sel:DWORD dst_unused:UNUSED_PAD src0_sel:DWORD src1_sel:WORD_1
	v_add_u16_e32 v119, 0xe000, v119
	v_or_b32_sdwa v119, v121, v119 dst_sel:DWORD dst_unused:UNUSED_PAD src0_sel:DWORD src1_sel:BYTE_1
	v_add_u16_e32 v120, 0xe000, v120
	v_add_u16_sdwa v119, v119, s23 dst_sel:WORD_1 dst_unused:UNUSED_PAD src0_sel:DWORD src1_sel:DWORD
	v_or_b32_e32 v119, v120, v119
	ds_write2_b32 v9, v118, v119 offset1:16
	s_waitcnt vmcnt(3)
	v_lshrrev_b32_e32 v118, 4, v124
	v_and_b32_e32 v121, 0xf0f0f0f, v118
	v_add_co_u32_e32 v118, vcc, s8, v83
	v_addc_co_u32_e32 v119, vcc, v84, v115, vcc
	v_and_b32_e32 v120, 0xf0f0f0f, v124
	global_load_dword v124, v[118:119], off
	v_add_co_u32_e32 v118, vcc, s8, v81
	v_addc_co_u32_e32 v119, vcc, v82, v115, vcc
	global_load_dword v126, v[118:119], off
	s_waitcnt vmcnt(4)
	v_ashrrev_i32_e32 v122, v23, v127
	v_lshlrev_b32_e32 v118, 4, v122
	v_and_or_b32 v118, v118, s20, v120
	v_lshlrev_b16_e32 v120, 8, v118
	v_and_b32_e32 v119, 0x3f00, v118
	v_add_u16_e32 v120, 0xe000, v120
	v_or_b32_sdwa v119, v119, v120 dst_sel:DWORD dst_unused:UNUSED_PAD src0_sel:DWORD src1_sel:BYTE_1
	v_and_b32_sdwa v120, v118, s21 dst_sel:DWORD dst_unused:UNUSED_PAD src0_sel:WORD_1 src1_sel:DWORD
	v_lshlrev_b16_sdwa v118, v116, v118 dst_sel:DWORD dst_unused:UNUSED_PAD src0_sel:DWORD src1_sel:WORD_1
	v_add_u16_e32 v118, 0xe000, v118
	v_or_b32_sdwa v118, v120, v118 dst_sel:DWORD dst_unused:UNUSED_PAD src0_sel:DWORD src1_sel:BYTE_1
	v_add_u16_e32 v119, 0xe000, v119
	v_add_u16_sdwa v118, v118, s23 dst_sel:WORD_1 dst_unused:UNUSED_PAD src0_sel:DWORD src1_sel:DWORD
	v_and_or_b32 v121, v122, s20, v121
	v_or_b32_e32 v120, v119, v118
	v_lshlrev_b16_e32 v119, 8, v121
	v_and_b32_e32 v118, 0x3f00, v121
	v_add_u16_e32 v119, 0xe000, v119
	v_or_b32_sdwa v118, v118, v119 dst_sel:DWORD dst_unused:UNUSED_PAD src0_sel:DWORD src1_sel:BYTE_1
	v_add_u16_e32 v122, 0xe000, v118
	v_add_co_u32_e32 v118, vcc, s8, v87
	v_addc_co_u32_e32 v119, vcc, v88, v115, vcc
	global_load_dword v128, v[118:119], off
	v_add_co_u32_e32 v118, vcc, s8, v85
	v_addc_co_u32_e32 v119, vcc, v86, v115, vcc
	global_load_dword v129, v[118:119], off
	v_lshlrev_b16_sdwa v118, v116, v121 dst_sel:DWORD dst_unused:UNUSED_PAD src0_sel:DWORD src1_sel:WORD_1
	v_and_b32_sdwa v127, v121, s21 dst_sel:DWORD dst_unused:UNUSED_PAD src0_sel:WORD_1 src1_sel:DWORD
	v_add_u16_e32 v118, 0xe000, v118
	v_or_b32_sdwa v118, v127, v118 dst_sel:DWORD dst_unused:UNUSED_PAD src0_sel:DWORD src1_sel:BYTE_1
	v_add_u16_sdwa v118, v118, s23 dst_sel:WORD_1 dst_unused:UNUSED_PAD src0_sel:DWORD src1_sel:DWORD
	v_or_b32_e32 v118, v122, v118
	ds_write2_b32 v10, v120, v118 offset1:16
	s_waitcnt vmcnt(5)
	v_and_b32_e32 v118, 0xf0f0f0f, v123
	v_lshrrev_b32_e32 v119, 4, v123
	v_and_b32_e32 v119, 0xf0f0f0f, v119
	s_waitcnt vmcnt(4)
	v_ashrrev_i32_e32 v120, v23, v125
	v_lshlrev_b32_e32 v121, 4, v120
	v_and_or_b32 v118, v121, s20, v118
	v_lshlrev_b16_e32 v122, 8, v118
	v_and_b32_e32 v121, 0x3f00, v118
	v_add_u16_e32 v122, 0xe000, v122
	v_or_b32_sdwa v121, v121, v122 dst_sel:DWORD dst_unused:UNUSED_PAD src0_sel:DWORD src1_sel:BYTE_1
	v_and_b32_sdwa v122, v118, s21 dst_sel:DWORD dst_unused:UNUSED_PAD src0_sel:WORD_1 src1_sel:DWORD
	v_lshlrev_b16_sdwa v118, v116, v118 dst_sel:DWORD dst_unused:UNUSED_PAD src0_sel:DWORD src1_sel:WORD_1
	v_add_u16_e32 v118, 0xe000, v118
	v_or_b32_sdwa v118, v122, v118 dst_sel:DWORD dst_unused:UNUSED_PAD src0_sel:DWORD src1_sel:BYTE_1
	v_and_or_b32 v120, v120, s20, v119
	v_add_u16_e32 v121, 0xe000, v121
	v_add_u16_sdwa v118, v118, s23 dst_sel:WORD_1 dst_unused:UNUSED_PAD src0_sel:DWORD src1_sel:DWORD
	v_lshlrev_b16_e32 v119, 8, v120
	v_or_b32_e32 v121, v121, v118
	v_and_b32_e32 v118, 0x3f00, v120
	v_add_u16_e32 v119, 0xe000, v119
	v_or_b32_sdwa v118, v118, v119 dst_sel:DWORD dst_unused:UNUSED_PAD src0_sel:DWORD src1_sel:BYTE_1
	v_add_u16_e32 v122, 0xe000, v118
	v_add_co_u32_e32 v118, vcc, s8, v91
	v_addc_co_u32_e32 v119, vcc, v92, v115, vcc
	global_load_dword v125, v[118:119], off
	v_add_co_u32_e32 v118, vcc, s8, v89
	v_addc_co_u32_e32 v119, vcc, v90, v115, vcc
	global_load_dword v127, v[118:119], off
	v_lshlrev_b16_sdwa v118, v116, v120 dst_sel:DWORD dst_unused:UNUSED_PAD src0_sel:DWORD src1_sel:WORD_1
	v_and_b32_sdwa v123, v120, s21 dst_sel:DWORD dst_unused:UNUSED_PAD src0_sel:WORD_1 src1_sel:DWORD
	v_add_u16_e32 v118, 0xe000, v118
	v_or_b32_sdwa v118, v123, v118 dst_sel:DWORD dst_unused:UNUSED_PAD src0_sel:DWORD src1_sel:BYTE_1
	v_add_u16_sdwa v118, v118, s23 dst_sel:WORD_1 dst_unused:UNUSED_PAD src0_sel:DWORD src1_sel:DWORD
	v_or_b32_e32 v118, v122, v118
	ds_write2_b32 v11, v121, v118 offset1:16
	s_waitcnt vmcnt(5)
	v_and_b32_e32 v118, 0xf0f0f0f, v124
	v_lshrrev_b32_e32 v119, 4, v124
	s_waitcnt vmcnt(4)
	v_ashrrev_i32_e32 v120, v23, v126
	v_lshlrev_b32_e32 v121, 4, v120
	v_and_or_b32 v118, v121, s20, v118
	v_lshlrev_b16_e32 v122, 8, v118
	v_and_b32_e32 v121, 0x3f00, v118
	v_add_u16_e32 v122, 0xe000, v122
	v_or_b32_sdwa v121, v121, v122 dst_sel:DWORD dst_unused:UNUSED_PAD src0_sel:DWORD src1_sel:BYTE_1
	v_and_b32_sdwa v122, v118, s21 dst_sel:DWORD dst_unused:UNUSED_PAD src0_sel:WORD_1 src1_sel:DWORD
	v_lshlrev_b16_sdwa v118, v116, v118 dst_sel:DWORD dst_unused:UNUSED_PAD src0_sel:DWORD src1_sel:WORD_1
	v_add_u16_e32 v118, 0xe000, v118
	v_and_b32_e32 v119, 0xf0f0f0f, v119
	v_or_b32_sdwa v118, v122, v118 dst_sel:DWORD dst_unused:UNUSED_PAD src0_sel:DWORD src1_sel:BYTE_1
	v_add_u16_e32 v121, 0xe000, v121
	v_add_u16_sdwa v118, v118, s23 dst_sel:WORD_1 dst_unused:UNUSED_PAD src0_sel:DWORD src1_sel:DWORD
	v_and_or_b32 v119, v120, s20, v119
	v_or_b32_e32 v118, v121, v118
	v_lshlrev_b16_e32 v121, 8, v119
	v_and_b32_e32 v120, 0x3f00, v119
	v_add_u16_e32 v121, 0xe000, v121
	v_or_b32_sdwa v120, v120, v121 dst_sel:DWORD dst_unused:UNUSED_PAD src0_sel:DWORD src1_sel:BYTE_1
	v_and_b32_sdwa v121, v119, s21 dst_sel:DWORD dst_unused:UNUSED_PAD src0_sel:WORD_1 src1_sel:DWORD
	v_lshlrev_b16_sdwa v119, v116, v119 dst_sel:DWORD dst_unused:UNUSED_PAD src0_sel:DWORD src1_sel:WORD_1
	v_add_u16_e32 v119, 0xe000, v119
	v_or_b32_sdwa v119, v121, v119 dst_sel:DWORD dst_unused:UNUSED_PAD src0_sel:DWORD src1_sel:BYTE_1
	v_add_u16_e32 v120, 0xe000, v120
	v_add_u16_sdwa v119, v119, s23 dst_sel:WORD_1 dst_unused:UNUSED_PAD src0_sel:DWORD src1_sel:DWORD
	v_or_b32_e32 v119, v120, v119
	ds_write2_b32 v12, v118, v119 offset1:16
	s_waitcnt vmcnt(3)
	v_lshrrev_b32_e32 v118, 4, v128
	v_and_b32_e32 v121, 0xf0f0f0f, v118
	v_add_co_u32_e32 v118, vcc, s8, v95
	v_addc_co_u32_e32 v119, vcc, v96, v115, vcc
	global_load_dword v123, v[118:119], off
	v_add_co_u32_e32 v118, vcc, s8, v93
	v_addc_co_u32_e32 v119, vcc, v94, v115, vcc
	global_load_dword v124, v[118:119], off
	s_waitcnt vmcnt(4)
	v_ashrrev_i32_e32 v122, v23, v129
	v_and_b32_e32 v120, 0xf0f0f0f, v128
	v_lshlrev_b32_e32 v118, 4, v122
	v_and_or_b32 v118, v118, s20, v120
	v_lshlrev_b16_e32 v120, 8, v118
	v_and_b32_e32 v119, 0x3f00, v118
	v_add_u16_e32 v120, 0xe000, v120
	v_or_b32_sdwa v119, v119, v120 dst_sel:DWORD dst_unused:UNUSED_PAD src0_sel:DWORD src1_sel:BYTE_1
	v_and_b32_sdwa v120, v118, s21 dst_sel:DWORD dst_unused:UNUSED_PAD src0_sel:WORD_1 src1_sel:DWORD
	v_lshlrev_b16_sdwa v118, v116, v118 dst_sel:DWORD dst_unused:UNUSED_PAD src0_sel:DWORD src1_sel:WORD_1
	v_add_u16_e32 v118, 0xe000, v118
	v_or_b32_sdwa v118, v120, v118 dst_sel:DWORD dst_unused:UNUSED_PAD src0_sel:DWORD src1_sel:BYTE_1
	v_add_u16_e32 v119, 0xe000, v119
	v_add_u16_sdwa v118, v118, s23 dst_sel:WORD_1 dst_unused:UNUSED_PAD src0_sel:DWORD src1_sel:DWORD
	v_or_b32_e32 v118, v119, v118
	v_and_or_b32 v119, v122, s20, v121
	v_lshlrev_b16_e32 v121, 8, v119
	v_and_b32_e32 v120, 0x3f00, v119
	v_add_u16_e32 v121, 0xe000, v121
	v_or_b32_sdwa v120, v120, v121 dst_sel:DWORD dst_unused:UNUSED_PAD src0_sel:DWORD src1_sel:BYTE_1
	v_and_b32_sdwa v121, v119, s21 dst_sel:DWORD dst_unused:UNUSED_PAD src0_sel:WORD_1 src1_sel:DWORD
	v_lshlrev_b16_sdwa v119, v116, v119 dst_sel:DWORD dst_unused:UNUSED_PAD src0_sel:DWORD src1_sel:WORD_1
	v_add_u16_e32 v119, 0xe000, v119
	v_or_b32_sdwa v119, v121, v119 dst_sel:DWORD dst_unused:UNUSED_PAD src0_sel:DWORD src1_sel:BYTE_1
	v_add_u16_e32 v120, 0xe000, v120
	v_add_u16_sdwa v119, v119, s23 dst_sel:WORD_1 dst_unused:UNUSED_PAD src0_sel:DWORD src1_sel:DWORD
	v_or_b32_e32 v119, v120, v119
	ds_write2_b32 v13, v118, v119 offset1:16
	s_waitcnt vmcnt(3)
	v_lshrrev_b32_e32 v119, 4, v125
	v_and_b32_e32 v118, 0xf0f0f0f, v125
	s_waitcnt vmcnt(2)
	v_ashrrev_i32_e32 v121, v23, v127
	v_and_b32_e32 v120, 0xf0f0f0f, v119
	v_lshlrev_b32_e32 v119, 4, v121
	v_and_or_b32 v122, v119, s20, v118
	v_lshlrev_b16_e32 v118, 8, v122
	v_add_u16_e32 v126, 0xe000, v118
	v_add_co_u32_e32 v118, vcc, s8, v99
	v_addc_co_u32_e32 v119, vcc, v100, v115, vcc
	global_load_dword v127, v[118:119], off
	v_add_co_u32_e32 v118, vcc, s8, v97
	v_addc_co_u32_e32 v119, vcc, v98, v115, vcc
	global_load_dword v128, v[118:119], off
	v_and_b32_e32 v125, 0x3f00, v122
	v_and_b32_sdwa v119, v122, s21 dst_sel:DWORD dst_unused:UNUSED_PAD src0_sel:WORD_1 src1_sel:DWORD
	v_lshlrev_b16_sdwa v122, v116, v122 dst_sel:DWORD dst_unused:UNUSED_PAD src0_sel:DWORD src1_sel:WORD_1
	v_add_u16_e32 v122, 0xe000, v122
	v_or_b32_sdwa v118, v125, v126 dst_sel:DWORD dst_unused:UNUSED_PAD src0_sel:DWORD src1_sel:BYTE_1
	v_or_b32_sdwa v119, v119, v122 dst_sel:DWORD dst_unused:UNUSED_PAD src0_sel:DWORD src1_sel:BYTE_1
	v_add_u16_e32 v118, 0xe000, v118
	v_add_u16_sdwa v119, v119, s23 dst_sel:WORD_1 dst_unused:UNUSED_PAD src0_sel:DWORD src1_sel:DWORD
	v_or_b32_e32 v122, v118, v119
	v_and_or_b32 v118, v121, s20, v120
	v_lshlrev_b16_e32 v120, 8, v118
	v_and_b32_e32 v119, 0x3f00, v118
	v_add_u16_e32 v120, 0xe000, v120
	v_or_b32_sdwa v119, v119, v120 dst_sel:DWORD dst_unused:UNUSED_PAD src0_sel:DWORD src1_sel:BYTE_1
	v_and_b32_sdwa v120, v118, s21 dst_sel:DWORD dst_unused:UNUSED_PAD src0_sel:WORD_1 src1_sel:DWORD
	v_lshlrev_b16_sdwa v118, v116, v118 dst_sel:DWORD dst_unused:UNUSED_PAD src0_sel:DWORD src1_sel:WORD_1
	v_add_u16_e32 v118, 0xe000, v118
	v_or_b32_sdwa v118, v120, v118 dst_sel:DWORD dst_unused:UNUSED_PAD src0_sel:DWORD src1_sel:BYTE_1
	v_add_u16_e32 v119, 0xe000, v119
	v_add_u16_sdwa v118, v118, s23 dst_sel:WORD_1 dst_unused:UNUSED_PAD src0_sel:DWORD src1_sel:DWORD
	v_or_b32_e32 v120, v119, v118
	v_add_co_u32_e32 v118, vcc, s8, v103
	v_addc_co_u32_e32 v119, vcc, v104, v115, vcc
	global_load_dword v121, v[118:119], off
	v_add_co_u32_e32 v118, vcc, s8, v101
	v_addc_co_u32_e32 v119, vcc, v102, v115, vcc
	global_load_dword v125, v[118:119], off
	ds_write2_b32 v14, v122, v120 offset1:16
	s_waitcnt vmcnt(5)
	v_lshrrev_b32_e32 v119, 4, v123
	s_waitcnt vmcnt(4)
	v_ashrrev_i32_e32 v122, v23, v124
	v_and_b32_e32 v118, 0xf0f0f0f, v123
	v_and_b32_e32 v120, 0xf0f0f0f, v119
	v_lshlrev_b32_e32 v119, 4, v122
	v_and_or_b32 v118, v119, s20, v118
	v_lshlrev_b16_e32 v123, 8, v118
	v_and_b32_e32 v119, 0x3f00, v118
	v_add_u16_e32 v123, 0xe000, v123
	v_or_b32_sdwa v119, v119, v123 dst_sel:DWORD dst_unused:UNUSED_PAD src0_sel:DWORD src1_sel:BYTE_1
	v_add_u16_e32 v123, 0xe000, v119
	v_and_b32_sdwa v119, v118, s21 dst_sel:DWORD dst_unused:UNUSED_PAD src0_sel:WORD_1 src1_sel:DWORD
	v_lshlrev_b16_sdwa v118, v116, v118 dst_sel:DWORD dst_unused:UNUSED_PAD src0_sel:DWORD src1_sel:WORD_1
	v_add_u16_e32 v118, 0xe000, v118
	v_or_b32_sdwa v118, v119, v118 dst_sel:DWORD dst_unused:UNUSED_PAD src0_sel:DWORD src1_sel:BYTE_1
	v_add_u16_sdwa v124, v118, s23 dst_sel:WORD_1 dst_unused:UNUSED_PAD src0_sel:DWORD src1_sel:DWORD
	v_add_co_u32_e32 v118, vcc, s8, v106
	v_addc_co_u32_e32 v119, vcc, v107, v115, vcc
	global_load_ushort v126, v[118:119], off
	v_add_co_u32_e32 v118, vcc, s8, v109
	v_addc_co_u32_e32 v119, vcc, v110, v115, vcc
	global_load_dword v129, v[118:119], off
	v_add_co_u32_e32 v118, vcc, s8, v111
	v_addc_co_u32_e32 v119, vcc, v112, v115, vcc
	global_load_dword v118, v[118:119], off
	v_and_or_b32 v120, v122, s20, v120
	v_or_b32_e32 v119, v123, v124
	v_lshlrev_b16_e32 v123, 8, v120
	v_and_b32_e32 v122, 0x3f00, v120
	v_add_u16_e32 v123, 0xe000, v123
	v_or_b32_sdwa v122, v122, v123 dst_sel:DWORD dst_unused:UNUSED_PAD src0_sel:DWORD src1_sel:BYTE_1
	v_and_b32_sdwa v123, v120, s21 dst_sel:DWORD dst_unused:UNUSED_PAD src0_sel:WORD_1 src1_sel:DWORD
	v_lshlrev_b16_sdwa v120, v116, v120 dst_sel:DWORD dst_unused:UNUSED_PAD src0_sel:DWORD src1_sel:WORD_1
	v_add_u16_e32 v120, 0xe000, v120
	v_or_b32_sdwa v120, v123, v120 dst_sel:DWORD dst_unused:UNUSED_PAD src0_sel:DWORD src1_sel:BYTE_1
	v_add_u16_e32 v122, 0xe000, v122
	v_add_u16_sdwa v120, v120, s23 dst_sel:WORD_1 dst_unused:UNUSED_PAD src0_sel:DWORD src1_sel:DWORD
	v_or_b32_e32 v120, v122, v120
	ds_write2_b32 v15, v119, v120 offset1:16
	s_waitcnt vmcnt(6)
	v_and_b32_e32 v119, 0xf0f0f0f, v127
	v_lshrrev_b32_e32 v120, 4, v127
	s_waitcnt vmcnt(5)
	v_ashrrev_i32_e32 v122, v23, v128
	v_lshlrev_b32_e32 v123, 4, v122
	v_and_or_b32 v119, v123, s20, v119
	v_lshlrev_b16_e32 v124, 8, v119
	v_and_b32_e32 v123, 0x3f00, v119
	v_add_u16_e32 v124, 0xe000, v124
	v_or_b32_sdwa v123, v123, v124 dst_sel:DWORD dst_unused:UNUSED_PAD src0_sel:DWORD src1_sel:BYTE_1
	v_and_b32_sdwa v124, v119, s21 dst_sel:DWORD dst_unused:UNUSED_PAD src0_sel:WORD_1 src1_sel:DWORD
	v_lshlrev_b16_sdwa v119, v116, v119 dst_sel:DWORD dst_unused:UNUSED_PAD src0_sel:DWORD src1_sel:WORD_1
	v_add_u16_e32 v119, 0xe000, v119
	v_and_b32_e32 v120, 0xf0f0f0f, v120
	v_or_b32_sdwa v119, v124, v119 dst_sel:DWORD dst_unused:UNUSED_PAD src0_sel:DWORD src1_sel:BYTE_1
	v_add_u16_e32 v123, 0xe000, v123
	v_add_u16_sdwa v119, v119, s23 dst_sel:WORD_1 dst_unused:UNUSED_PAD src0_sel:DWORD src1_sel:DWORD
	v_and_or_b32 v120, v122, s20, v120
	v_or_b32_e32 v119, v123, v119
	v_lshlrev_b16_e32 v123, 8, v120
	v_and_b32_e32 v122, 0x3f00, v120
	v_add_u16_e32 v123, 0xe000, v123
	v_or_b32_sdwa v122, v122, v123 dst_sel:DWORD dst_unused:UNUSED_PAD src0_sel:DWORD src1_sel:BYTE_1
	v_and_b32_sdwa v123, v120, s21 dst_sel:DWORD dst_unused:UNUSED_PAD src0_sel:WORD_1 src1_sel:DWORD
	v_lshlrev_b16_sdwa v120, v116, v120 dst_sel:DWORD dst_unused:UNUSED_PAD src0_sel:DWORD src1_sel:WORD_1
	v_add_u16_e32 v120, 0xe000, v120
	v_or_b32_sdwa v120, v123, v120 dst_sel:DWORD dst_unused:UNUSED_PAD src0_sel:DWORD src1_sel:BYTE_1
	v_add_u16_e32 v122, 0xe000, v122
	v_add_u16_sdwa v120, v120, s23 dst_sel:WORD_1 dst_unused:UNUSED_PAD src0_sel:DWORD src1_sel:DWORD
	v_or_b32_e32 v120, v122, v120
	ds_write2_b32 v16, v119, v120 offset1:16
	s_waitcnt vmcnt(4)
	v_and_b32_e32 v119, 0xf0f0f0f, v121
	v_lshrrev_b32_e32 v120, 4, v121
	v_and_b32_e32 v120, 0xf0f0f0f, v120
	s_waitcnt vmcnt(3)
	v_ashrrev_i32_e32 v121, v23, v125
	v_lshlrev_b32_e32 v122, 4, v121
	v_and_or_b32 v119, v122, s20, v119
	v_lshlrev_b16_e32 v123, 8, v119
	v_and_b32_e32 v122, 0x3f00, v119
	v_add_u16_e32 v123, 0xe000, v123
	v_or_b32_sdwa v122, v122, v123 dst_sel:DWORD dst_unused:UNUSED_PAD src0_sel:DWORD src1_sel:BYTE_1
	v_and_b32_sdwa v123, v119, s21 dst_sel:DWORD dst_unused:UNUSED_PAD src0_sel:WORD_1 src1_sel:DWORD
	v_lshlrev_b16_sdwa v119, v116, v119 dst_sel:DWORD dst_unused:UNUSED_PAD src0_sel:DWORD src1_sel:WORD_1
	v_add_u16_e32 v119, 0xe000, v119
	v_or_b32_sdwa v119, v123, v119 dst_sel:DWORD dst_unused:UNUSED_PAD src0_sel:DWORD src1_sel:BYTE_1
	v_add_u16_e32 v122, 0xe000, v122
	v_add_u16_sdwa v119, v119, s23 dst_sel:WORD_1 dst_unused:UNUSED_PAD src0_sel:DWORD src1_sel:DWORD
	v_and_or_b32 v120, v121, s20, v120
	v_or_b32_e32 v119, v122, v119
	v_lshlrev_b16_e32 v122, 8, v120
	v_and_b32_e32 v121, 0x3f00, v120
	v_add_u16_e32 v122, 0xe000, v122
	v_or_b32_sdwa v121, v121, v122 dst_sel:DWORD dst_unused:UNUSED_PAD src0_sel:DWORD src1_sel:BYTE_1
	v_and_b32_sdwa v122, v120, s21 dst_sel:DWORD dst_unused:UNUSED_PAD src0_sel:WORD_1 src1_sel:DWORD
	v_lshlrev_b16_sdwa v120, v116, v120 dst_sel:DWORD dst_unused:UNUSED_PAD src0_sel:DWORD src1_sel:WORD_1
	v_add_u16_e32 v120, 0xe000, v120
	v_or_b32_sdwa v120, v122, v120 dst_sel:DWORD dst_unused:UNUSED_PAD src0_sel:DWORD src1_sel:BYTE_1
	s_waitcnt vmcnt(2)
	v_cvt_f32_f16_e32 v122, v126
	v_add_u16_e32 v121, 0xe000, v121
	v_add_u16_sdwa v120, v120, s23 dst_sel:WORD_1 dst_unused:UNUSED_PAD src0_sel:DWORD src1_sel:DWORD
	v_or_b32_e32 v120, v121, v120
	ds_write2_b32 v17, v119, v120 offset1:16
	ds_write_b32 v24, v122
	s_waitcnt vmcnt(1)
	ds_write_b32 v113, v129
	s_waitcnt vmcnt(0)
	ds_write_b32 v114, v118
	s_cbranch_scc0 .LBB216_5
; %bb.7:                                ;   in Loop: Header=BB216_6 Depth=1
	v_cmp_gt_i32_e32 vcc, s12, v28
	s_and_b64 s[24:25], s[2:3], vcc
	s_and_saveexec_b64 s[4:5], s[24:25]
	s_cbranch_execz .LBB216_9
; %bb.8:                                ;   in Loop: Header=BB216_6 Depth=1
	v_add_u32_e32 v118, v39, v28
	v_mad_i64_i32 v[118:119], s[24:25], v118, 36, v[18:19]
	global_load_dword v118, v[118:119], off offset:4
	s_waitcnt vmcnt(0)
	ds_write_b32 v27, v118
.LBB216_9:                              ;   in Loop: Header=BB216_6 Depth=1
	s_or_b64 exec, exec, s[4:5]
	v_cmp_gt_i32_e32 vcc, s12, v117
	s_and_b64 s[24:25], s[18:19], vcc
	s_and_saveexec_b64 s[4:5], s[24:25]
	s_cbranch_execz .LBB216_11
; %bb.10:                               ;   in Loop: Header=BB216_6 Depth=1
	v_add_u32_e32 v118, v39, v117
	v_mad_i64_i32 v[118:119], s[24:25], v118, 36, s[6:7]
	global_load_dword v118, v[118:119], off
	v_add_u32_e32 v119, v25, v1
	s_waitcnt vmcnt(0)
	v_cvt_f32_f16_e32 v118, v118
	ds_write_b32 v119, v118
.LBB216_11:                             ;   in Loop: Header=BB216_6 Depth=1
	s_or_b64 exec, exec, s[4:5]
	s_waitcnt lgkmcnt(0)
	s_barrier
	ds_read_b128 v[120:123], v26
	ds_read_b128 v[124:127], v26 offset:16
	ds_read_b128 v[128:131], v26 offset:32
	;; [unrolled: 1-line block ×3, first 2 shown]
	ds_read_b32 v119, v31
	ds_read2_b32 v[136:137], v30 offset0:12 offset1:13
	ds_read2_b32 v[138:139], v30 offset0:6 offset1:7
	;; [unrolled: 1-line block ×4, first 2 shown]
	ds_read2_b32 v[144:145], v30 offset1:1
	ds_read2_b32 v[146:147], v30 offset0:14 offset1:15
	ds_read2_b32 v[148:149], v30 offset0:10 offset1:11
	;; [unrolled: 1-line block ×3, first 2 shown]
	s_waitcnt lgkmcnt(7)
	v_dot4_i32_i8 v118, v136, v132, 0
	v_dot4_i32_i8 v118, v137, v133, v118
	s_waitcnt lgkmcnt(2)
	v_dot4_i32_i8 v118, v146, v134, v118
	v_dot4_i32_i8 v160, v147, v135, v118
	s_waitcnt lgkmcnt(0)
	v_dot4_i32_i8 v118, v150, v128, 0
	v_dot4_i32_i8 v118, v151, v129, v118
	v_dot4_i32_i8 v118, v148, v130, v118
	v_dot4_i32_i8 v161, v149, v131, v118
	;; [unrolled: 1-line block ×10, first 2 shown]
	v_add_u32_e32 v118, 0x2098, v30
	ds_read2_b32 v[136:137], v118 offset1:1
	v_add_u32_e32 v118, 0x2090, v30
	v_add_u32_e32 v140, 0x2088, v30
	;; [unrolled: 1-line block ×4, first 2 shown]
	ds_read2_b32 v[138:139], v118 offset1:1
	ds_read2_b32 v[140:141], v140 offset1:1
	;; [unrolled: 1-line block ×4, first 2 shown]
	v_add_u32_e32 v118, 0x20b0, v30
	ds_read2_b32 v[146:147], v118 offset1:1
	v_add_u32_e32 v118, 0x20a8, v30
	v_add_u32_e32 v150, 0x20a0, v30
	;; [unrolled: 1-line block ×3, first 2 shown]
	ds_read2_b32 v[148:149], v118 offset1:1
	ds_read2_b32 v[150:151], v150 offset1:1
	;; [unrolled: 1-line block ×3, first 2 shown]
	s_waitcnt lgkmcnt(3)
	v_dot4_i32_i8 v118, v146, v132, 0
	v_dot4_i32_i8 v118, v147, v133, v118
	;; [unrolled: 1-line block ×4, first 2 shown]
	s_waitcnt lgkmcnt(1)
	v_dot4_i32_i8 v118, v150, v128, 0
	v_dot4_i32_i8 v118, v151, v129, v118
	;; [unrolled: 1-line block ×12, first 2 shown]
	v_add_u32_e32 v136, 0x4110, v30
	v_add_u32_e32 v138, 0x4108, v30
	;; [unrolled: 1-line block ×5, first 2 shown]
	ds_read_b32 v118, v38 offset:384
	ds_read2_b32 v[136:137], v136 offset1:1
	ds_read2_b32 v[138:139], v138 offset1:1
	;; [unrolled: 1-line block ×5, first 2 shown]
	v_add_u32_e32 v146, 0x4128, v30
	v_add_u32_e32 v148, 0x4120, v30
	;; [unrolled: 1-line block ×3, first 2 shown]
	ds_read2_b32 v[146:147], v146 offset1:1
	ds_read2_b32 v[148:149], v148 offset1:1
	;; [unrolled: 1-line block ×3, first 2 shown]
	s_waitcnt lgkmcnt(3)
	v_dot4_i32_i8 v144, v144, v132, 0
	v_dot4_i32_i8 v136, v136, v124, 0
	;; [unrolled: 1-line block ×7, first 2 shown]
	s_waitcnt lgkmcnt(1)
	v_dot4_i32_i8 v142, v148, v128, 0
	v_dot4_i32_i8 v170, v153, v127, v136
	;; [unrolled: 1-line block ×9, first 2 shown]
	v_add_u32_e32 v136, 0x6190, v30
	v_add_u32_e32 v138, 0x6188, v30
	;; [unrolled: 1-line block ×5, first 2 shown]
	ds_read2_b32 v[136:137], v136 offset1:1
	ds_read2_b32 v[138:139], v138 offset1:1
	;; [unrolled: 1-line block ×5, first 2 shown]
	v_add_u32_e32 v146, 0x61a8, v30
	v_add_u32_e32 v148, 0x61a0, v30
	;; [unrolled: 1-line block ×3, first 2 shown]
	ds_read2_b32 v[146:147], v146 offset1:1
	ds_read2_b32 v[148:149], v148 offset1:1
	;; [unrolled: 1-line block ×3, first 2 shown]
	s_waitcnt lgkmcnt(3)
	v_dot4_i32_i8 v132, v144, v132, 0
	v_dot4_i32_i8 v124, v136, v124, 0
	;; [unrolled: 1-line block ×3, first 2 shown]
	s_waitcnt lgkmcnt(1)
	v_dot4_i32_i8 v128, v148, v128, 0
	v_dot4_i32_i8 v132, v145, v133, v132
	v_dot4_i32_i8 v128, v149, v129, v128
	v_dot4_i32_i8 v124, v137, v125, v124
	v_dot4_i32_i8 v120, v141, v121, v120
	v_dot4_i32_i8 v132, v142, v134, v132
	v_dot4_i32_i8 v128, v146, v130, v128
	v_dot4_i32_i8 v124, v150, v126, v124
	v_dot4_i32_i8 v120, v138, v122, v120
	v_dot4_i32_i8 v172, v143, v135, v132
	v_dot4_i32_i8 v173, v147, v131, v128
	v_dot4_i32_i8 v174, v151, v127, v124
	v_dot4_i32_i8 v175, v139, v123, v120
	ds_read_b128 v[120:123], v26 offset:80
	ds_read_b128 v[124:127], v26 offset:64
	ds_read_b128 v[128:131], v26 offset:112
	ds_read_b128 v[132:135], v26 offset:96
	ds_read2_b32 v[136:137], v30 offset0:30 offset1:31
	ds_read2_b32 v[138:139], v30 offset0:28 offset1:29
	ds_read2_b32 v[140:141], v30 offset0:22 offset1:23
	ds_read2_b32 v[142:143], v30 offset0:20 offset1:21
	ds_read2_b32 v[144:145], v30 offset0:18 offset1:19
	ds_read2_b32 v[146:147], v30 offset0:16 offset1:17
	ds_read2_b32 v[148:149], v30 offset0:26 offset1:27
	s_waitcnt lgkmcnt(5)
	v_dot4_i32_i8 v138, v138, v128, 0
	v_dot4_i32_i8 v138, v139, v129, v138
	;; [unrolled: 1-line block ×4, first 2 shown]
	s_waitcnt lgkmcnt(3)
	v_dot4_i32_i8 v136, v142, v120, 0
	v_dot4_i32_i8 v136, v143, v121, v136
	;; [unrolled: 1-line block ×4, first 2 shown]
	s_waitcnt lgkmcnt(1)
	v_dot4_i32_i8 v136, v146, v124, 0
	v_dot4_i32_i8 v136, v147, v125, v136
	;; [unrolled: 1-line block ×3, first 2 shown]
	v_add_u32_e32 v140, 0x61d0, v30
	v_add_u32_e32 v142, 0x61c8, v30
	;; [unrolled: 1-line block ×5, first 2 shown]
	v_dot4_i32_i8 v178, v145, v127, v136
	ds_read_b128 v[136:139], v1 offset:36944
	ds_read2_b32 v[140:141], v140 offset1:1
	ds_read2_b32 v[142:143], v142 offset1:1
	;; [unrolled: 1-line block ×5, first 2 shown]
	v_add_u32_e32 v154, 0x61e8, v30
	v_add_u32_e32 v156, 0x61e0, v30
	;; [unrolled: 1-line block ×3, first 2 shown]
	ds_read2_b32 v[154:155], v154 offset1:1
	ds_read2_b32 v[156:157], v156 offset1:1
	;; [unrolled: 1-line block ×3, first 2 shown]
	s_waitcnt lgkmcnt(3)
	v_dot4_i32_i8 v150, v150, v128, 0
	v_dot4_i32_i8 v150, v151, v129, v150
	;; [unrolled: 1-line block ×4, first 2 shown]
	s_waitcnt lgkmcnt(1)
	v_dot4_i32_i8 v146, v156, v132, 0
	v_dot4_i32_i8 v151, v157, v133, v146
	ds_read_b32 v179, v36 offset:256
	ds_read2_b32 v[146:147], v37 offset1:1
	v_dot4_i32_i8 v140, v140, v120, 0
	v_dot4_i32_i8 v140, v141, v121, v140
	;; [unrolled: 1-line block ×4, first 2 shown]
	s_waitcnt lgkmcnt(0)
	v_bfe_i32 v141, v146, 8, 8
	v_bfe_i32 v152, v147, 8, 8
	v_mul_lo_u32 v140, v140, v152
	v_mul_lo_u32 v141, v174, v141
	v_dot4_i32_i8 v144, v144, v124, 0
	v_dot4_i32_i8 v144, v145, v125, v144
	;; [unrolled: 1-line block ×4, first 2 shown]
	v_bfe_i32 v143, v147, 0, 8
	v_mad_u64_u32 v[142:143], s[4:5], v142, v143, v[140:141]
	v_bfe_i32 v144, v146, 0, 8
	v_add_u32_e32 v156, 0x20e0, v30
	v_mad_u64_u32 v[140:141], s[4:5], v175, v144, v[141:142]
	v_dot4_i32_i8 v141, v154, v134, v151
	v_dot4_i32_i8 v143, v155, v135, v141
	v_cvt_f32_i32_e32 v151, v140
	v_ashrrev_i32_e32 v140, 24, v147
	v_ashrrev_i32_e32 v141, 24, v146
	v_mul_lo_u32 v140, v150, v140
	v_mul_lo_u32 v141, v172, v141
	v_cvt_f32_i32_e32 v145, v142
	v_bfe_i32 v142, v147, 16, 8
	v_bfe_i32 v144, v146, 16, 8
	v_mad_u64_u32 v[142:143], s[4:5], v143, v142, v[140:141]
	v_fma_f32 v146, v136, v151, 0
	v_fma_f32 v172, v138, v145, 0
	v_mad_u64_u32 v[140:141], s[4:5], v173, v144, v[141:142]
	ds_read2_b32 v[143:144], v29 offset1:1
	v_cvt_f32_i32_e32 v142, v142
	v_cvt_f32_i32_e32 v147, v140
	ds_read2_b32 v[140:141], v30 offset0:24 offset1:25
	v_add_u32_e32 v150, 0x20f8, v30
	v_fmac_f32_e32 v172, v139, v142
	v_fmac_f32_e32 v146, v137, v147
	s_waitcnt lgkmcnt(1)
	v_bfe_i32 v142, v143, 0, 8
	s_waitcnt lgkmcnt(0)
	v_dot4_i32_i8 v140, v140, v132, 0
	v_dot4_i32_i8 v140, v141, v133, v140
	v_bfe_i32 v141, v143, 8, 8
	v_mul_lo_u32 v141, v162, v141
	v_dot4_i32_i8 v140, v148, v134, v140
	v_dot4_i32_i8 v147, v149, v135, v140
	v_bfe_i32 v140, v144, 8, 8
	v_mul_lo_u32 v140, v177, v140
	v_mad_u64_u32 v[141:142], s[4:5], v163, v142, v[141:142]
	v_bfe_i32 v145, v144, 0, 8
	v_fmac_f32_e32 v20, v118, v146
	v_mad_u64_u32 v[145:146], s[4:5], v178, v145, v[140:141]
	v_ashrrev_i32_e32 v140, 24, v144
	v_mul_lo_u32 v140, v176, v140
	v_bfe_i32 v148, v144, 16, 8
	v_ashrrev_i32_e32 v142, 24, v143
	v_bfe_i32 v146, v143, 16, 8
	v_mul_lo_u32 v142, v160, v142
	v_mad_u64_u32 v[143:144], s[4:5], v147, v148, v[140:141]
	v_cvt_f32_i32_e32 v140, v141
	v_cvt_f32_i32_e32 v141, v145
	v_mad_u64_u32 v[146:147], s[4:5], v161, v146, v[142:143]
	v_cvt_f32_i32_e32 v142, v143
	v_fma_f32 v144, v136, v140, 0
	v_cvt_f32_i32_e32 v143, v146
	v_fma_f32 v145, v138, v141, 0
	v_fmac_f32_e32 v145, v139, v142
	v_add_u32_e32 v146, 0x20c8, v30
	v_fmac_f32_e32 v144, v137, v143
	v_fmac_f32_e32 v22, v119, v144
	;; [unrolled: 1-line block ×3, first 2 shown]
	v_add_u32_e32 v119, 0x20d0, v30
	v_add_u32_e32 v148, 0x20c0, v30
	ds_read_b32 v162, v34 offset:128
	ds_read2_b32 v[140:141], v35 offset1:1
	ds_read2_b32 v[142:143], v33 offset1:1
	;; [unrolled: 1-line block ×6, first 2 shown]
	v_add_u32_e32 v119, 0x20f0, v30
	ds_read2_b32 v[152:153], v119 offset1:1
	v_add_u32_e32 v119, 0x20e8, v30
	v_add_u32_e32 v160, 0x4158, v30
	ds_read2_b32 v[154:155], v119 offset1:1
	ds_read2_b32 v[156:157], v156 offset1:1
	;; [unrolled: 1-line block ×3, first 2 shown]
	v_fmac_f32_e32 v20, v118, v172
	s_waitcnt lgkmcnt(3)
	v_dot4_i32_i8 v119, v152, v128, 0
	v_dot4_i32_i8 v119, v153, v129, v119
	;; [unrolled: 1-line block ×4, first 2 shown]
	s_waitcnt lgkmcnt(1)
	v_dot4_i32_i8 v119, v156, v132, 0
	v_dot4_i32_i8 v119, v157, v133, v119
	v_dot4_i32_i8 v119, v154, v134, v119
	v_dot4_i32_i8 v151, v155, v135, v119
	v_dot4_i32_i8 v119, v144, v120, 0
	v_dot4_i32_i8 v144, v148, v124, 0
	v_dot4_i32_i8 v144, v149, v125, v144
	v_dot4_i32_i8 v119, v145, v121, v119
	v_dot4_i32_i8 v144, v146, v126, v144
	v_dot4_i32_i8 v119, v158, v122, v119
	v_dot4_i32_i8 v146, v147, v127, v144
	v_bfe_i32 v144, v142, 8, 8
	v_dot4_i32_i8 v119, v159, v123, v119
	v_bfe_i32 v145, v143, 8, 8
	v_mul_lo_u32 v144, v166, v144
	v_mul_lo_u32 v119, v119, v145
	v_bfe_i32 v145, v142, 0, 8
	v_bfe_i32 v147, v143, 0, 8
	v_mad_u64_u32 v[144:145], s[4:5], v167, v145, v[144:145]
	v_bfe_i32 v148, v142, 16, 8
	v_ashrrev_i32_e32 v142, 24, v142
	v_mad_u64_u32 v[145:146], s[4:5], v146, v147, v[119:120]
	v_ashrrev_i32_e32 v119, 24, v143
	v_mul_lo_u32 v142, v164, v142
	v_mul_lo_u32 v119, v150, v119
	v_bfe_i32 v146, v143, 16, 8
	v_add_u32_e32 v154, 0x4160, v30
	v_mad_u64_u32 v[142:143], s[4:5], v165, v148, v[142:143]
	v_mad_u64_u32 v[146:147], s[4:5], v151, v146, v[119:120]
	v_cvt_f32_i32_e32 v119, v144
	v_cvt_f32_i32_e32 v143, v145
	;; [unrolled: 1-line block ×4, first 2 shown]
	v_fma_f32 v119, v136, v119, 0
	v_fma_f32 v143, v138, v143, 0
	v_fmac_f32_e32 v119, v137, v142
	v_fmac_f32_e32 v143, v139, v144
	;; [unrolled: 1-line block ×3, first 2 shown]
	v_add_u32_e32 v119, 0x4150, v30
	v_add_u32_e32 v144, 0x4148, v30
	;; [unrolled: 1-line block ×4, first 2 shown]
	v_fmac_f32_e32 v108, v162, v143
	ds_read2_b32 v[142:143], v119 offset1:1
	ds_read2_b32 v[144:145], v144 offset1:1
	;; [unrolled: 1-line block ×4, first 2 shown]
	v_add_u32_e32 v119, 0x4170, v30
	ds_read2_b32 v[150:151], v119 offset1:1
	v_add_u32_e32 v119, 0x4168, v30
	ds_read2_b32 v[152:153], v119 offset1:1
	ds_read2_b32 v[154:155], v154 offset1:1
	s_cmp_ge_i32 s10, s9
	s_waitcnt lgkmcnt(0)
	v_dot4_i32_i8 v119, v150, v128, 0
	v_dot4_i32_i8 v119, v151, v129, v119
	;; [unrolled: 1-line block ×15, first 2 shown]
	v_bfe_i32 v120, v140, 8, 8
	v_mul_lo_u32 v120, v170, v120
	v_dot4_i32_i8 v119, v161, v123, v119
	v_bfe_i32 v121, v141, 8, 8
	v_mul_lo_u32 v119, v119, v121
	v_bfe_i32 v121, v140, 0, 8
	v_mad_u64_u32 v[120:121], s[4:5], v171, v121, v[120:121]
	v_bfe_i32 v123, v141, 0, 8
	v_bfe_i32 v125, v140, 16, 8
	v_mad_u64_u32 v[121:122], s[4:5], v122, v123, v[119:120]
	v_ashrrev_i32_e32 v119, 24, v141
	v_mul_lo_u32 v119, v128, v119
	v_bfe_i32 v123, v141, 16, 8
	v_ashrrev_i32_e32 v122, 24, v140
	v_mul_lo_u32 v122, v168, v122
	v_mad_u64_u32 v[123:124], s[4:5], v129, v123, v[119:120]
	v_cvt_f32_i32_e32 v119, v120
	v_cvt_f32_i32_e32 v120, v121
	v_mad_u64_u32 v[124:125], s[4:5], v169, v125, v[122:123]
	v_cvt_f32_i32_e32 v121, v123
	v_fma_f32 v119, v136, v119, 0
	v_cvt_f32_i32_e32 v122, v124
	v_fma_f32 v120, v138, v120, 0
	v_fmac_f32_e32 v120, v139, v121
	s_barrier
	v_fmac_f32_e32 v119, v137, v122
	v_fmac_f32_e32 v105, v179, v119
	v_fmac_f32_e32 v105, v179, v120
	s_cbranch_scc1 .LBB216_5
; %bb.12:                               ;   in Loop: Header=BB216_6 Depth=1
	v_cmp_gt_i32_e32 vcc, s12, v32
	s_and_b64 s[24:25], s[2:3], vcc
	s_and_saveexec_b64 s[4:5], s[24:25]
	s_cbranch_execz .LBB216_14
; %bb.13:                               ;   in Loop: Header=BB216_6 Depth=1
	v_add_u32_e32 v118, v39, v32
	v_mad_i64_i32 v[118:119], s[24:25], v118, 36, v[18:19]
	global_load_dword v118, v[118:119], off offset:4
	s_waitcnt vmcnt(0)
	ds_write_b32 v27, v118
.LBB216_14:                             ;   in Loop: Header=BB216_6 Depth=1
	s_or_b64 exec, exec, s[4:5]
	s_and_saveexec_b64 s[4:5], s[0:1]
	s_cbranch_execz .LBB216_4
; %bb.15:                               ;   in Loop: Header=BB216_6 Depth=1
	v_add_u32_e32 v118, 4, v117
	v_cmp_gt_i32_e32 vcc, s12, v118
	s_and_b64 s[24:25], s[2:3], vcc
	s_and_b64 exec, exec, s[24:25]
	s_cbranch_execz .LBB216_4
; %bb.16:                               ;   in Loop: Header=BB216_6 Depth=1
	v_ashrrev_i32_e32 v118, 31, v117
	v_add_co_u32_e32 v119, vcc, v39, v117
	v_addc_co_u32_e32 v120, vcc, v40, v118, vcc
	v_mad_u64_u32 v[118:119], s[24:25], v119, 36, s[6:7]
	v_mad_i32_i24 v119, v120, 36, v119
	global_load_dword v118, v[118:119], off offset:144
	v_add_u32_e32 v119, v25, v1
	s_waitcnt vmcnt(0)
	v_cvt_f32_f16_e32 v118, v118
	ds_write_b32 v119, v118
	s_branch .LBB216_4
.LBB216_17:
	s_mul_i32 s0, s14, s11
	s_waitcnt vmcnt(0)
	v_cmp_gt_i32_e32 vcc, s0, v21
	s_and_saveexec_b64 s[0:1], vcc
	s_cbranch_execz .LBB216_26
; %bb.18:
	v_mul_lo_u32 v1, v21, s13
	v_add_u32_e32 v0, s15, v0
	v_cmp_gt_u32_e32 vcc, s13, v0
	s_and_saveexec_b64 s[0:1], vcc
	s_cbranch_execz .LBB216_20
; %bb.19:
	v_add_u32_e32 v2, v1, v0
	v_mov_b32_e32 v3, 0
	v_lshlrev_b64 v[2:3], 1, v[2:3]
	v_cvt_f16_f32_e32 v5, v22
	v_mov_b32_e32 v4, s17
	v_add_co_u32_e32 v2, vcc, s16, v2
	v_addc_co_u32_e32 v3, vcc, v4, v3, vcc
	global_store_short v[2:3], v5, off
.LBB216_20:
	s_or_b64 exec, exec, s[0:1]
	v_add_u32_e32 v2, 32, v0
	v_cmp_gt_u32_e32 vcc, s13, v2
	s_and_saveexec_b64 s[0:1], vcc
	s_cbranch_execz .LBB216_22
; %bb.21:
	v_add_u32_e32 v2, v1, v2
	v_mov_b32_e32 v3, 0
	v_lshlrev_b64 v[2:3], 1, v[2:3]
	v_cvt_f16_f32_e32 v5, v108
	v_mov_b32_e32 v4, s17
	v_add_co_u32_e32 v2, vcc, s16, v2
	v_addc_co_u32_e32 v3, vcc, v4, v3, vcc
	global_store_short v[2:3], v5, off
.LBB216_22:
	s_or_b64 exec, exec, s[0:1]
	v_add_u32_e32 v2, 64, v0
	v_cmp_gt_u32_e32 vcc, s13, v2
	s_and_saveexec_b64 s[0:1], vcc
	s_cbranch_execz .LBB216_24
; %bb.23:
	v_add_u32_e32 v2, v1, v2
	v_mov_b32_e32 v3, 0
	v_lshlrev_b64 v[2:3], 1, v[2:3]
	v_cvt_f16_f32_e32 v5, v105
	v_mov_b32_e32 v4, s17
	v_add_co_u32_e32 v2, vcc, s16, v2
	v_addc_co_u32_e32 v3, vcc, v4, v3, vcc
	global_store_short v[2:3], v5, off
.LBB216_24:
	s_or_b64 exec, exec, s[0:1]
	v_add_u32_e32 v0, 0x60, v0
	v_cmp_gt_u32_e32 vcc, s13, v0
	s_and_b64 exec, exec, vcc
	s_cbranch_execz .LBB216_26
; %bb.25:
	v_add_u32_e32 v0, v1, v0
	v_mov_b32_e32 v1, 0
	v_lshlrev_b64 v[0:1], 1, v[0:1]
	v_cvt_f16_f32_e32 v3, v20
	v_mov_b32_e32 v2, s17
	v_add_co_u32_e32 v0, vcc, s16, v0
	v_addc_co_u32_e32 v1, vcc, v2, v1, vcc
	global_store_short v[0:1], v3, off
.LBB216_26:
	s_endpgm
	.section	.rodata,"a",@progbits
	.p2align	6, 0x0
	.amdhsa_kernel _ZL8moe_q6_KIN3c104HalfELb1EEvPKvS3_PT_PKiS7_S7_iiiiiii
		.amdhsa_group_segment_fixed_size 37072
		.amdhsa_private_segment_fixed_size 0
		.amdhsa_kernarg_size 76
		.amdhsa_user_sgpr_count 6
		.amdhsa_user_sgpr_private_segment_buffer 1
		.amdhsa_user_sgpr_dispatch_ptr 0
		.amdhsa_user_sgpr_queue_ptr 0
		.amdhsa_user_sgpr_kernarg_segment_ptr 1
		.amdhsa_user_sgpr_dispatch_id 0
		.amdhsa_user_sgpr_flat_scratch_init 0
		.amdhsa_user_sgpr_private_segment_size 0
		.amdhsa_uses_dynamic_stack 0
		.amdhsa_system_sgpr_private_segment_wavefront_offset 0
		.amdhsa_system_sgpr_workgroup_id_x 1
		.amdhsa_system_sgpr_workgroup_id_y 1
		.amdhsa_system_sgpr_workgroup_id_z 0
		.amdhsa_system_sgpr_workgroup_info 0
		.amdhsa_system_vgpr_workitem_id 1
		.amdhsa_next_free_vgpr 180
		.amdhsa_next_free_sgpr 98
		.amdhsa_reserve_vcc 1
		.amdhsa_reserve_flat_scratch 0
		.amdhsa_float_round_mode_32 0
		.amdhsa_float_round_mode_16_64 0
		.amdhsa_float_denorm_mode_32 3
		.amdhsa_float_denorm_mode_16_64 3
		.amdhsa_dx10_clamp 1
		.amdhsa_ieee_mode 1
		.amdhsa_fp16_overflow 0
		.amdhsa_exception_fp_ieee_invalid_op 0
		.amdhsa_exception_fp_denorm_src 0
		.amdhsa_exception_fp_ieee_div_zero 0
		.amdhsa_exception_fp_ieee_overflow 0
		.amdhsa_exception_fp_ieee_underflow 0
		.amdhsa_exception_fp_ieee_inexact 0
		.amdhsa_exception_int_div_zero 0
	.end_amdhsa_kernel
	.section	.text._ZL8moe_q6_KIN3c104HalfELb1EEvPKvS3_PT_PKiS7_S7_iiiiiii,"axG",@progbits,_ZL8moe_q6_KIN3c104HalfELb1EEvPKvS3_PT_PKiS7_S7_iiiiiii,comdat
.Lfunc_end216:
	.size	_ZL8moe_q6_KIN3c104HalfELb1EEvPKvS3_PT_PKiS7_S7_iiiiiii, .Lfunc_end216-_ZL8moe_q6_KIN3c104HalfELb1EEvPKvS3_PT_PKiS7_S7_iiiiiii
                                        ; -- End function
	.set _ZL8moe_q6_KIN3c104HalfELb1EEvPKvS3_PT_PKiS7_S7_iiiiiii.num_vgpr, 180
	.set _ZL8moe_q6_KIN3c104HalfELb1EEvPKvS3_PT_PKiS7_S7_iiiiiii.num_agpr, 0
	.set _ZL8moe_q6_KIN3c104HalfELb1EEvPKvS3_PT_PKiS7_S7_iiiiiii.numbered_sgpr, 28
	.set _ZL8moe_q6_KIN3c104HalfELb1EEvPKvS3_PT_PKiS7_S7_iiiiiii.num_named_barrier, 0
	.set _ZL8moe_q6_KIN3c104HalfELb1EEvPKvS3_PT_PKiS7_S7_iiiiiii.private_seg_size, 0
	.set _ZL8moe_q6_KIN3c104HalfELb1EEvPKvS3_PT_PKiS7_S7_iiiiiii.uses_vcc, 1
	.set _ZL8moe_q6_KIN3c104HalfELb1EEvPKvS3_PT_PKiS7_S7_iiiiiii.uses_flat_scratch, 0
	.set _ZL8moe_q6_KIN3c104HalfELb1EEvPKvS3_PT_PKiS7_S7_iiiiiii.has_dyn_sized_stack, 0
	.set _ZL8moe_q6_KIN3c104HalfELb1EEvPKvS3_PT_PKiS7_S7_iiiiiii.has_recursion, 0
	.set _ZL8moe_q6_KIN3c104HalfELb1EEvPKvS3_PT_PKiS7_S7_iiiiiii.has_indirect_call, 0
	.section	.AMDGPU.csdata,"",@progbits
; Kernel info:
; codeLenInByte = 13132
; TotalNumSgprs: 32
; NumVgprs: 180
; ScratchSize: 0
; MemoryBound: 0
; FloatMode: 240
; IeeeMode: 1
; LDSByteSize: 37072 bytes/workgroup (compile time only)
; SGPRBlocks: 12
; VGPRBlocks: 44
; NumSGPRsForWavesPerEU: 102
; NumVGPRsForWavesPerEU: 180
; Occupancy: 1
; WaveLimiterHint : 1
; COMPUTE_PGM_RSRC2:SCRATCH_EN: 0
; COMPUTE_PGM_RSRC2:USER_SGPR: 6
; COMPUTE_PGM_RSRC2:TRAP_HANDLER: 0
; COMPUTE_PGM_RSRC2:TGID_X_EN: 1
; COMPUTE_PGM_RSRC2:TGID_Y_EN: 1
; COMPUTE_PGM_RSRC2:TGID_Z_EN: 0
; COMPUTE_PGM_RSRC2:TIDIG_COMP_CNT: 1
	.section	.text._ZL8moe_q4_0IN3c108BFloat16ELb0EEvPKvS3_PT_PKiS7_S7_iiiiiii,"axG",@progbits,_ZL8moe_q4_0IN3c108BFloat16ELb0EEvPKvS3_PT_PKiS7_S7_iiiiiii,comdat
	.globl	_ZL8moe_q4_0IN3c108BFloat16ELb0EEvPKvS3_PT_PKiS7_S7_iiiiiii ; -- Begin function _ZL8moe_q4_0IN3c108BFloat16ELb0EEvPKvS3_PT_PKiS7_S7_iiiiiii
	.p2align	8
	.type	_ZL8moe_q4_0IN3c108BFloat16ELb0EEvPKvS3_PT_PKiS7_S7_iiiiiii,@function
_ZL8moe_q4_0IN3c108BFloat16ELb0EEvPKvS3_PT_PKiS7_S7_iiiiiii: ; @_ZL8moe_q4_0IN3c108BFloat16ELb0EEvPKvS3_PT_PKiS7_S7_iiiiiii
; %bb.0:
	s_load_dwordx4 s[0:3], s[4:5], 0x18
	s_mov_b32 s8, s7
	s_mov_b32 s9, 0
	s_lshl_b64 s[10:11], s[8:9], 2
	s_waitcnt lgkmcnt(0)
	s_add_u32 s2, s2, s10
	s_addc_u32 s3, s3, s11
	s_load_dword s2, s[2:3], 0x0
	s_waitcnt lgkmcnt(0)
	s_cmpk_gt_u32 s2, 0xff
	s_cbranch_scc1 .LBB217_30
; %bb.1:
	s_load_dwordx2 s[10:11], s[4:5], 0x28
	s_lshl_b32 s3, s8, 3
	s_waitcnt lgkmcnt(0)
	s_load_dword s7, s[10:11], 0x0
	s_waitcnt lgkmcnt(0)
	s_cmp_gt_u32 s3, s7
	s_cbranch_scc1 .LBB217_30
; %bb.2:
	v_add_u32_e32 v2, s3, v1
	v_mov_b32_e32 v3, 0
	v_lshlrev_b64 v[4:5], 2, v[2:3]
	v_mov_b32_e32 v2, s1
	v_add_co_u32_e32 v4, vcc, s0, v4
	v_addc_co_u32_e32 v5, vcc, v2, v5, vcc
	global_load_dword v4, v[4:5], off
	s_load_dwordx2 s[14:15], s[4:5], 0x30
	s_load_dwordx2 s[12:13], s[4:5], 0x10
	s_load_dwordx4 s[8:11], s[4:5], 0x3c
	s_lshl_b32 s18, s6, 7
	v_mov_b32_e32 v46, v3
	s_waitcnt lgkmcnt(0)
	s_cmp_lt_i32 s15, 32
	v_mov_b32_e32 v49, v3
	v_mov_b32_e32 v5, v3
	s_cbranch_scc1 .LBB217_21
; %bb.3:
	s_load_dwordx4 s[4:7], s[4:5], 0x0
	s_ashr_i32 s0, s15, 31
	s_ashr_i32 s1, s9, 31
	s_lshr_b32 s0, s0, 27
	s_lshr_b32 s1, s1, 27
	s_add_i32 s0, s15, s0
	s_add_i32 s1, s9, s1
	s_mul_i32 s2, s2, s14
	s_ashr_i32 s19, s0, 5
	s_ashr_i32 s9, s1, 5
	;; [unrolled: 1-line block ×3, first 2 shown]
	s_waitcnt lgkmcnt(0)
	s_add_u32 s2, s4, s2
	s_mul_i32 s3, s19, s18
	v_mul_lo_u32 v8, s19, v1
	s_addc_u32 s1, s5, s1
	s_mul_hi_i32 s4, s3, 18
	s_mul_i32 s3, s3, 18
	s_add_u32 s14, s2, s3
	s_addc_u32 s20, s1, s4
	s_lshl_b32 s1, s19, 3
	v_add_u32_e32 v10, s1, v8
	v_add_u32_e32 v12, s1, v10
	;; [unrolled: 1-line block ×12, first 2 shown]
	v_lshrrev_b32_e32 v41, 3, v0
	v_add_u32_e32 v34, s1, v32
	v_lshl_add_u32 v3, v1, 2, v41
	v_add_u32_e32 v36, s1, v34
	v_and_b32_e32 v40, 7, v0
	v_add_u32_e32 v44, 32, v3
	v_add_u32_e32 v38, s1, v36
	v_lshlrev_b32_e32 v46, 2, v40
	s_movk_i32 s1, 0x4200
	v_and_b32_e32 v45, 0xffc, v44
	v_add3_u32 v66, v45, v46, s1
	v_add_u32_e32 v45, 64, v3
	v_mul_lo_u32 v42, s19, v3
	v_and_b32_e32 v43, 0x7fc, v3
	v_lshlrev_b32_e32 v65, 5, v3
	v_and_b32_e32 v47, 0xffc, v45
	v_add_u32_e32 v3, 0x60, v3
	v_add3_u32 v68, v47, v46, s1
	v_and_b32_e32 v47, 0xffc, v3
	s_abs_i32 s2, s11
	v_add3_u32 v49, v43, v46, s1
	v_add3_u32 v46, v47, v46, s1
	v_cvt_f32_u32_e32 v47, s2
	s_andn2_b32 s0, s0, 31
	v_add_u32_e32 v43, s0, v42
	v_lshlrev_b32_e32 v67, 5, v44
	v_rcp_iflag_f32_e32 v50, v47
	v_add_u32_e32 v44, s0, v43
	v_lshlrev_b32_e32 v69, 5, v45
	v_add_u32_e32 v45, s0, v44
	v_mul_f32_e32 v50, 0x4f7ffffe, v50
	v_cvt_u32_f32_e32 v52, v50
	s_sub_i32 s0, 0, s2
	v_lshlrev_b32_e32 v2, 2, v0
	s_movk_i32 s16, 0x84
	v_mul_lo_u32 v53, s0, v52
	v_mov_b32_e32 v47, 0x5280
	v_mov_b32_e32 v50, 0x5680
	v_mad_u32_u24 v9, v1, s16, v2
	v_lshl_add_u32 v47, v1, 7, v47
	v_lshl_add_u32 v50, v1, 4, v50
	v_mul_hi_u32 v1, v52, v53
	v_and_b32_e32 v7, 12, v2
	v_and_b32_e32 v55, 28, v2
	v_add_u32_e32 v51, v50, v2
	s_waitcnt vmcnt(0)
	v_sub_u32_e32 v2, 0, v4
	v_max_i32_e32 v2, v4, v2
	v_add_u32_e32 v1, v52, v1
	v_mul_hi_u32 v1, v2, v1
	v_xor_b32_e32 v59, s11, v4
	v_ashrrev_i32_e32 v59, 31, v59
	v_add_u32_e32 v58, 32, v0
	v_mul_lo_u32 v54, v1, s2
	v_add_u32_e32 v57, 64, v0
	v_add_u32_e32 v56, 0x60, v0
	v_lshrrev_b32_e32 v53, 3, v58
	v_sub_u32_e32 v2, v2, v54
	v_add_u32_e32 v54, 1, v1
	v_cmp_le_u32_e64 s[0:1], s2, v2
	v_cndmask_b32_e64 v1, v1, v54, s[0:1]
	v_subrev_u32_e32 v54, s2, v2
	v_cndmask_b32_e64 v2, v2, v54, s[0:1]
	v_add_u32_e32 v54, 1, v1
	v_cmp_le_u32_e64 s[0:1], s2, v2
	v_cndmask_b32_e64 v1, v1, v54, s[0:1]
	v_xor_b32_e32 v1, v1, v59
	v_sub_u32_e32 v1, v1, v59
	v_mul_lo_u32 v54, v1, s9
	v_lshlrev_b32_e32 v59, 5, v0
	v_and_b32_e32 v56, 0x1fc, v56
	v_and_b32_e32 v57, 0x1fc, v57
	;; [unrolled: 1-line block ×4, first 2 shown]
	v_lshlrev_b32_e32 v3, 5, v3
	v_and_b32_e32 v48, 31, v0
	v_cmp_gt_u32_e32 vcc, 4, v0
	v_cmp_gt_i32_e64 s[0:1], s8, v1
	v_mov_b32_e32 v2, s7
	v_add_co_u32_e64 v1, s[2:3], s6, v55
	v_add_u32_e32 v61, v59, v56
	v_add_u32_e32 v62, v59, v57
	v_add_u32_e32 v63, v59, v58
	v_add_u32_e32 v64, v59, v60
	v_lshrrev_b32_e32 v6, 2, v0
	v_mov_b32_e32 v5, 0
	v_add_u32_e32 v11, 0x420, v9
	v_add_u32_e32 v13, 0x840, v9
	;; [unrolled: 1-line block ×15, first 2 shown]
	v_lshl_or_b32 v48, v48, 2, v47
	v_mul_u32_u24_e32 v52, 0x84, v0
	s_mov_b32 s21, 0
	v_addc_co_u32_e64 v2, s[2:3], 0, v2, s[2:3]
	s_and_b64 s[4:5], vcc, s[0:1]
	v_ashrrev_i32_e32 v55, 31, v54
	v_add_u32_e32 v56, 0x4e00, v61
	v_add_u32_e32 v57, 0x4a00, v62
	;; [unrolled: 1-line block ×4, first 2 shown]
	v_mad_u32_u24 v60, v0, s16, 64
	v_add_u32_e32 v61, 0x4e10, v61
	v_add_u32_e32 v62, 0x4a10, v62
	;; [unrolled: 1-line block ×8, first 2 shown]
	v_mov_b32_e32 v49, 0
	v_mov_b32_e32 v46, 0
	;; [unrolled: 1-line block ×3, first 2 shown]
	s_branch .LBB217_5
.LBB217_4:                              ;   in Loop: Header=BB217_5 Depth=1
	s_add_i32 s21, s21, 8
	s_cmp_ge_i32 s21, s19
	s_cbranch_scc1 .LBB217_21
.LBB217_5:                              ; =>This Loop Header: Depth=1
                                        ;     Child Loop BB217_11 Depth 2
                                        ;     Child Loop BB217_19 Depth 2
	s_mul_i32 s3, s21, 18
	s_mul_hi_u32 s2, s21, 18
	s_add_u32 s16, s14, s3
	s_addc_u32 s17, s20, s2
	v_mad_u64_u32 v[69:70], s[2:3], v6, 18, s[16:17]
	v_mad_u64_u32 v[71:72], s[2:3], v8, 18, v[69:70]
	;; [unrolled: 1-line block ×3, first 2 shown]
	v_add_co_u32_e64 v71, s[2:3], v71, v7
	v_addc_co_u32_e64 v72, s[2:3], 0, v72, s[2:3]
	v_add_co_u32_e64 v73, s[2:3], v73, v7
	v_addc_co_u32_e64 v74, s[2:3], 0, v74, s[2:3]
	v_mad_u64_u32 v[75:76], s[2:3], v12, 18, v[69:70]
	v_mad_u64_u32 v[77:78], s[2:3], v14, 18, v[69:70]
	v_add_co_u32_e64 v75, s[2:3], v75, v7
	v_addc_co_u32_e64 v76, s[2:3], 0, v76, s[2:3]
	v_add_co_u32_e64 v77, s[2:3], v77, v7
	v_addc_co_u32_e64 v78, s[2:3], 0, v78, s[2:3]
	v_mad_u64_u32 v[79:80], s[2:3], v16, 18, v[69:70]
	v_mad_u64_u32 v[81:82], s[2:3], v18, 18, v[69:70]
	;; [unrolled: 6-line block ×3, first 2 shown]
	v_add_co_u32_e64 v83, s[2:3], v83, v7
	v_addc_co_u32_e64 v84, s[2:3], 0, v84, s[2:3]
	v_add_co_u32_e64 v85, s[2:3], v85, v7
	v_addc_co_u32_e64 v86, s[2:3], 0, v86, s[2:3]
	global_load_dword v87, v[71:72], off offset:2
	global_load_dword v88, v[73:74], off offset:2
	;; [unrolled: 1-line block ×8, first 2 shown]
	v_mad_u64_u32 v[71:72], s[2:3], v24, 18, v[69:70]
	v_mad_u64_u32 v[73:74], s[2:3], v26, 18, v[69:70]
	v_add_co_u32_e64 v71, s[2:3], v71, v7
	v_addc_co_u32_e64 v72, s[2:3], 0, v72, s[2:3]
	v_add_co_u32_e64 v73, s[2:3], v73, v7
	v_addc_co_u32_e64 v74, s[2:3], 0, v74, s[2:3]
	v_mad_u64_u32 v[75:76], s[2:3], v28, 18, v[69:70]
	v_mad_u64_u32 v[77:78], s[2:3], v30, 18, v[69:70]
	v_add_co_u32_e64 v75, s[2:3], v75, v7
	v_addc_co_u32_e64 v76, s[2:3], 0, v76, s[2:3]
	v_add_co_u32_e64 v77, s[2:3], v77, v7
	v_addc_co_u32_e64 v78, s[2:3], 0, v78, s[2:3]
	v_mad_u64_u32 v[79:80], s[2:3], v32, 18, v[69:70]
	v_mad_u64_u32 v[81:82], s[2:3], v34, 18, v[69:70]
	v_add_co_u32_e64 v79, s[2:3], v79, v7
	v_addc_co_u32_e64 v80, s[2:3], 0, v80, s[2:3]
	v_add_co_u32_e64 v81, s[2:3], v81, v7
	v_addc_co_u32_e64 v82, s[2:3], 0, v82, s[2:3]
	v_mad_u64_u32 v[83:84], s[2:3], v36, 18, v[69:70]
	v_mad_u64_u32 v[69:70], s[2:3], v38, 18, v[69:70]
	v_add_co_u32_e64 v83, s[2:3], v83, v7
	v_addc_co_u32_e64 v84, s[2:3], 0, v84, s[2:3]
	v_add_co_u32_e64 v69, s[2:3], v69, v7
	v_addc_co_u32_e64 v70, s[2:3], 0, v70, s[2:3]
	v_mad_u64_u32 v[85:86], s[2:3], v40, 18, s[16:17]
	global_load_dword v95, v[71:72], off offset:2
	global_load_dword v96, v[73:74], off offset:2
	s_nop 0
	global_load_dword v75, v[75:76], off offset:2
	s_nop 0
	;; [unrolled: 2-line block ×3, first 2 shown]
	global_load_dword v77, v[79:80], off offset:2
	global_load_dword v78, v[81:82], off offset:2
	s_nop 0
	global_load_dword v79, v[83:84], off offset:2
	global_load_dword v80, v[69:70], off offset:2
	s_lshl_b32 s16, s21, 5
	v_mad_u64_u32 v[69:70], s[2:3], v42, 18, v[85:86]
	v_mad_u64_u32 v[71:72], s[2:3], v43, 18, v[85:86]
	;; [unrolled: 1-line block ×3, first 2 shown]
	global_load_ushort v81, v[69:70], off
	s_nop 0
	global_load_ushort v71, v[71:72], off
	v_mad_u64_u32 v[69:70], s[2:3], v45, 18, v[85:86]
	global_load_ushort v72, v[73:74], off
	s_nop 0
	global_load_ushort v69, v[69:70], off
	s_cmp_lt_i32 s16, s15
	s_waitcnt vmcnt(19)
	ds_write_b32 v9, v87
	s_waitcnt vmcnt(18)
	ds_write_b32 v11, v88
	;; [unrolled: 2-line block ×16, first 2 shown]
	s_waitcnt vmcnt(3)
	v_cvt_f32_f16_e32 v70, v81
	s_waitcnt vmcnt(2)
	v_cvt_f32_f16_e32 v71, v71
	ds_write_b32 v65, v70
	ds_write_b32 v66, v71
	s_waitcnt vmcnt(1)
	v_cvt_f32_f16_e32 v72, v72
	s_waitcnt vmcnt(0)
	v_cvt_f32_f16_e32 v69, v69
	ds_write_b32 v67, v72
	ds_write_b32 v68, v69
	s_cbranch_scc0 .LBB217_4
; %bb.6:                                ;   in Loop: Header=BB217_5 Depth=1
	v_add_u32_e32 v69, s21, v41
	v_cmp_gt_i32_e64 s[2:3], s9, v69
	s_and_b64 s[22:23], s[0:1], s[2:3]
	s_and_saveexec_b64 s[2:3], s[22:23]
	s_cbranch_execz .LBB217_8
; %bb.7:                                ;   in Loop: Header=BB217_5 Depth=1
	v_add_u32_e32 v69, v54, v69
	v_mad_i64_i32 v[69:70], s[22:23], v69, 36, v[1:2]
	global_load_dword v69, v[69:70], off offset:4
	s_waitcnt vmcnt(0)
	ds_write_b32 v48, v69
.LBB217_8:                              ;   in Loop: Header=BB217_5 Depth=1
	s_or_b64 exec, exec, s[2:3]
	v_add_u32_e32 v69, s21, v0
	v_cmp_gt_i32_e64 s[2:3], s9, v69
	s_and_b64 s[22:23], s[4:5], s[2:3]
	s_and_saveexec_b64 s[2:3], s[22:23]
	s_cbranch_execz .LBB217_10
; %bb.9:                                ;   in Loop: Header=BB217_5 Depth=1
	v_add_u32_e32 v70, v54, v69
	v_mad_i64_i32 v[70:71], s[22:23], v70, 36, s[6:7]
	global_load_dword v70, v[70:71], off
	s_waitcnt vmcnt(0)
	ds_write_b32 v51, v70
.LBB217_10:                             ;   in Loop: Header=BB217_5 Depth=1
	s_or_b64 exec, exec, s[2:3]
	s_mov_b32 s2, -4
	v_mov_b32_e32 v70, v47
	v_mov_b32_e32 v71, v50
	;; [unrolled: 1-line block ×7, first 2 shown]
	s_waitcnt lgkmcnt(0)
	s_barrier
.LBB217_11:                             ;   Parent Loop BB217_5 Depth=1
                                        ; =>  This Inner Loop Header: Depth=2
	v_add_u32_e32 v89, 0x1080, v76
	v_add_u32_e32 v91, 0x1088, v76
	;; [unrolled: 1-line block ×6, first 2 shown]
	ds_read_b128 v[77:80], v70
	ds_read_b128 v[81:84], v70 offset:16
	ds_read2_b32 v[85:86], v76 offset0:2 offset1:3
	ds_read_b32 v101, v71
	ds_read_b32 v102, v72
	ds_read2_b32 v[87:88], v76 offset1:1
	ds_read_b32 v103, v73
	ds_read_b32 v104, v74
	;; [unrolled: 1-line block ×3, first 2 shown]
	ds_read2_b32 v[89:90], v89 offset1:1
	ds_read2_b32 v[91:92], v91 offset1:1
	;; [unrolled: 1-line block ×6, first 2 shown]
	s_waitcnt lgkmcnt(9)
	v_and_b32_e32 v107, 0xf0f0f0f, v87
	v_lshrrev_b32_e32 v87, 4, v87
	v_and_b32_e32 v87, 0xf0f0f0f, v87
	v_dot4_i32_i8 v107, v107, v77, 0
	s_waitcnt lgkmcnt(5)
	v_and_b32_e32 v111, 0xf0f0f0f, v89
	v_lshrrev_b32_e32 v89, 4, v89
	s_waitcnt lgkmcnt(3)
	v_and_b32_e32 v115, 0xf0f0f0f, v93
	v_lshrrev_b32_e32 v93, 4, v93
	;; [unrolled: 3-line block ×3, first 2 shown]
	v_and_b32_e32 v108, 0xf0f0f0f, v88
	v_lshrrev_b32_e32 v88, 4, v88
	v_dot4_i32_i8 v87, v87, v81, v107
	v_and_b32_e32 v89, 0xf0f0f0f, v89
	v_dot4_i32_i8 v107, v111, v77, 0
	v_and_b32_e32 v93, 0xf0f0f0f, v93
	;; [unrolled: 2-line block ×4, first 2 shown]
	v_and_b32_e32 v112, 0xf0f0f0f, v90
	v_lshrrev_b32_e32 v90, 4, v90
	v_and_b32_e32 v116, 0xf0f0f0f, v94
	v_lshrrev_b32_e32 v94, 4, v94
	;; [unrolled: 2-line block ×3, first 2 shown]
	v_dot4_i32_i8 v87, v108, v78, v87
	v_dot4_i32_i8 v89, v89, v81, v107
	;; [unrolled: 1-line block ×4, first 2 shown]
	v_and_b32_e32 v109, 0xf0f0f0f, v85
	v_lshrrev_b32_e32 v85, 4, v85
	v_and_b32_e32 v90, 0xf0f0f0f, v90
	v_and_b32_e32 v94, 0xf0f0f0f, v94
	;; [unrolled: 1-line block ×3, first 2 shown]
	v_dot4_i32_i8 v87, v88, v82, v87
	v_dot4_i32_i8 v88, v112, v78, v89
	;; [unrolled: 1-line block ×4, first 2 shown]
	v_and_b32_e32 v85, 0xf0f0f0f, v85
	v_and_b32_e32 v113, 0xf0f0f0f, v91
	v_lshrrev_b32_e32 v91, 4, v91
	v_and_b32_e32 v117, 0xf0f0f0f, v95
	v_lshrrev_b32_e32 v95, 4, v95
	s_waitcnt lgkmcnt(0)
	v_and_b32_e32 v121, 0xf0f0f0f, v99
	v_lshrrev_b32_e32 v99, 4, v99
	v_dot4_i32_i8 v78, v109, v79, v87
	v_dot4_i32_i8 v87, v90, v82, v88
	;; [unrolled: 1-line block ×4, first 2 shown]
	v_and_b32_e32 v110, 0xf0f0f0f, v86
	v_lshrrev_b32_e32 v86, 4, v86
	v_and_b32_e32 v91, 0xf0f0f0f, v91
	v_and_b32_e32 v95, 0xf0f0f0f, v95
	;; [unrolled: 1-line block ×3, first 2 shown]
	v_dot4_i32_i8 v78, v85, v83, v78
	v_dot4_i32_i8 v82, v113, v79, v87
	;; [unrolled: 1-line block ×4, first 2 shown]
	v_and_b32_e32 v86, 0xf0f0f0f, v86
	v_and_b32_e32 v114, 0xf0f0f0f, v92
	v_lshrrev_b32_e32 v92, 4, v92
	v_and_b32_e32 v118, 0xf0f0f0f, v96
	v_lshrrev_b32_e32 v96, 4, v96
	v_and_b32_e32 v122, 0xf0f0f0f, v100
	v_lshrrev_b32_e32 v100, 4, v100
	v_dot4_i32_i8 v78, v110, v80, v78
	v_dot4_i32_i8 v79, v91, v83, v82
	;; [unrolled: 1-line block ×4, first 2 shown]
	v_cvt_f32_f16_sdwa v106, v101 dst_sel:DWORD dst_unused:UNUSED_PAD src0_sel:WORD_1
	v_and_b32_e32 v92, 0xf0f0f0f, v92
	v_and_b32_e32 v96, 0xf0f0f0f, v96
	;; [unrolled: 1-line block ×3, first 2 shown]
	v_dot4_i32_i8 v78, v86, v84, v78
	v_dot4_i32_i8 v79, v114, v80, v79
	;; [unrolled: 1-line block ×4, first 2 shown]
	v_cvt_f32_i32_e32 v78, v78
	v_dot4_i32_i8 v79, v92, v84, v79
	v_dot4_i32_i8 v80, v96, v84, v82
	;; [unrolled: 1-line block ×3, first 2 shown]
	v_cvt_f32_i32_e32 v79, v79
	v_cvt_f32_i32_e32 v80, v80
	;; [unrolled: 1-line block ×3, first 2 shown]
	v_mul_f32_e32 v81, 0xc1000000, v106
	v_fma_mix_f32 v78, v101, v78, v81 op_sel_hi:[1,0,0]
	s_add_i32 s2, s2, 4
	v_fmac_f32_e32 v5, v102, v78
	v_fma_mix_f32 v78, v101, v79, v81 op_sel_hi:[1,0,0]
	v_fma_mix_f32 v79, v101, v80, v81 op_sel_hi:[1,0,0]
	;; [unrolled: 1-line block ×3, first 2 shown]
	v_add_u32_e32 v76, 16, v76
	v_add_u32_e32 v75, 4, v75
	;; [unrolled: 1-line block ×7, first 2 shown]
	s_cmp_lt_u32 s2, 12
	v_fmac_f32_e32 v49, v103, v78
	v_fmac_f32_e32 v46, v104, v79
	;; [unrolled: 1-line block ×3, first 2 shown]
	s_cbranch_scc1 .LBB217_11
; %bb.12:                               ;   in Loop: Header=BB217_5 Depth=1
	s_bitset1_b32 s16, 7
	s_cmp_ge_i32 s16, s15
	s_barrier
	s_cbranch_scc1 .LBB217_4
; %bb.13:                               ;   in Loop: Header=BB217_5 Depth=1
	v_add_u32_e32 v70, s21, v53
	v_cmp_gt_i32_e64 s[2:3], s9, v70
	s_and_b64 s[16:17], s[0:1], s[2:3]
	s_and_saveexec_b64 s[2:3], s[16:17]
	s_cbranch_execz .LBB217_15
; %bb.14:                               ;   in Loop: Header=BB217_5 Depth=1
	v_add_u32_e32 v70, v54, v70
	v_mad_i64_i32 v[70:71], s[16:17], v70, 36, v[1:2]
	global_load_dword v70, v[70:71], off offset:4
	s_waitcnt vmcnt(0)
	ds_write_b32 v48, v70
.LBB217_15:                             ;   in Loop: Header=BB217_5 Depth=1
	s_or_b64 exec, exec, s[2:3]
	s_and_saveexec_b64 s[16:17], vcc
	s_cbranch_execz .LBB217_18
; %bb.16:                               ;   in Loop: Header=BB217_5 Depth=1
	v_or_b32_e32 v70, 4, v69
	v_cmp_gt_i32_e64 s[2:3], s9, v70
	s_and_b64 s[2:3], s[0:1], s[2:3]
	s_and_b64 exec, exec, s[2:3]
	s_cbranch_execz .LBB217_18
; %bb.17:                               ;   in Loop: Header=BB217_5 Depth=1
	v_ashrrev_i32_e32 v70, 31, v69
	v_add_co_u32_e64 v69, s[2:3], v54, v69
	v_addc_co_u32_e64 v71, s[2:3], v55, v70, s[2:3]
	v_mad_u64_u32 v[69:70], s[2:3], v69, 36, s[6:7]
	v_mad_i32_i24 v70, v71, 36, v70
	global_load_dword v69, v[69:70], off offset:144
	s_waitcnt vmcnt(0)
	ds_write_b32 v51, v69
.LBB217_18:                             ;   in Loop: Header=BB217_5 Depth=1
	s_or_b64 exec, exec, s[16:17]
	s_mov_b32 s2, 12
	v_mov_b32_e32 v69, v50
	v_mov_b32_e32 v70, v47
	v_mov_b32_e32 v71, v64
	v_mov_b32_e32 v72, v63
	v_mov_b32_e32 v73, v62
	v_mov_b32_e32 v74, v61
	v_mov_b32_e32 v75, v60
	s_waitcnt lgkmcnt(0)
	s_barrier
.LBB217_19:                             ;   Parent Loop BB217_5 Depth=1
                                        ; =>  This Inner Loop Header: Depth=2
	v_add_u32_e32 v88, 0x1080, v75
	v_add_u32_e32 v90, 0x1088, v75
	;; [unrolled: 1-line block ×6, first 2 shown]
	ds_read_b128 v[76:79], v70
	ds_read_b128 v[80:83], v70 offset:16
	ds_read_b32 v100, v69
	ds_read2_b32 v[84:85], v75 offset0:2 offset1:3
	ds_read_b32 v101, v71
	ds_read2_b32 v[86:87], v75 offset1:1
	ds_read_b32 v102, v72
	ds_read_b32 v103, v73
	;; [unrolled: 1-line block ×3, first 2 shown]
	ds_read2_b32 v[88:89], v88 offset1:1
	ds_read2_b32 v[90:91], v90 offset1:1
	;; [unrolled: 1-line block ×6, first 2 shown]
	s_waitcnt lgkmcnt(9)
	v_and_b32_e32 v106, 0xf0f0f0f, v86
	v_lshrrev_b32_e32 v86, 4, v86
	v_and_b32_e32 v86, 0xf0f0f0f, v86
	v_dot4_i32_i8 v106, v106, v76, 0
	s_waitcnt lgkmcnt(5)
	v_and_b32_e32 v110, 0xf0f0f0f, v88
	v_lshrrev_b32_e32 v88, 4, v88
	s_waitcnt lgkmcnt(3)
	v_and_b32_e32 v114, 0xf0f0f0f, v92
	v_lshrrev_b32_e32 v92, 4, v92
	;; [unrolled: 3-line block ×3, first 2 shown]
	v_and_b32_e32 v107, 0xf0f0f0f, v87
	v_lshrrev_b32_e32 v87, 4, v87
	v_dot4_i32_i8 v86, v86, v80, v106
	v_and_b32_e32 v88, 0xf0f0f0f, v88
	v_dot4_i32_i8 v106, v110, v76, 0
	v_and_b32_e32 v92, 0xf0f0f0f, v92
	;; [unrolled: 2-line block ×4, first 2 shown]
	v_and_b32_e32 v111, 0xf0f0f0f, v89
	v_lshrrev_b32_e32 v89, 4, v89
	v_and_b32_e32 v115, 0xf0f0f0f, v93
	v_lshrrev_b32_e32 v93, 4, v93
	;; [unrolled: 2-line block ×3, first 2 shown]
	v_dot4_i32_i8 v86, v107, v77, v86
	v_dot4_i32_i8 v88, v88, v80, v106
	;; [unrolled: 1-line block ×4, first 2 shown]
	v_and_b32_e32 v108, 0xf0f0f0f, v84
	v_lshrrev_b32_e32 v84, 4, v84
	v_and_b32_e32 v89, 0xf0f0f0f, v89
	v_and_b32_e32 v93, 0xf0f0f0f, v93
	;; [unrolled: 1-line block ×3, first 2 shown]
	v_dot4_i32_i8 v86, v87, v81, v86
	v_dot4_i32_i8 v87, v111, v77, v88
	;; [unrolled: 1-line block ×4, first 2 shown]
	v_and_b32_e32 v84, 0xf0f0f0f, v84
	v_and_b32_e32 v112, 0xf0f0f0f, v90
	v_lshrrev_b32_e32 v90, 4, v90
	v_and_b32_e32 v116, 0xf0f0f0f, v94
	v_lshrrev_b32_e32 v94, 4, v94
	s_waitcnt lgkmcnt(0)
	v_and_b32_e32 v120, 0xf0f0f0f, v98
	v_lshrrev_b32_e32 v98, 4, v98
	v_dot4_i32_i8 v77, v108, v78, v86
	v_dot4_i32_i8 v86, v89, v81, v87
	v_dot4_i32_i8 v87, v93, v81, v88
	v_dot4_i32_i8 v76, v97, v81, v76
	v_and_b32_e32 v109, 0xf0f0f0f, v85
	v_lshrrev_b32_e32 v85, 4, v85
	v_and_b32_e32 v90, 0xf0f0f0f, v90
	v_and_b32_e32 v94, 0xf0f0f0f, v94
	;; [unrolled: 1-line block ×3, first 2 shown]
	v_dot4_i32_i8 v77, v84, v82, v77
	v_dot4_i32_i8 v81, v112, v78, v86
	;; [unrolled: 1-line block ×4, first 2 shown]
	v_and_b32_e32 v85, 0xf0f0f0f, v85
	v_and_b32_e32 v113, 0xf0f0f0f, v91
	v_lshrrev_b32_e32 v91, 4, v91
	v_and_b32_e32 v117, 0xf0f0f0f, v95
	v_lshrrev_b32_e32 v95, 4, v95
	v_and_b32_e32 v121, 0xf0f0f0f, v99
	v_lshrrev_b32_e32 v99, 4, v99
	v_dot4_i32_i8 v77, v109, v79, v77
	v_dot4_i32_i8 v78, v90, v82, v81
	;; [unrolled: 1-line block ×4, first 2 shown]
	v_cvt_f32_f16_sdwa v105, v100 dst_sel:DWORD dst_unused:UNUSED_PAD src0_sel:WORD_1
	v_and_b32_e32 v91, 0xf0f0f0f, v91
	v_and_b32_e32 v95, 0xf0f0f0f, v95
	;; [unrolled: 1-line block ×3, first 2 shown]
	v_dot4_i32_i8 v77, v85, v83, v77
	v_dot4_i32_i8 v78, v113, v79, v78
	;; [unrolled: 1-line block ×4, first 2 shown]
	v_cvt_f32_i32_e32 v77, v77
	v_dot4_i32_i8 v78, v91, v83, v78
	v_dot4_i32_i8 v79, v95, v83, v81
	;; [unrolled: 1-line block ×3, first 2 shown]
	v_cvt_f32_i32_e32 v78, v78
	v_cvt_f32_i32_e32 v79, v79
	;; [unrolled: 1-line block ×3, first 2 shown]
	v_mul_f32_e32 v80, 0xc1000000, v105
	v_fma_mix_f32 v77, v100, v77, v80 op_sel_hi:[1,0,0]
	s_add_i32 s2, s2, 4
	v_fmac_f32_e32 v5, v101, v77
	v_fma_mix_f32 v77, v100, v78, v80 op_sel_hi:[1,0,0]
	v_fma_mix_f32 v78, v100, v79, v80 op_sel_hi:[1,0,0]
	;; [unrolled: 1-line block ×3, first 2 shown]
	v_add_u32_e32 v75, 16, v75
	v_add_u32_e32 v74, 4, v74
	;; [unrolled: 1-line block ×7, first 2 shown]
	s_cmp_lt_u32 s2, 28
	v_fmac_f32_e32 v49, v102, v77
	v_fmac_f32_e32 v46, v103, v78
	;; [unrolled: 1-line block ×3, first 2 shown]
	s_cbranch_scc1 .LBB217_19
; %bb.20:                               ;   in Loop: Header=BB217_5 Depth=1
	s_barrier
	s_branch .LBB217_4
.LBB217_21:
	s_mul_i32 s0, s11, s8
	s_waitcnt vmcnt(0)
	v_cmp_gt_i32_e32 vcc, s0, v4
	s_and_saveexec_b64 s[0:1], vcc
	s_cbranch_execz .LBB217_30
; %bb.22:
	v_mul_lo_u32 v1, v4, s10
	v_add_u32_e32 v0, s18, v0
	v_cmp_gt_u32_e32 vcc, s10, v0
	s_and_saveexec_b64 s[0:1], vcc
	s_cbranch_execz .LBB217_24
; %bb.23:
	v_bfe_u32 v2, v5, 16, 1
	s_movk_i32 s2, 0x7fff
	v_add3_u32 v2, v5, v2, s2
	v_cmp_o_f32_e32 vcc, v5, v5
	v_mov_b32_e32 v4, 0x7fc0
	v_cndmask_b32_sdwa v2, v4, v2, vcc dst_sel:DWORD dst_unused:UNUSED_PAD src0_sel:DWORD src1_sel:WORD_1
	v_add_u32_e32 v4, v1, v0
	v_mov_b32_e32 v5, 0
	v_lshlrev_b64 v[4:5], 1, v[4:5]
	v_mov_b32_e32 v6, s13
	v_add_co_u32_e32 v4, vcc, s12, v4
	v_addc_co_u32_e32 v5, vcc, v6, v5, vcc
	global_store_short v[4:5], v2, off
.LBB217_24:
	s_or_b64 exec, exec, s[0:1]
	v_add_u32_e32 v2, 32, v0
	v_cmp_gt_u32_e32 vcc, s10, v2
	s_and_saveexec_b64 s[0:1], vcc
	s_cbranch_execz .LBB217_26
; %bb.25:
	v_bfe_u32 v4, v49, 16, 1
	s_movk_i32 s2, 0x7fff
	v_add3_u32 v4, v49, v4, s2
	v_cmp_o_f32_e32 vcc, v49, v49
	v_mov_b32_e32 v5, 0x7fc0
	v_cndmask_b32_sdwa v6, v5, v4, vcc dst_sel:DWORD dst_unused:UNUSED_PAD src0_sel:DWORD src1_sel:WORD_1
	v_add_u32_e32 v4, v1, v2
	v_mov_b32_e32 v5, 0
	v_lshlrev_b64 v[4:5], 1, v[4:5]
	v_mov_b32_e32 v2, s13
	v_add_co_u32_e32 v4, vcc, s12, v4
	v_addc_co_u32_e32 v5, vcc, v2, v5, vcc
	global_store_short v[4:5], v6, off
.LBB217_26:
	s_or_b64 exec, exec, s[0:1]
	;; [unrolled: 20-line block ×3, first 2 shown]
	v_add_u32_e32 v0, 0x60, v0
	v_cmp_gt_u32_e32 vcc, s10, v0
	s_and_b64 exec, exec, vcc
	s_cbranch_execz .LBB217_30
; %bb.29:
	v_add_u32_e32 v0, v1, v0
	v_mov_b32_e32 v1, 0
	v_bfe_u32 v2, v3, 16, 1
	s_movk_i32 s0, 0x7fff
	v_lshlrev_b64 v[0:1], 1, v[0:1]
	v_add3_u32 v2, v3, v2, s0
	v_cmp_o_f32_e32 vcc, v3, v3
	v_mov_b32_e32 v3, 0x7fc0
	v_cndmask_b32_sdwa v2, v3, v2, vcc dst_sel:DWORD dst_unused:UNUSED_PAD src0_sel:DWORD src1_sel:WORD_1
	v_mov_b32_e32 v3, s13
	v_add_co_u32_e32 v0, vcc, s12, v0
	v_addc_co_u32_e32 v1, vcc, v3, v1, vcc
	global_store_short v[0:1], v2, off
.LBB217_30:
	s_endpgm
	.section	.rodata,"a",@progbits
	.p2align	6, 0x0
	.amdhsa_kernel _ZL8moe_q4_0IN3c108BFloat16ELb0EEvPKvS3_PT_PKiS7_S7_iiiiiii
		.amdhsa_group_segment_fixed_size 22272
		.amdhsa_private_segment_fixed_size 0
		.amdhsa_kernarg_size 76
		.amdhsa_user_sgpr_count 6
		.amdhsa_user_sgpr_private_segment_buffer 1
		.amdhsa_user_sgpr_dispatch_ptr 0
		.amdhsa_user_sgpr_queue_ptr 0
		.amdhsa_user_sgpr_kernarg_segment_ptr 1
		.amdhsa_user_sgpr_dispatch_id 0
		.amdhsa_user_sgpr_flat_scratch_init 0
		.amdhsa_user_sgpr_private_segment_size 0
		.amdhsa_uses_dynamic_stack 0
		.amdhsa_system_sgpr_private_segment_wavefront_offset 0
		.amdhsa_system_sgpr_workgroup_id_x 1
		.amdhsa_system_sgpr_workgroup_id_y 1
		.amdhsa_system_sgpr_workgroup_id_z 0
		.amdhsa_system_sgpr_workgroup_info 0
		.amdhsa_system_vgpr_workitem_id 1
		.amdhsa_next_free_vgpr 123
		.amdhsa_next_free_sgpr 98
		.amdhsa_reserve_vcc 1
		.amdhsa_reserve_flat_scratch 0
		.amdhsa_float_round_mode_32 0
		.amdhsa_float_round_mode_16_64 0
		.amdhsa_float_denorm_mode_32 3
		.amdhsa_float_denorm_mode_16_64 3
		.amdhsa_dx10_clamp 1
		.amdhsa_ieee_mode 1
		.amdhsa_fp16_overflow 0
		.amdhsa_exception_fp_ieee_invalid_op 0
		.amdhsa_exception_fp_denorm_src 0
		.amdhsa_exception_fp_ieee_div_zero 0
		.amdhsa_exception_fp_ieee_overflow 0
		.amdhsa_exception_fp_ieee_underflow 0
		.amdhsa_exception_fp_ieee_inexact 0
		.amdhsa_exception_int_div_zero 0
	.end_amdhsa_kernel
	.section	.text._ZL8moe_q4_0IN3c108BFloat16ELb0EEvPKvS3_PT_PKiS7_S7_iiiiiii,"axG",@progbits,_ZL8moe_q4_0IN3c108BFloat16ELb0EEvPKvS3_PT_PKiS7_S7_iiiiiii,comdat
.Lfunc_end217:
	.size	_ZL8moe_q4_0IN3c108BFloat16ELb0EEvPKvS3_PT_PKiS7_S7_iiiiiii, .Lfunc_end217-_ZL8moe_q4_0IN3c108BFloat16ELb0EEvPKvS3_PT_PKiS7_S7_iiiiiii
                                        ; -- End function
	.set _ZL8moe_q4_0IN3c108BFloat16ELb0EEvPKvS3_PT_PKiS7_S7_iiiiiii.num_vgpr, 123
	.set _ZL8moe_q4_0IN3c108BFloat16ELb0EEvPKvS3_PT_PKiS7_S7_iiiiiii.num_agpr, 0
	.set _ZL8moe_q4_0IN3c108BFloat16ELb0EEvPKvS3_PT_PKiS7_S7_iiiiiii.numbered_sgpr, 24
	.set _ZL8moe_q4_0IN3c108BFloat16ELb0EEvPKvS3_PT_PKiS7_S7_iiiiiii.num_named_barrier, 0
	.set _ZL8moe_q4_0IN3c108BFloat16ELb0EEvPKvS3_PT_PKiS7_S7_iiiiiii.private_seg_size, 0
	.set _ZL8moe_q4_0IN3c108BFloat16ELb0EEvPKvS3_PT_PKiS7_S7_iiiiiii.uses_vcc, 1
	.set _ZL8moe_q4_0IN3c108BFloat16ELb0EEvPKvS3_PT_PKiS7_S7_iiiiiii.uses_flat_scratch, 0
	.set _ZL8moe_q4_0IN3c108BFloat16ELb0EEvPKvS3_PT_PKiS7_S7_iiiiiii.has_dyn_sized_stack, 0
	.set _ZL8moe_q4_0IN3c108BFloat16ELb0EEvPKvS3_PT_PKiS7_S7_iiiiiii.has_recursion, 0
	.set _ZL8moe_q4_0IN3c108BFloat16ELb0EEvPKvS3_PT_PKiS7_S7_iiiiiii.has_indirect_call, 0
	.section	.AMDGPU.csdata,"",@progbits
; Kernel info:
; codeLenInByte = 4528
; TotalNumSgprs: 28
; NumVgprs: 123
; ScratchSize: 0
; MemoryBound: 0
; FloatMode: 240
; IeeeMode: 1
; LDSByteSize: 22272 bytes/workgroup (compile time only)
; SGPRBlocks: 12
; VGPRBlocks: 30
; NumSGPRsForWavesPerEU: 102
; NumVGPRsForWavesPerEU: 123
; Occupancy: 2
; WaveLimiterHint : 1
; COMPUTE_PGM_RSRC2:SCRATCH_EN: 0
; COMPUTE_PGM_RSRC2:USER_SGPR: 6
; COMPUTE_PGM_RSRC2:TRAP_HANDLER: 0
; COMPUTE_PGM_RSRC2:TGID_X_EN: 1
; COMPUTE_PGM_RSRC2:TGID_Y_EN: 1
; COMPUTE_PGM_RSRC2:TGID_Z_EN: 0
; COMPUTE_PGM_RSRC2:TIDIG_COMP_CNT: 1
	.section	.text._ZL8moe_q4_0IN3c108BFloat16ELb1EEvPKvS3_PT_PKiS7_S7_iiiiiii,"axG",@progbits,_ZL8moe_q4_0IN3c108BFloat16ELb1EEvPKvS3_PT_PKiS7_S7_iiiiiii,comdat
	.globl	_ZL8moe_q4_0IN3c108BFloat16ELb1EEvPKvS3_PT_PKiS7_S7_iiiiiii ; -- Begin function _ZL8moe_q4_0IN3c108BFloat16ELb1EEvPKvS3_PT_PKiS7_S7_iiiiiii
	.p2align	8
	.type	_ZL8moe_q4_0IN3c108BFloat16ELb1EEvPKvS3_PT_PKiS7_S7_iiiiiii,@function
_ZL8moe_q4_0IN3c108BFloat16ELb1EEvPKvS3_PT_PKiS7_S7_iiiiiii: ; @_ZL8moe_q4_0IN3c108BFloat16ELb1EEvPKvS3_PT_PKiS7_S7_iiiiiii
; %bb.0:
	s_load_dwordx4 s[0:3], s[4:5], 0x18
	s_mov_b32 s8, s7
	s_mov_b32 s9, 0
	s_lshl_b64 s[10:11], s[8:9], 2
	s_waitcnt lgkmcnt(0)
	s_add_u32 s2, s2, s10
	s_addc_u32 s3, s3, s11
	s_load_dword s2, s[2:3], 0x0
	s_waitcnt lgkmcnt(0)
	s_cmpk_gt_u32 s2, 0xff
	s_cbranch_scc1 .LBB218_30
; %bb.1:
	s_load_dwordx2 s[10:11], s[4:5], 0x28
	s_lshl_b32 s3, s8, 3
	s_waitcnt lgkmcnt(0)
	s_load_dword s7, s[10:11], 0x0
	s_waitcnt lgkmcnt(0)
	s_cmp_gt_u32 s3, s7
	s_cbranch_scc1 .LBB218_30
; %bb.2:
	v_add_u32_e32 v17, s3, v1
	v_mov_b32_e32 v18, 0
	v_lshlrev_b64 v[2:3], 2, v[17:18]
	v_mov_b32_e32 v4, s1
	v_add_co_u32_e32 v2, vcc, s0, v2
	v_addc_co_u32_e32 v3, vcc, v4, v3, vcc
	global_load_dword v21, v[2:3], off
	s_load_dwordx8 s[8:15], s[4:5], 0x30
	s_load_dwordx2 s[16:17], s[4:5], 0x10
	s_waitcnt lgkmcnt(0)
	s_lshl_b32 s15, s6, 7
	v_mov_b32_e32 v47, v18
	v_mov_b32_e32 v50, v18
	s_cmp_lt_i32 s9, 32
	v_mov_b32_e32 v22, v18
	s_cbranch_scc1 .LBB218_21
; %bb.3:
	s_ashr_i32 s0, s9, 31
	s_lshr_b32 s0, s0, 27
	s_load_dwordx4 s[4:7], s[4:5], 0x0
	s_add_i32 s0, s9, s0
	s_ashr_i32 s20, s0, 5
	s_ashr_i32 s0, s12, 31
	s_lshr_b32 s0, s0, 27
	s_add_i32 s0, s12, s0
	s_mul_i32 s2, s2, s8
	s_ashr_i32 s12, s0, 5
	s_ashr_i32 s0, s2, 31
	s_waitcnt lgkmcnt(0)
	s_add_u32 s1, s4, s2
	s_mul_i32 s2, s20, s15
	s_addc_u32 s0, s5, s0
	s_mul_hi_i32 s3, s2, 18
	s_mul_i32 s2, s2, 18
	s_add_u32 s8, s1, s2
	s_addc_u32 s21, s0, s3
	s_not_b32 s0, s15
	s_add_i32 s2, s10, s0
	v_lshlrev_b32_e32 v19, 2, v0
	v_min_i32_e32 v2, s2, v1
	s_movk_i32 s18, 0x84
	v_mul_lo_u32 v25, v2, s20
	v_mad_u64_u32 v[2:3], s[0:1], v2, s18, v[19:20]
	v_add_u32_e32 v3, 8, v1
	v_min_i32_e32 v3, s2, v3
	v_mul_lo_u32 v26, v3, s20
	v_mad_u64_u32 v[3:4], s[0:1], v3, s18, v[19:20]
	v_add_u32_e32 v4, 16, v1
	v_min_i32_e32 v4, s2, v4
	;; [unrolled: 4-line block ×15, first 2 shown]
	v_mul_lo_u32 v40, v17, s20
	v_mad_u64_u32 v[17:18], s[0:1], v17, s18, v[19:20]
	v_lshrrev_b32_e32 v42, 3, v0
	v_lshl_add_u32 v18, v1, 2, v42
	v_min_i32_e32 v20, s2, v18
	v_ashrrev_i32_e32 v44, 31, v20
	v_lshrrev_b32_e32 v44, 30, v44
	v_mul_lo_u32 v43, v20, s20
	v_add_u32_e32 v44, v20, v44
	v_lshlrev_b32_e32 v65, 5, v20
	v_add_u32_e32 v20, 32, v18
	v_min_i32_e32 v20, s2, v20
	v_and_b32_e32 v41, 7, v0
	v_ashrrev_i32_e32 v45, 31, v20
	v_and_b32_e32 v44, -4, v44
	v_lshlrev_b32_e32 v47, 2, v41
	s_movk_i32 s0, 0x4200
	v_lshrrev_b32_e32 v45, 30, v45
	v_add3_u32 v50, v44, v47, s0
	v_mul_lo_u32 v44, v20, s20
	v_add_u32_e32 v45, v20, v45
	v_lshlrev_b32_e32 v67, 5, v20
	v_add_u32_e32 v20, 64, v18
	v_min_i32_e32 v20, s2, v20
	v_ashrrev_i32_e32 v46, 31, v20
	v_add_u32_e32 v18, 0x60, v18
	v_and_b32_e32 v45, -4, v45
	v_lshrrev_b32_e32 v46, 30, v46
	v_min_i32_e32 v18, s2, v18
	v_add3_u32 v66, v45, v47, s0
	v_mul_lo_u32 v45, v20, s20
	v_add_u32_e32 v46, v20, v46
	v_lshlrev_b32_e32 v69, 5, v20
	v_ashrrev_i32_e32 v20, 31, v18
	v_lshrrev_b32_e32 v20, 30, v20
	v_add_u32_e32 v20, v18, v20
	v_and_b32_e32 v46, -4, v46
	v_and_b32_e32 v20, -4, v20
	s_abs_i32 s2, s14
	v_add3_u32 v68, v46, v47, s0
	v_add3_u32 v47, v20, v47, s0
	v_cvt_f32_u32_e32 v20, s2
	s_sub_i32 s0, 0, s2
	v_mov_b32_e32 v48, 0x5280
	v_mov_b32_e32 v51, 0x5680
	v_rcp_iflag_f32_e32 v20, v20
	v_lshl_add_u32 v48, v1, 7, v48
	v_lshl_add_u32 v1, v1, 4, v51
	v_and_b32_e32 v24, 12, v19
	v_mul_f32_e32 v20, 0x4f7ffffe, v20
	v_cvt_u32_f32_e32 v20, v20
	v_and_b32_e32 v55, 28, v19
	v_add_u32_e32 v51, v1, v19
	s_waitcnt vmcnt(0)
	v_xor_b32_e32 v59, s14, v21
	v_mul_lo_u32 v52, s0, v20
	v_ashrrev_i32_e32 v59, 31, v59
	v_mul_lo_u32 v46, v18, s20
	v_add_u32_e32 v58, 32, v0
	v_mul_hi_u32 v19, v20, v52
	v_sub_u32_e32 v52, 0, v21
	v_max_i32_e32 v54, v21, v52
	v_add_u32_e32 v57, 64, v0
	v_add_u32_e32 v19, v20, v19
	v_mul_hi_u32 v19, v54, v19
	v_add_u32_e32 v56, 0x60, v0
	v_lshrrev_b32_e32 v53, 3, v58
	v_and_b32_e32 v56, 0x1fc, v56
	v_mul_lo_u32 v20, v19, s2
	v_and_b32_e32 v57, 0x1fc, v57
	v_and_b32_e32 v58, 0x1fc, v58
	;; [unrolled: 1-line block ×3, first 2 shown]
	v_sub_u32_e32 v20, v54, v20
	v_add_u32_e32 v54, 1, v19
	v_cmp_le_u32_e64 s[0:1], s2, v20
	v_cndmask_b32_e64 v19, v19, v54, s[0:1]
	v_subrev_u32_e32 v54, s2, v20
	v_cndmask_b32_e64 v20, v20, v54, s[0:1]
	v_add_u32_e32 v54, 1, v19
	v_cmp_le_u32_e64 s[0:1], s2, v20
	v_cndmask_b32_e64 v19, v19, v54, s[0:1]
	v_xor_b32_e32 v19, v19, v59
	v_sub_u32_e32 v19, v19, v59
	v_mul_lo_u32 v54, v19, s12
	v_lshlrev_b32_e32 v59, 5, v0
	v_lshlrev_b32_e32 v18, 5, v18
	v_and_b32_e32 v49, 31, v0
	v_cmp_gt_u32_e32 vcc, 4, v0
	v_cmp_gt_i32_e64 s[0:1], s11, v19
	v_mov_b32_e32 v20, s7
	v_add_co_u32_e64 v19, s[2:3], s6, v55
	v_add_u32_e32 v61, v59, v56
	v_add_u32_e32 v62, v59, v57
	;; [unrolled: 1-line block ×4, first 2 shown]
	v_lshrrev_b32_e32 v23, 2, v0
	v_mov_b32_e32 v22, 0
	v_lshl_or_b32 v49, v49, 2, v48
	v_mul_u32_u24_e32 v52, 0x84, v0
	s_mov_b32 s10, 0
	v_addc_co_u32_e64 v20, s[2:3], 0, v20, s[2:3]
	s_and_b64 s[4:5], vcc, s[0:1]
	v_ashrrev_i32_e32 v55, 31, v54
	v_add_u32_e32 v56, 0x4e00, v61
	v_add_u32_e32 v57, 0x4a00, v62
	;; [unrolled: 1-line block ×4, first 2 shown]
	v_mad_u32_u24 v60, v0, s18, 64
	v_add_u32_e32 v61, 0x4e10, v61
	v_add_u32_e32 v62, 0x4a10, v62
	;; [unrolled: 1-line block ×8, first 2 shown]
	v_mov_b32_e32 v50, 0
	v_mov_b32_e32 v47, 0
	;; [unrolled: 1-line block ×3, first 2 shown]
	s_branch .LBB218_5
.LBB218_4:                              ;   in Loop: Header=BB218_5 Depth=1
	s_add_i32 s10, s10, 8
	s_cmp_ge_i32 s10, s20
	s_cbranch_scc1 .LBB218_21
.LBB218_5:                              ; =>This Loop Header: Depth=1
                                        ;     Child Loop BB218_11 Depth 2
                                        ;     Child Loop BB218_19 Depth 2
	s_mul_i32 s3, s10, 18
	s_mul_hi_u32 s2, s10, 18
	s_add_u32 s18, s8, s3
	s_addc_u32 s19, s21, s2
	v_mad_u64_u32 v[69:70], s[2:3], v23, 18, s[18:19]
	v_mad_i64_i32 v[71:72], s[2:3], v25, 18, v[69:70]
	v_mad_i64_i32 v[73:74], s[2:3], v26, 18, v[69:70]
	v_add_co_u32_e64 v71, s[2:3], v71, v24
	v_addc_co_u32_e64 v72, s[2:3], 0, v72, s[2:3]
	v_add_co_u32_e64 v73, s[2:3], v73, v24
	v_addc_co_u32_e64 v74, s[2:3], 0, v74, s[2:3]
	v_mad_i64_i32 v[75:76], s[2:3], v27, 18, v[69:70]
	v_mad_i64_i32 v[77:78], s[2:3], v28, 18, v[69:70]
	v_add_co_u32_e64 v75, s[2:3], v75, v24
	v_addc_co_u32_e64 v76, s[2:3], 0, v76, s[2:3]
	v_add_co_u32_e64 v77, s[2:3], v77, v24
	v_addc_co_u32_e64 v78, s[2:3], 0, v78, s[2:3]
	;; [unrolled: 6-line block ×4, first 2 shown]
	global_load_dword v87, v[71:72], off offset:2
	global_load_dword v88, v[73:74], off offset:2
	;; [unrolled: 1-line block ×8, first 2 shown]
	v_mad_i64_i32 v[71:72], s[2:3], v33, 18, v[69:70]
	v_mad_i64_i32 v[73:74], s[2:3], v34, 18, v[69:70]
	v_add_co_u32_e64 v71, s[2:3], v71, v24
	v_addc_co_u32_e64 v72, s[2:3], 0, v72, s[2:3]
	v_add_co_u32_e64 v73, s[2:3], v73, v24
	v_addc_co_u32_e64 v74, s[2:3], 0, v74, s[2:3]
	v_mad_i64_i32 v[75:76], s[2:3], v35, 18, v[69:70]
	v_mad_i64_i32 v[77:78], s[2:3], v36, 18, v[69:70]
	v_add_co_u32_e64 v75, s[2:3], v75, v24
	v_addc_co_u32_e64 v76, s[2:3], 0, v76, s[2:3]
	v_add_co_u32_e64 v77, s[2:3], v77, v24
	v_addc_co_u32_e64 v78, s[2:3], 0, v78, s[2:3]
	v_mad_i64_i32 v[79:80], s[2:3], v37, 18, v[69:70]
	v_mad_i64_i32 v[81:82], s[2:3], v38, 18, v[69:70]
	v_add_co_u32_e64 v79, s[2:3], v79, v24
	v_addc_co_u32_e64 v80, s[2:3], 0, v80, s[2:3]
	v_add_co_u32_e64 v81, s[2:3], v81, v24
	v_addc_co_u32_e64 v82, s[2:3], 0, v82, s[2:3]
	v_mad_i64_i32 v[83:84], s[2:3], v39, 18, v[69:70]
	v_mad_i64_i32 v[69:70], s[2:3], v40, 18, v[69:70]
	v_add_co_u32_e64 v83, s[2:3], v83, v24
	v_addc_co_u32_e64 v84, s[2:3], 0, v84, s[2:3]
	v_add_co_u32_e64 v69, s[2:3], v69, v24
	v_addc_co_u32_e64 v70, s[2:3], 0, v70, s[2:3]
	v_mad_u64_u32 v[85:86], s[2:3], v41, 18, s[18:19]
	global_load_dword v95, v[71:72], off offset:2
	global_load_dword v96, v[73:74], off offset:2
	s_nop 0
	global_load_dword v75, v[75:76], off offset:2
	s_nop 0
	;; [unrolled: 2-line block ×3, first 2 shown]
	global_load_dword v77, v[79:80], off offset:2
	global_load_dword v78, v[81:82], off offset:2
	s_nop 0
	global_load_dword v79, v[83:84], off offset:2
	global_load_dword v80, v[69:70], off offset:2
	s_lshl_b32 s18, s10, 5
	v_mad_i64_i32 v[69:70], s[2:3], v43, 18, v[85:86]
	v_mad_i64_i32 v[71:72], s[2:3], v44, 18, v[85:86]
	;; [unrolled: 1-line block ×3, first 2 shown]
	global_load_ushort v81, v[69:70], off
	s_nop 0
	global_load_ushort v71, v[71:72], off
	v_mad_i64_i32 v[69:70], s[2:3], v46, 18, v[85:86]
	global_load_ushort v72, v[73:74], off
	s_nop 0
	global_load_ushort v69, v[69:70], off
	s_cmp_lt_i32 s18, s9
	s_waitcnt vmcnt(19)
	ds_write_b32 v2, v87
	s_waitcnt vmcnt(18)
	ds_write_b32 v3, v88
	;; [unrolled: 2-line block ×16, first 2 shown]
	s_waitcnt vmcnt(3)
	v_cvt_f32_f16_e32 v70, v81
	s_waitcnt vmcnt(2)
	v_cvt_f32_f16_e32 v71, v71
	ds_write_b32 v65, v70
	ds_write_b32 v66, v71
	s_waitcnt vmcnt(1)
	v_cvt_f32_f16_e32 v72, v72
	s_waitcnt vmcnt(0)
	v_cvt_f32_f16_e32 v69, v69
	ds_write_b32 v67, v72
	ds_write_b32 v68, v69
	s_cbranch_scc0 .LBB218_4
; %bb.6:                                ;   in Loop: Header=BB218_5 Depth=1
	v_add_u32_e32 v69, s10, v42
	v_cmp_gt_i32_e64 s[2:3], s12, v69
	s_and_b64 s[22:23], s[0:1], s[2:3]
	s_and_saveexec_b64 s[2:3], s[22:23]
	s_cbranch_execz .LBB218_8
; %bb.7:                                ;   in Loop: Header=BB218_5 Depth=1
	v_add_u32_e32 v69, v54, v69
	v_mad_i64_i32 v[69:70], s[22:23], v69, 36, v[19:20]
	global_load_dword v69, v[69:70], off offset:4
	s_waitcnt vmcnt(0)
	ds_write_b32 v49, v69
.LBB218_8:                              ;   in Loop: Header=BB218_5 Depth=1
	s_or_b64 exec, exec, s[2:3]
	v_add_u32_e32 v69, s10, v0
	v_cmp_gt_i32_e64 s[2:3], s12, v69
	s_and_b64 s[22:23], s[4:5], s[2:3]
	s_and_saveexec_b64 s[2:3], s[22:23]
	s_cbranch_execz .LBB218_10
; %bb.9:                                ;   in Loop: Header=BB218_5 Depth=1
	v_add_u32_e32 v70, v54, v69
	v_mad_i64_i32 v[70:71], s[22:23], v70, 36, s[6:7]
	global_load_dword v70, v[70:71], off
	s_waitcnt vmcnt(0)
	ds_write_b32 v51, v70
.LBB218_10:                             ;   in Loop: Header=BB218_5 Depth=1
	s_or_b64 exec, exec, s[2:3]
	s_mov_b32 s2, -4
	v_mov_b32_e32 v70, v48
	v_mov_b32_e32 v71, v1
	;; [unrolled: 1-line block ×7, first 2 shown]
	s_waitcnt lgkmcnt(0)
	s_barrier
.LBB218_11:                             ;   Parent Loop BB218_5 Depth=1
                                        ; =>  This Inner Loop Header: Depth=2
	v_add_u32_e32 v89, 0x1080, v76
	v_add_u32_e32 v91, 0x1088, v76
	;; [unrolled: 1-line block ×6, first 2 shown]
	ds_read_b128 v[77:80], v70
	ds_read_b128 v[81:84], v70 offset:16
	ds_read2_b32 v[85:86], v76 offset0:2 offset1:3
	ds_read_b32 v101, v71
	ds_read_b32 v102, v72
	ds_read2_b32 v[87:88], v76 offset1:1
	ds_read_b32 v103, v73
	ds_read_b32 v104, v74
	ds_read_b32 v105, v75
	ds_read2_b32 v[89:90], v89 offset1:1
	ds_read2_b32 v[91:92], v91 offset1:1
	;; [unrolled: 1-line block ×6, first 2 shown]
	s_waitcnt lgkmcnt(9)
	v_and_b32_e32 v107, 0xf0f0f0f, v87
	v_lshrrev_b32_e32 v87, 4, v87
	v_and_b32_e32 v87, 0xf0f0f0f, v87
	v_dot4_i32_i8 v107, v107, v77, 0
	s_waitcnt lgkmcnt(5)
	v_and_b32_e32 v111, 0xf0f0f0f, v89
	v_lshrrev_b32_e32 v89, 4, v89
	s_waitcnt lgkmcnt(3)
	v_and_b32_e32 v115, 0xf0f0f0f, v93
	v_lshrrev_b32_e32 v93, 4, v93
	;; [unrolled: 3-line block ×3, first 2 shown]
	v_and_b32_e32 v108, 0xf0f0f0f, v88
	v_lshrrev_b32_e32 v88, 4, v88
	v_dot4_i32_i8 v87, v87, v81, v107
	v_and_b32_e32 v89, 0xf0f0f0f, v89
	v_dot4_i32_i8 v107, v111, v77, 0
	v_and_b32_e32 v93, 0xf0f0f0f, v93
	;; [unrolled: 2-line block ×4, first 2 shown]
	v_and_b32_e32 v112, 0xf0f0f0f, v90
	v_lshrrev_b32_e32 v90, 4, v90
	v_and_b32_e32 v116, 0xf0f0f0f, v94
	v_lshrrev_b32_e32 v94, 4, v94
	;; [unrolled: 2-line block ×3, first 2 shown]
	v_dot4_i32_i8 v87, v108, v78, v87
	v_dot4_i32_i8 v89, v89, v81, v107
	;; [unrolled: 1-line block ×4, first 2 shown]
	v_and_b32_e32 v109, 0xf0f0f0f, v85
	v_lshrrev_b32_e32 v85, 4, v85
	v_and_b32_e32 v90, 0xf0f0f0f, v90
	v_and_b32_e32 v94, 0xf0f0f0f, v94
	v_and_b32_e32 v98, 0xf0f0f0f, v98
	v_dot4_i32_i8 v87, v88, v82, v87
	v_dot4_i32_i8 v88, v112, v78, v89
	;; [unrolled: 1-line block ×4, first 2 shown]
	v_and_b32_e32 v85, 0xf0f0f0f, v85
	v_and_b32_e32 v113, 0xf0f0f0f, v91
	v_lshrrev_b32_e32 v91, 4, v91
	v_and_b32_e32 v117, 0xf0f0f0f, v95
	v_lshrrev_b32_e32 v95, 4, v95
	s_waitcnt lgkmcnt(0)
	v_and_b32_e32 v121, 0xf0f0f0f, v99
	v_lshrrev_b32_e32 v99, 4, v99
	v_dot4_i32_i8 v78, v109, v79, v87
	v_dot4_i32_i8 v87, v90, v82, v88
	;; [unrolled: 1-line block ×4, first 2 shown]
	v_and_b32_e32 v110, 0xf0f0f0f, v86
	v_lshrrev_b32_e32 v86, 4, v86
	v_and_b32_e32 v91, 0xf0f0f0f, v91
	v_and_b32_e32 v95, 0xf0f0f0f, v95
	;; [unrolled: 1-line block ×3, first 2 shown]
	v_dot4_i32_i8 v78, v85, v83, v78
	v_dot4_i32_i8 v82, v113, v79, v87
	;; [unrolled: 1-line block ×4, first 2 shown]
	v_and_b32_e32 v86, 0xf0f0f0f, v86
	v_and_b32_e32 v114, 0xf0f0f0f, v92
	v_lshrrev_b32_e32 v92, 4, v92
	v_and_b32_e32 v118, 0xf0f0f0f, v96
	v_lshrrev_b32_e32 v96, 4, v96
	;; [unrolled: 2-line block ×3, first 2 shown]
	v_dot4_i32_i8 v78, v110, v80, v78
	v_dot4_i32_i8 v79, v91, v83, v82
	;; [unrolled: 1-line block ×4, first 2 shown]
	v_cvt_f32_f16_sdwa v106, v101 dst_sel:DWORD dst_unused:UNUSED_PAD src0_sel:WORD_1
	v_and_b32_e32 v92, 0xf0f0f0f, v92
	v_and_b32_e32 v96, 0xf0f0f0f, v96
	;; [unrolled: 1-line block ×3, first 2 shown]
	v_dot4_i32_i8 v78, v86, v84, v78
	v_dot4_i32_i8 v79, v114, v80, v79
	;; [unrolled: 1-line block ×4, first 2 shown]
	v_cvt_f32_i32_e32 v78, v78
	v_dot4_i32_i8 v79, v92, v84, v79
	v_dot4_i32_i8 v80, v96, v84, v82
	;; [unrolled: 1-line block ×3, first 2 shown]
	v_cvt_f32_i32_e32 v79, v79
	v_cvt_f32_i32_e32 v80, v80
	;; [unrolled: 1-line block ×3, first 2 shown]
	v_mul_f32_e32 v81, 0xc1000000, v106
	v_fma_mix_f32 v78, v101, v78, v81 op_sel_hi:[1,0,0]
	s_add_i32 s2, s2, 4
	v_fmac_f32_e32 v22, v102, v78
	v_fma_mix_f32 v78, v101, v79, v81 op_sel_hi:[1,0,0]
	v_fma_mix_f32 v79, v101, v80, v81 op_sel_hi:[1,0,0]
	v_fma_mix_f32 v77, v101, v77, v81 op_sel_hi:[1,0,0]
	v_add_u32_e32 v76, 16, v76
	v_add_u32_e32 v75, 4, v75
	;; [unrolled: 1-line block ×7, first 2 shown]
	s_cmp_lt_u32 s2, 12
	v_fmac_f32_e32 v50, v103, v78
	v_fmac_f32_e32 v47, v104, v79
	;; [unrolled: 1-line block ×3, first 2 shown]
	s_cbranch_scc1 .LBB218_11
; %bb.12:                               ;   in Loop: Header=BB218_5 Depth=1
	s_bitset1_b32 s18, 7
	s_cmp_ge_i32 s18, s9
	s_barrier
	s_cbranch_scc1 .LBB218_4
; %bb.13:                               ;   in Loop: Header=BB218_5 Depth=1
	v_add_u32_e32 v70, s10, v53
	v_cmp_gt_i32_e64 s[2:3], s12, v70
	s_and_b64 s[18:19], s[0:1], s[2:3]
	s_and_saveexec_b64 s[2:3], s[18:19]
	s_cbranch_execz .LBB218_15
; %bb.14:                               ;   in Loop: Header=BB218_5 Depth=1
	v_add_u32_e32 v70, v54, v70
	v_mad_i64_i32 v[70:71], s[18:19], v70, 36, v[19:20]
	global_load_dword v70, v[70:71], off offset:4
	s_waitcnt vmcnt(0)
	ds_write_b32 v49, v70
.LBB218_15:                             ;   in Loop: Header=BB218_5 Depth=1
	s_or_b64 exec, exec, s[2:3]
	s_and_saveexec_b64 s[18:19], vcc
	s_cbranch_execz .LBB218_18
; %bb.16:                               ;   in Loop: Header=BB218_5 Depth=1
	v_or_b32_e32 v70, 4, v69
	v_cmp_gt_i32_e64 s[2:3], s12, v70
	s_and_b64 s[2:3], s[0:1], s[2:3]
	s_and_b64 exec, exec, s[2:3]
	s_cbranch_execz .LBB218_18
; %bb.17:                               ;   in Loop: Header=BB218_5 Depth=1
	v_ashrrev_i32_e32 v70, 31, v69
	v_add_co_u32_e64 v69, s[2:3], v54, v69
	v_addc_co_u32_e64 v71, s[2:3], v55, v70, s[2:3]
	v_mad_u64_u32 v[69:70], s[2:3], v69, 36, s[6:7]
	v_mad_i32_i24 v70, v71, 36, v70
	global_load_dword v69, v[69:70], off offset:144
	s_waitcnt vmcnt(0)
	ds_write_b32 v51, v69
.LBB218_18:                             ;   in Loop: Header=BB218_5 Depth=1
	s_or_b64 exec, exec, s[18:19]
	s_mov_b32 s2, 12
	v_mov_b32_e32 v69, v1
	v_mov_b32_e32 v70, v48
	;; [unrolled: 1-line block ×7, first 2 shown]
	s_waitcnt lgkmcnt(0)
	s_barrier
.LBB218_19:                             ;   Parent Loop BB218_5 Depth=1
                                        ; =>  This Inner Loop Header: Depth=2
	v_add_u32_e32 v88, 0x1080, v75
	v_add_u32_e32 v90, 0x1088, v75
	;; [unrolled: 1-line block ×6, first 2 shown]
	ds_read_b128 v[76:79], v70
	ds_read_b128 v[80:83], v70 offset:16
	ds_read_b32 v100, v69
	ds_read2_b32 v[84:85], v75 offset0:2 offset1:3
	ds_read_b32 v101, v71
	ds_read2_b32 v[86:87], v75 offset1:1
	ds_read_b32 v102, v72
	ds_read_b32 v103, v73
	ds_read_b32 v104, v74
	ds_read2_b32 v[88:89], v88 offset1:1
	ds_read2_b32 v[90:91], v90 offset1:1
	;; [unrolled: 1-line block ×6, first 2 shown]
	s_waitcnt lgkmcnt(9)
	v_and_b32_e32 v106, 0xf0f0f0f, v86
	v_lshrrev_b32_e32 v86, 4, v86
	v_and_b32_e32 v86, 0xf0f0f0f, v86
	v_dot4_i32_i8 v106, v106, v76, 0
	s_waitcnt lgkmcnt(5)
	v_and_b32_e32 v110, 0xf0f0f0f, v88
	v_lshrrev_b32_e32 v88, 4, v88
	s_waitcnt lgkmcnt(3)
	v_and_b32_e32 v114, 0xf0f0f0f, v92
	v_lshrrev_b32_e32 v92, 4, v92
	;; [unrolled: 3-line block ×3, first 2 shown]
	v_and_b32_e32 v107, 0xf0f0f0f, v87
	v_lshrrev_b32_e32 v87, 4, v87
	v_dot4_i32_i8 v86, v86, v80, v106
	v_and_b32_e32 v88, 0xf0f0f0f, v88
	v_dot4_i32_i8 v106, v110, v76, 0
	v_and_b32_e32 v92, 0xf0f0f0f, v92
	;; [unrolled: 2-line block ×4, first 2 shown]
	v_and_b32_e32 v111, 0xf0f0f0f, v89
	v_lshrrev_b32_e32 v89, 4, v89
	v_and_b32_e32 v115, 0xf0f0f0f, v93
	v_lshrrev_b32_e32 v93, 4, v93
	;; [unrolled: 2-line block ×3, first 2 shown]
	v_dot4_i32_i8 v86, v107, v77, v86
	v_dot4_i32_i8 v88, v88, v80, v106
	;; [unrolled: 1-line block ×4, first 2 shown]
	v_and_b32_e32 v108, 0xf0f0f0f, v84
	v_lshrrev_b32_e32 v84, 4, v84
	v_and_b32_e32 v89, 0xf0f0f0f, v89
	v_and_b32_e32 v93, 0xf0f0f0f, v93
	;; [unrolled: 1-line block ×3, first 2 shown]
	v_dot4_i32_i8 v86, v87, v81, v86
	v_dot4_i32_i8 v87, v111, v77, v88
	;; [unrolled: 1-line block ×4, first 2 shown]
	v_and_b32_e32 v84, 0xf0f0f0f, v84
	v_and_b32_e32 v112, 0xf0f0f0f, v90
	v_lshrrev_b32_e32 v90, 4, v90
	v_and_b32_e32 v116, 0xf0f0f0f, v94
	v_lshrrev_b32_e32 v94, 4, v94
	s_waitcnt lgkmcnt(0)
	v_and_b32_e32 v120, 0xf0f0f0f, v98
	v_lshrrev_b32_e32 v98, 4, v98
	v_dot4_i32_i8 v77, v108, v78, v86
	v_dot4_i32_i8 v86, v89, v81, v87
	;; [unrolled: 1-line block ×4, first 2 shown]
	v_and_b32_e32 v109, 0xf0f0f0f, v85
	v_lshrrev_b32_e32 v85, 4, v85
	v_and_b32_e32 v90, 0xf0f0f0f, v90
	v_and_b32_e32 v94, 0xf0f0f0f, v94
	;; [unrolled: 1-line block ×3, first 2 shown]
	v_dot4_i32_i8 v77, v84, v82, v77
	v_dot4_i32_i8 v81, v112, v78, v86
	;; [unrolled: 1-line block ×4, first 2 shown]
	v_and_b32_e32 v85, 0xf0f0f0f, v85
	v_and_b32_e32 v113, 0xf0f0f0f, v91
	v_lshrrev_b32_e32 v91, 4, v91
	v_and_b32_e32 v117, 0xf0f0f0f, v95
	v_lshrrev_b32_e32 v95, 4, v95
	;; [unrolled: 2-line block ×3, first 2 shown]
	v_dot4_i32_i8 v77, v109, v79, v77
	v_dot4_i32_i8 v78, v90, v82, v81
	;; [unrolled: 1-line block ×4, first 2 shown]
	v_cvt_f32_f16_sdwa v105, v100 dst_sel:DWORD dst_unused:UNUSED_PAD src0_sel:WORD_1
	v_and_b32_e32 v91, 0xf0f0f0f, v91
	v_and_b32_e32 v95, 0xf0f0f0f, v95
	;; [unrolled: 1-line block ×3, first 2 shown]
	v_dot4_i32_i8 v77, v85, v83, v77
	v_dot4_i32_i8 v78, v113, v79, v78
	;; [unrolled: 1-line block ×4, first 2 shown]
	v_cvt_f32_i32_e32 v77, v77
	v_dot4_i32_i8 v78, v91, v83, v78
	v_dot4_i32_i8 v79, v95, v83, v81
	;; [unrolled: 1-line block ×3, first 2 shown]
	v_cvt_f32_i32_e32 v78, v78
	v_cvt_f32_i32_e32 v79, v79
	;; [unrolled: 1-line block ×3, first 2 shown]
	v_mul_f32_e32 v80, 0xc1000000, v105
	v_fma_mix_f32 v77, v100, v77, v80 op_sel_hi:[1,0,0]
	s_add_i32 s2, s2, 4
	v_fmac_f32_e32 v22, v101, v77
	v_fma_mix_f32 v77, v100, v78, v80 op_sel_hi:[1,0,0]
	v_fma_mix_f32 v78, v100, v79, v80 op_sel_hi:[1,0,0]
	;; [unrolled: 1-line block ×3, first 2 shown]
	v_add_u32_e32 v75, 16, v75
	v_add_u32_e32 v74, 4, v74
	;; [unrolled: 1-line block ×7, first 2 shown]
	s_cmp_lt_u32 s2, 28
	v_fmac_f32_e32 v50, v102, v77
	v_fmac_f32_e32 v47, v103, v78
	;; [unrolled: 1-line block ×3, first 2 shown]
	s_cbranch_scc1 .LBB218_19
; %bb.20:                               ;   in Loop: Header=BB218_5 Depth=1
	s_barrier
	s_branch .LBB218_4
.LBB218_21:
	s_mul_i32 s0, s14, s11
	s_waitcnt vmcnt(0)
	v_cmp_gt_i32_e32 vcc, s0, v21
	s_and_saveexec_b64 s[0:1], vcc
	s_cbranch_execz .LBB218_30
; %bb.22:
	v_mul_lo_u32 v1, v21, s13
	v_add_u32_e32 v0, s15, v0
	v_cmp_gt_u32_e32 vcc, s13, v0
	s_and_saveexec_b64 s[0:1], vcc
	s_cbranch_execz .LBB218_24
; %bb.23:
	v_bfe_u32 v2, v22, 16, 1
	s_movk_i32 s2, 0x7fff
	v_add3_u32 v2, v22, v2, s2
	v_cmp_o_f32_e32 vcc, v22, v22
	v_mov_b32_e32 v3, 0x7fc0
	v_cndmask_b32_sdwa v4, v3, v2, vcc dst_sel:DWORD dst_unused:UNUSED_PAD src0_sel:DWORD src1_sel:WORD_1
	v_add_u32_e32 v2, v1, v0
	v_mov_b32_e32 v3, 0
	v_lshlrev_b64 v[2:3], 1, v[2:3]
	v_mov_b32_e32 v5, s17
	v_add_co_u32_e32 v2, vcc, s16, v2
	v_addc_co_u32_e32 v3, vcc, v5, v3, vcc
	global_store_short v[2:3], v4, off
.LBB218_24:
	s_or_b64 exec, exec, s[0:1]
	v_add_u32_e32 v2, 32, v0
	v_cmp_gt_u32_e32 vcc, s13, v2
	s_and_saveexec_b64 s[0:1], vcc
	s_cbranch_execz .LBB218_26
; %bb.25:
	v_bfe_u32 v3, v50, 16, 1
	s_movk_i32 s2, 0x7fff
	v_add3_u32 v3, v50, v3, s2
	v_cmp_o_f32_e32 vcc, v50, v50
	v_mov_b32_e32 v4, 0x7fc0
	v_cndmask_b32_sdwa v4, v4, v3, vcc dst_sel:DWORD dst_unused:UNUSED_PAD src0_sel:DWORD src1_sel:WORD_1
	v_add_u32_e32 v2, v1, v2
	v_mov_b32_e32 v3, 0
	v_lshlrev_b64 v[2:3], 1, v[2:3]
	v_mov_b32_e32 v5, s17
	v_add_co_u32_e32 v2, vcc, s16, v2
	v_addc_co_u32_e32 v3, vcc, v5, v3, vcc
	global_store_short v[2:3], v4, off
.LBB218_26:
	s_or_b64 exec, exec, s[0:1]
	;; [unrolled: 20-line block ×3, first 2 shown]
	v_add_u32_e32 v0, 0x60, v0
	v_cmp_gt_u32_e32 vcc, s13, v0
	s_and_b64 exec, exec, vcc
	s_cbranch_execz .LBB218_30
; %bb.29:
	v_add_u32_e32 v0, v1, v0
	v_mov_b32_e32 v1, 0
	v_bfe_u32 v2, v18, 16, 1
	s_movk_i32 s0, 0x7fff
	v_lshlrev_b64 v[0:1], 1, v[0:1]
	v_add3_u32 v2, v18, v2, s0
	v_cmp_o_f32_e32 vcc, v18, v18
	v_mov_b32_e32 v3, 0x7fc0
	v_cndmask_b32_sdwa v2, v3, v2, vcc dst_sel:DWORD dst_unused:UNUSED_PAD src0_sel:DWORD src1_sel:WORD_1
	v_mov_b32_e32 v3, s17
	v_add_co_u32_e32 v0, vcc, s16, v0
	v_addc_co_u32_e32 v1, vcc, v3, v1, vcc
	global_store_short v[0:1], v2, off
.LBB218_30:
	s_endpgm
	.section	.rodata,"a",@progbits
	.p2align	6, 0x0
	.amdhsa_kernel _ZL8moe_q4_0IN3c108BFloat16ELb1EEvPKvS3_PT_PKiS7_S7_iiiiiii
		.amdhsa_group_segment_fixed_size 22272
		.amdhsa_private_segment_fixed_size 0
		.amdhsa_kernarg_size 76
		.amdhsa_user_sgpr_count 6
		.amdhsa_user_sgpr_private_segment_buffer 1
		.amdhsa_user_sgpr_dispatch_ptr 0
		.amdhsa_user_sgpr_queue_ptr 0
		.amdhsa_user_sgpr_kernarg_segment_ptr 1
		.amdhsa_user_sgpr_dispatch_id 0
		.amdhsa_user_sgpr_flat_scratch_init 0
		.amdhsa_user_sgpr_private_segment_size 0
		.amdhsa_uses_dynamic_stack 0
		.amdhsa_system_sgpr_private_segment_wavefront_offset 0
		.amdhsa_system_sgpr_workgroup_id_x 1
		.amdhsa_system_sgpr_workgroup_id_y 1
		.amdhsa_system_sgpr_workgroup_id_z 0
		.amdhsa_system_sgpr_workgroup_info 0
		.amdhsa_system_vgpr_workitem_id 1
		.amdhsa_next_free_vgpr 123
		.amdhsa_next_free_sgpr 98
		.amdhsa_reserve_vcc 1
		.amdhsa_reserve_flat_scratch 0
		.amdhsa_float_round_mode_32 0
		.amdhsa_float_round_mode_16_64 0
		.amdhsa_float_denorm_mode_32 3
		.amdhsa_float_denorm_mode_16_64 3
		.amdhsa_dx10_clamp 1
		.amdhsa_ieee_mode 1
		.amdhsa_fp16_overflow 0
		.amdhsa_exception_fp_ieee_invalid_op 0
		.amdhsa_exception_fp_denorm_src 0
		.amdhsa_exception_fp_ieee_div_zero 0
		.amdhsa_exception_fp_ieee_overflow 0
		.amdhsa_exception_fp_ieee_underflow 0
		.amdhsa_exception_fp_ieee_inexact 0
		.amdhsa_exception_int_div_zero 0
	.end_amdhsa_kernel
	.section	.text._ZL8moe_q4_0IN3c108BFloat16ELb1EEvPKvS3_PT_PKiS7_S7_iiiiiii,"axG",@progbits,_ZL8moe_q4_0IN3c108BFloat16ELb1EEvPKvS3_PT_PKiS7_S7_iiiiiii,comdat
.Lfunc_end218:
	.size	_ZL8moe_q4_0IN3c108BFloat16ELb1EEvPKvS3_PT_PKiS7_S7_iiiiiii, .Lfunc_end218-_ZL8moe_q4_0IN3c108BFloat16ELb1EEvPKvS3_PT_PKiS7_S7_iiiiiii
                                        ; -- End function
	.set _ZL8moe_q4_0IN3c108BFloat16ELb1EEvPKvS3_PT_PKiS7_S7_iiiiiii.num_vgpr, 123
	.set _ZL8moe_q4_0IN3c108BFloat16ELb1EEvPKvS3_PT_PKiS7_S7_iiiiiii.num_agpr, 0
	.set _ZL8moe_q4_0IN3c108BFloat16ELb1EEvPKvS3_PT_PKiS7_S7_iiiiiii.numbered_sgpr, 24
	.set _ZL8moe_q4_0IN3c108BFloat16ELb1EEvPKvS3_PT_PKiS7_S7_iiiiiii.num_named_barrier, 0
	.set _ZL8moe_q4_0IN3c108BFloat16ELb1EEvPKvS3_PT_PKiS7_S7_iiiiiii.private_seg_size, 0
	.set _ZL8moe_q4_0IN3c108BFloat16ELb1EEvPKvS3_PT_PKiS7_S7_iiiiiii.uses_vcc, 1
	.set _ZL8moe_q4_0IN3c108BFloat16ELb1EEvPKvS3_PT_PKiS7_S7_iiiiiii.uses_flat_scratch, 0
	.set _ZL8moe_q4_0IN3c108BFloat16ELb1EEvPKvS3_PT_PKiS7_S7_iiiiiii.has_dyn_sized_stack, 0
	.set _ZL8moe_q4_0IN3c108BFloat16ELb1EEvPKvS3_PT_PKiS7_S7_iiiiiii.has_recursion, 0
	.set _ZL8moe_q4_0IN3c108BFloat16ELb1EEvPKvS3_PT_PKiS7_S7_iiiiiii.has_indirect_call, 0
	.section	.AMDGPU.csdata,"",@progbits
; Kernel info:
; codeLenInByte = 4792
; TotalNumSgprs: 28
; NumVgprs: 123
; ScratchSize: 0
; MemoryBound: 0
; FloatMode: 240
; IeeeMode: 1
; LDSByteSize: 22272 bytes/workgroup (compile time only)
; SGPRBlocks: 12
; VGPRBlocks: 30
; NumSGPRsForWavesPerEU: 102
; NumVGPRsForWavesPerEU: 123
; Occupancy: 2
; WaveLimiterHint : 1
; COMPUTE_PGM_RSRC2:SCRATCH_EN: 0
; COMPUTE_PGM_RSRC2:USER_SGPR: 6
; COMPUTE_PGM_RSRC2:TRAP_HANDLER: 0
; COMPUTE_PGM_RSRC2:TGID_X_EN: 1
; COMPUTE_PGM_RSRC2:TGID_Y_EN: 1
; COMPUTE_PGM_RSRC2:TGID_Z_EN: 0
; COMPUTE_PGM_RSRC2:TIDIG_COMP_CNT: 1
	.section	.text._ZL8moe_q4_1IN3c108BFloat16ELb0EEvPKvS3_PT_PKiS7_S7_iiiiiii,"axG",@progbits,_ZL8moe_q4_1IN3c108BFloat16ELb0EEvPKvS3_PT_PKiS7_S7_iiiiiii,comdat
	.globl	_ZL8moe_q4_1IN3c108BFloat16ELb0EEvPKvS3_PT_PKiS7_S7_iiiiiii ; -- Begin function _ZL8moe_q4_1IN3c108BFloat16ELb0EEvPKvS3_PT_PKiS7_S7_iiiiiii
	.p2align	8
	.type	_ZL8moe_q4_1IN3c108BFloat16ELb0EEvPKvS3_PT_PKiS7_S7_iiiiiii,@function
_ZL8moe_q4_1IN3c108BFloat16ELb0EEvPKvS3_PT_PKiS7_S7_iiiiiii: ; @_ZL8moe_q4_1IN3c108BFloat16ELb0EEvPKvS3_PT_PKiS7_S7_iiiiiii
; %bb.0:
	s_load_dwordx4 s[0:3], s[4:5], 0x18
	s_mov_b32 s8, s7
	s_mov_b32 s9, 0
	s_lshl_b64 s[10:11], s[8:9], 2
	s_waitcnt lgkmcnt(0)
	s_add_u32 s2, s2, s10
	s_addc_u32 s3, s3, s11
	s_load_dword s2, s[2:3], 0x0
	s_waitcnt lgkmcnt(0)
	s_cmpk_gt_u32 s2, 0xff
	s_cbranch_scc1 .LBB219_30
; %bb.1:
	s_load_dwordx2 s[10:11], s[4:5], 0x28
	s_lshl_b32 s3, s8, 3
	s_waitcnt lgkmcnt(0)
	s_load_dword s7, s[10:11], 0x0
	s_waitcnt lgkmcnt(0)
	s_cmp_gt_u32 s3, s7
	s_cbranch_scc1 .LBB219_30
; %bb.2:
	v_add_u32_e32 v2, s3, v1
	v_mov_b32_e32 v3, 0
	v_lshlrev_b64 v[4:5], 2, v[2:3]
	v_mov_b32_e32 v2, s1
	v_add_co_u32_e32 v4, vcc, s0, v4
	v_addc_co_u32_e32 v5, vcc, v2, v5, vcc
	global_load_dword v4, v[4:5], off
	s_load_dwordx2 s[14:15], s[4:5], 0x30
	s_load_dwordx2 s[12:13], s[4:5], 0x10
	s_load_dwordx4 s[8:11], s[4:5], 0x3c
	s_lshl_b32 s18, s6, 7
	v_mov_b32_e32 v46, v3
	s_waitcnt lgkmcnt(0)
	s_cmp_lt_i32 s15, 32
	v_mov_b32_e32 v49, v3
	v_mov_b32_e32 v5, v3
	s_cbranch_scc1 .LBB219_21
; %bb.3:
	s_load_dwordx4 s[4:7], s[4:5], 0x0
	s_ashr_i32 s0, s15, 31
	s_ashr_i32 s1, s9, 31
	s_lshr_b32 s0, s0, 27
	s_lshr_b32 s1, s1, 27
	s_add_i32 s0, s15, s0
	s_add_i32 s1, s9, s1
	s_mul_i32 s2, s2, s14
	s_ashr_i32 s19, s0, 5
	s_ashr_i32 s9, s1, 5
	;; [unrolled: 1-line block ×3, first 2 shown]
	s_waitcnt lgkmcnt(0)
	s_add_u32 s2, s4, s2
	s_mul_i32 s3, s19, s18
	v_mul_lo_u32 v8, s19, v1
	s_addc_u32 s1, s5, s1
	s_mul_hi_i32 s4, s3, 20
	s_mul_i32 s3, s3, 20
	s_add_u32 s14, s2, s3
	s_addc_u32 s20, s1, s4
	s_lshl_b32 s1, s19, 3
	v_add_u32_e32 v10, s1, v8
	v_add_u32_e32 v12, s1, v10
	;; [unrolled: 1-line block ×12, first 2 shown]
	v_lshrrev_b32_e32 v41, 3, v0
	v_add_u32_e32 v34, s1, v32
	v_lshl_add_u32 v3, v1, 2, v41
	v_add_u32_e32 v36, s1, v34
	v_and_b32_e32 v40, 7, v0
	v_add_u32_e32 v44, 32, v3
	v_add_u32_e32 v38, s1, v36
	v_lshlrev_b32_e32 v46, 2, v40
	s_movk_i32 s1, 0x4200
	v_and_b32_e32 v45, 0xffc, v44
	v_add3_u32 v66, v45, v46, s1
	v_add_u32_e32 v45, 64, v3
	v_mul_lo_u32 v42, s19, v3
	v_and_b32_e32 v43, 0x7fc, v3
	v_lshlrev_b32_e32 v65, 5, v3
	v_and_b32_e32 v47, 0xffc, v45
	v_add_u32_e32 v3, 0x60, v3
	v_add3_u32 v68, v47, v46, s1
	v_and_b32_e32 v47, 0xffc, v3
	s_abs_i32 s2, s11
	v_add3_u32 v49, v43, v46, s1
	v_add3_u32 v46, v47, v46, s1
	v_cvt_f32_u32_e32 v47, s2
	s_andn2_b32 s0, s0, 31
	v_add_u32_e32 v43, s0, v42
	v_lshlrev_b32_e32 v67, 5, v44
	v_rcp_iflag_f32_e32 v50, v47
	v_add_u32_e32 v44, s0, v43
	v_lshlrev_b32_e32 v69, 5, v45
	v_add_u32_e32 v45, s0, v44
	v_mul_f32_e32 v50, 0x4f7ffffe, v50
	v_cvt_u32_f32_e32 v52, v50
	s_sub_i32 s0, 0, s2
	v_lshlrev_b32_e32 v2, 2, v0
	s_movk_i32 s16, 0x84
	v_mul_lo_u32 v53, s0, v52
	v_mov_b32_e32 v47, 0x5280
	v_mov_b32_e32 v50, 0x5680
	v_mad_u32_u24 v9, v1, s16, v2
	v_lshl_add_u32 v47, v1, 7, v47
	v_lshl_add_u32 v50, v1, 4, v50
	v_mul_hi_u32 v1, v52, v53
	v_and_b32_e32 v7, 12, v2
	v_and_b32_e32 v55, 28, v2
	v_add_u32_e32 v51, v50, v2
	s_waitcnt vmcnt(0)
	v_sub_u32_e32 v2, 0, v4
	v_max_i32_e32 v2, v4, v2
	v_add_u32_e32 v1, v52, v1
	v_mul_hi_u32 v1, v2, v1
	v_xor_b32_e32 v59, s11, v4
	v_ashrrev_i32_e32 v59, 31, v59
	v_add_u32_e32 v58, 32, v0
	v_mul_lo_u32 v54, v1, s2
	v_add_u32_e32 v57, 64, v0
	v_add_u32_e32 v56, 0x60, v0
	v_lshrrev_b32_e32 v53, 3, v58
	v_sub_u32_e32 v2, v2, v54
	v_add_u32_e32 v54, 1, v1
	v_cmp_le_u32_e64 s[0:1], s2, v2
	v_cndmask_b32_e64 v1, v1, v54, s[0:1]
	v_subrev_u32_e32 v54, s2, v2
	v_cndmask_b32_e64 v2, v2, v54, s[0:1]
	v_add_u32_e32 v54, 1, v1
	v_cmp_le_u32_e64 s[0:1], s2, v2
	v_cndmask_b32_e64 v1, v1, v54, s[0:1]
	v_xor_b32_e32 v1, v1, v59
	v_sub_u32_e32 v1, v1, v59
	v_mul_lo_u32 v54, v1, s9
	v_lshlrev_b32_e32 v59, 5, v0
	v_and_b32_e32 v56, 0x1fc, v56
	v_and_b32_e32 v57, 0x1fc, v57
	;; [unrolled: 1-line block ×4, first 2 shown]
	v_lshlrev_b32_e32 v3, 5, v3
	v_and_b32_e32 v48, 31, v0
	v_cmp_gt_u32_e32 vcc, 4, v0
	v_cmp_gt_i32_e64 s[0:1], s8, v1
	v_mov_b32_e32 v2, s7
	v_add_co_u32_e64 v1, s[2:3], s6, v55
	v_add_u32_e32 v61, v59, v56
	v_add_u32_e32 v62, v59, v57
	;; [unrolled: 1-line block ×4, first 2 shown]
	v_lshrrev_b32_e32 v6, 2, v0
	v_mov_b32_e32 v5, 0
	v_add_u32_e32 v11, 0x420, v9
	v_add_u32_e32 v13, 0x840, v9
	;; [unrolled: 1-line block ×15, first 2 shown]
	v_lshl_or_b32 v48, v48, 2, v47
	v_mul_u32_u24_e32 v52, 0x84, v0
	s_mov_b32 s21, 0
	v_addc_co_u32_e64 v2, s[2:3], 0, v2, s[2:3]
	s_and_b64 s[4:5], vcc, s[0:1]
	v_ashrrev_i32_e32 v55, 31, v54
	v_add_u32_e32 v56, 0x4e00, v61
	v_add_u32_e32 v57, 0x4a00, v62
	;; [unrolled: 1-line block ×4, first 2 shown]
	v_mad_u32_u24 v60, v0, s16, 64
	v_add_u32_e32 v61, 0x4e10, v61
	v_add_u32_e32 v62, 0x4a10, v62
	;; [unrolled: 1-line block ×8, first 2 shown]
	v_mov_b32_e32 v49, 0
	v_mov_b32_e32 v46, 0
	;; [unrolled: 1-line block ×3, first 2 shown]
	s_branch .LBB219_5
.LBB219_4:                              ;   in Loop: Header=BB219_5 Depth=1
	s_add_i32 s21, s21, 8
	s_cmp_ge_i32 s21, s19
	s_cbranch_scc1 .LBB219_21
.LBB219_5:                              ; =>This Loop Header: Depth=1
                                        ;     Child Loop BB219_11 Depth 2
                                        ;     Child Loop BB219_19 Depth 2
	s_mul_i32 s3, s21, 20
	s_mul_hi_u32 s2, s21, 20
	s_add_u32 s16, s14, s3
	s_addc_u32 s17, s20, s2
	v_mad_u64_u32 v[69:70], s[2:3], v6, 20, s[16:17]
	v_mad_u64_u32 v[71:72], s[2:3], v8, 20, v[69:70]
	;; [unrolled: 1-line block ×3, first 2 shown]
	v_add_co_u32_e64 v71, s[2:3], v71, v7
	v_addc_co_u32_e64 v72, s[2:3], 0, v72, s[2:3]
	v_add_co_u32_e64 v73, s[2:3], v73, v7
	v_addc_co_u32_e64 v74, s[2:3], 0, v74, s[2:3]
	v_mad_u64_u32 v[75:76], s[2:3], v12, 20, v[69:70]
	v_mad_u64_u32 v[77:78], s[2:3], v14, 20, v[69:70]
	v_add_co_u32_e64 v75, s[2:3], v75, v7
	v_addc_co_u32_e64 v76, s[2:3], 0, v76, s[2:3]
	v_add_co_u32_e64 v77, s[2:3], v77, v7
	v_addc_co_u32_e64 v78, s[2:3], 0, v78, s[2:3]
	v_mad_u64_u32 v[79:80], s[2:3], v16, 20, v[69:70]
	v_mad_u64_u32 v[81:82], s[2:3], v18, 20, v[69:70]
	;; [unrolled: 6-line block ×3, first 2 shown]
	v_add_co_u32_e64 v83, s[2:3], v83, v7
	v_addc_co_u32_e64 v84, s[2:3], 0, v84, s[2:3]
	v_add_co_u32_e64 v85, s[2:3], v85, v7
	v_addc_co_u32_e64 v86, s[2:3], 0, v86, s[2:3]
	global_load_dword v87, v[71:72], off offset:4
	global_load_dword v88, v[73:74], off offset:4
	;; [unrolled: 1-line block ×8, first 2 shown]
	v_mad_u64_u32 v[71:72], s[2:3], v24, 20, v[69:70]
	v_mad_u64_u32 v[73:74], s[2:3], v26, 20, v[69:70]
	v_add_co_u32_e64 v71, s[2:3], v71, v7
	v_addc_co_u32_e64 v72, s[2:3], 0, v72, s[2:3]
	v_add_co_u32_e64 v73, s[2:3], v73, v7
	v_addc_co_u32_e64 v74, s[2:3], 0, v74, s[2:3]
	v_mad_u64_u32 v[75:76], s[2:3], v28, 20, v[69:70]
	v_mad_u64_u32 v[77:78], s[2:3], v30, 20, v[69:70]
	v_add_co_u32_e64 v75, s[2:3], v75, v7
	v_addc_co_u32_e64 v76, s[2:3], 0, v76, s[2:3]
	v_add_co_u32_e64 v77, s[2:3], v77, v7
	v_addc_co_u32_e64 v78, s[2:3], 0, v78, s[2:3]
	v_mad_u64_u32 v[79:80], s[2:3], v32, 20, v[69:70]
	v_mad_u64_u32 v[81:82], s[2:3], v34, 20, v[69:70]
	v_add_co_u32_e64 v79, s[2:3], v79, v7
	v_addc_co_u32_e64 v80, s[2:3], 0, v80, s[2:3]
	v_add_co_u32_e64 v81, s[2:3], v81, v7
	v_addc_co_u32_e64 v82, s[2:3], 0, v82, s[2:3]
	v_mad_u64_u32 v[83:84], s[2:3], v36, 20, v[69:70]
	v_mad_u64_u32 v[69:70], s[2:3], v38, 20, v[69:70]
	v_add_co_u32_e64 v83, s[2:3], v83, v7
	v_addc_co_u32_e64 v84, s[2:3], 0, v84, s[2:3]
	v_add_co_u32_e64 v69, s[2:3], v69, v7
	v_addc_co_u32_e64 v70, s[2:3], 0, v70, s[2:3]
	v_mad_u64_u32 v[85:86], s[2:3], v40, 20, s[16:17]
	global_load_dword v95, v[71:72], off offset:4
	global_load_dword v96, v[73:74], off offset:4
	;; [unrolled: 1-line block ×3, first 2 shown]
	s_nop 0
	global_load_dword v77, v[77:78], off offset:4
	s_nop 0
	global_load_dword v78, v[79:80], off offset:4
	;; [unrolled: 2-line block ×3, first 2 shown]
	global_load_dword v80, v[83:84], off offset:4
	s_nop 0
	global_load_dword v81, v[69:70], off offset:4
	s_lshl_b32 s16, s21, 5
	v_mad_u64_u32 v[69:70], s[2:3], v42, 20, v[85:86]
	v_mad_u64_u32 v[71:72], s[2:3], v43, 20, v[85:86]
	;; [unrolled: 1-line block ×4, first 2 shown]
	global_load_dword v69, v[69:70], off
	s_nop 0
	global_load_dword v70, v[71:72], off
	s_nop 0
	global_load_dword v71, v[73:74], off
	global_load_dword v72, v[75:76], off
	s_cmp_lt_i32 s16, s15
	s_waitcnt vmcnt(19)
	ds_write_b32 v9, v87
	s_waitcnt vmcnt(18)
	ds_write_b32 v11, v88
	s_waitcnt vmcnt(17)
	ds_write_b32 v13, v89
	s_waitcnt vmcnt(16)
	ds_write_b32 v15, v90
	s_waitcnt vmcnt(15)
	ds_write_b32 v17, v91
	s_waitcnt vmcnt(14)
	ds_write_b32 v19, v92
	s_waitcnt vmcnt(13)
	ds_write_b32 v21, v93
	s_waitcnt vmcnt(12)
	ds_write_b32 v23, v94
	s_waitcnt vmcnt(11)
	ds_write_b32 v25, v95
	s_waitcnt vmcnt(10)
	ds_write_b32 v27, v96
	s_waitcnt vmcnt(9)
	ds_write_b32 v29, v97
	s_waitcnt vmcnt(8)
	ds_write_b32 v31, v77
	s_waitcnt vmcnt(7)
	ds_write_b32 v33, v78
	s_waitcnt vmcnt(6)
	ds_write_b32 v35, v79
	s_waitcnt vmcnt(5)
	ds_write_b32 v37, v80
	s_waitcnt vmcnt(4)
	ds_write_b32 v39, v81
	s_waitcnt vmcnt(3)
	ds_write_b32 v65, v69
	s_waitcnt vmcnt(2)
	ds_write_b32 v66, v70
	s_waitcnt vmcnt(1)
	ds_write_b32 v67, v71
	s_waitcnt vmcnt(0)
	ds_write_b32 v68, v72
	s_cbranch_scc0 .LBB219_4
; %bb.6:                                ;   in Loop: Header=BB219_5 Depth=1
	v_add_u32_e32 v69, s21, v41
	v_cmp_gt_i32_e64 s[2:3], s9, v69
	s_and_b64 s[22:23], s[0:1], s[2:3]
	s_and_saveexec_b64 s[2:3], s[22:23]
	s_cbranch_execz .LBB219_8
; %bb.7:                                ;   in Loop: Header=BB219_5 Depth=1
	v_add_u32_e32 v69, v54, v69
	v_mad_i64_i32 v[69:70], s[22:23], v69, 36, v[1:2]
	global_load_dword v69, v[69:70], off offset:4
	s_waitcnt vmcnt(0)
	ds_write_b32 v48, v69
.LBB219_8:                              ;   in Loop: Header=BB219_5 Depth=1
	s_or_b64 exec, exec, s[2:3]
	v_add_u32_e32 v69, s21, v0
	v_cmp_gt_i32_e64 s[2:3], s9, v69
	s_and_b64 s[22:23], s[4:5], s[2:3]
	s_and_saveexec_b64 s[2:3], s[22:23]
	s_cbranch_execz .LBB219_10
; %bb.9:                                ;   in Loop: Header=BB219_5 Depth=1
	v_add_u32_e32 v70, v54, v69
	v_mad_i64_i32 v[70:71], s[22:23], v70, 36, s[6:7]
	global_load_dword v70, v[70:71], off
	s_waitcnt vmcnt(0)
	ds_write_b32 v51, v70
.LBB219_10:                             ;   in Loop: Header=BB219_5 Depth=1
	s_or_b64 exec, exec, s[2:3]
	s_mov_b32 s2, -4
	v_mov_b32_e32 v70, v47
	v_mov_b32_e32 v71, v50
	;; [unrolled: 1-line block ×7, first 2 shown]
	s_waitcnt lgkmcnt(0)
	s_barrier
.LBB219_11:                             ;   Parent Loop BB219_5 Depth=1
                                        ; =>  This Inner Loop Header: Depth=2
	ds_read_b128 v[77:80], v70
	ds_read_b128 v[81:84], v70 offset:16
	ds_read2_b32 v[85:86], v76 offset0:2 offset1:3
	v_add_u32_e32 v89, 0x1080, v76
	v_add_u32_e32 v91, 0x1088, v76
	;; [unrolled: 1-line block ×5, first 2 shown]
	ds_read_b32 v101, v71
	ds_read_b32 v102, v72
	ds_read2_b32 v[87:88], v76 offset1:1
	ds_read_b32 v103, v73
	ds_read_b32 v104, v74
	;; [unrolled: 1-line block ×3, first 2 shown]
	v_add_u32_e32 v99, 0x3188, v76
	ds_read2_b32 v[89:90], v89 offset1:1
	ds_read2_b32 v[91:92], v91 offset1:1
	;; [unrolled: 1-line block ×6, first 2 shown]
	s_waitcnt lgkmcnt(9)
	v_and_b32_e32 v106, 0xf0f0f0f, v87
	v_lshrrev_b32_e32 v87, 4, v87
	v_pk_mul_f16 v102, v101, v102
	s_waitcnt lgkmcnt(8)
	v_pk_mul_f16 v103, v101, v103
	s_waitcnt lgkmcnt(7)
	;; [unrolled: 2-line block ×3, first 2 shown]
	v_pk_mul_f16 v101, v101, v105
	v_and_b32_e32 v87, 0xf0f0f0f, v87
	v_dot4_i32_i8 v105, v106, v77, 0
	s_waitcnt lgkmcnt(5)
	v_and_b32_e32 v106, 0xf0f0f0f, v89
	v_lshrrev_b32_e32 v89, 4, v89
	s_waitcnt lgkmcnt(3)
	v_and_b32_e32 v113, 0xf0f0f0f, v93
	v_lshrrev_b32_e32 v93, 4, v93
	;; [unrolled: 3-line block ×3, first 2 shown]
	v_and_b32_e32 v107, 0xf0f0f0f, v88
	v_lshrrev_b32_e32 v88, 4, v88
	v_dot4_i32_i8 v87, v87, v81, v105
	v_and_b32_e32 v89, 0xf0f0f0f, v89
	v_dot4_i32_i8 v105, v106, v77, 0
	v_and_b32_e32 v93, 0xf0f0f0f, v93
	;; [unrolled: 2-line block ×4, first 2 shown]
	v_and_b32_e32 v110, 0xf0f0f0f, v90
	v_lshrrev_b32_e32 v90, 4, v90
	v_and_b32_e32 v114, 0xf0f0f0f, v94
	v_lshrrev_b32_e32 v94, 4, v94
	;; [unrolled: 2-line block ×3, first 2 shown]
	v_dot4_i32_i8 v87, v107, v78, v87
	v_dot4_i32_i8 v89, v89, v81, v105
	v_dot4_i32_i8 v93, v93, v81, v106
	v_dot4_i32_i8 v77, v97, v81, v77
	v_and_b32_e32 v108, 0xf0f0f0f, v85
	v_lshrrev_b32_e32 v85, 4, v85
	v_and_b32_e32 v90, 0xf0f0f0f, v90
	v_and_b32_e32 v94, 0xf0f0f0f, v94
	;; [unrolled: 1-line block ×3, first 2 shown]
	v_dot4_i32_i8 v81, v88, v82, v87
	v_dot4_i32_i8 v87, v110, v78, v89
	;; [unrolled: 1-line block ×4, first 2 shown]
	v_and_b32_e32 v85, 0xf0f0f0f, v85
	v_and_b32_e32 v111, 0xf0f0f0f, v91
	v_lshrrev_b32_e32 v91, 4, v91
	v_and_b32_e32 v115, 0xf0f0f0f, v95
	v_lshrrev_b32_e32 v95, 4, v95
	s_waitcnt lgkmcnt(0)
	v_and_b32_e32 v119, 0xf0f0f0f, v99
	v_lshrrev_b32_e32 v99, 4, v99
	v_dot4_i32_i8 v78, v108, v79, v81
	v_dot4_i32_i8 v81, v90, v82, v87
	;; [unrolled: 1-line block ×4, first 2 shown]
	v_and_b32_e32 v109, 0xf0f0f0f, v86
	v_lshrrev_b32_e32 v86, 4, v86
	v_and_b32_e32 v91, 0xf0f0f0f, v91
	v_and_b32_e32 v95, 0xf0f0f0f, v95
	;; [unrolled: 1-line block ×3, first 2 shown]
	v_dot4_i32_i8 v78, v85, v83, v78
	v_dot4_i32_i8 v81, v111, v79, v81
	;; [unrolled: 1-line block ×4, first 2 shown]
	v_and_b32_e32 v86, 0xf0f0f0f, v86
	v_and_b32_e32 v112, 0xf0f0f0f, v92
	v_lshrrev_b32_e32 v92, 4, v92
	v_and_b32_e32 v116, 0xf0f0f0f, v96
	v_lshrrev_b32_e32 v96, 4, v96
	;; [unrolled: 2-line block ×3, first 2 shown]
	v_dot4_i32_i8 v78, v109, v80, v78
	v_dot4_i32_i8 v79, v91, v83, v81
	;; [unrolled: 1-line block ×4, first 2 shown]
	v_and_b32_e32 v92, 0xf0f0f0f, v92
	v_and_b32_e32 v96, 0xf0f0f0f, v96
	;; [unrolled: 1-line block ×3, first 2 shown]
	v_dot4_i32_i8 v78, v86, v84, v78
	v_dot4_i32_i8 v79, v112, v80, v79
	;; [unrolled: 1-line block ×4, first 2 shown]
	v_cvt_f32_i32_e32 v78, v78
	v_dot4_i32_i8 v79, v92, v84, v79
	v_dot4_i32_i8 v80, v96, v84, v81
	;; [unrolled: 1-line block ×3, first 2 shown]
	v_cvt_f32_i32_e32 v79, v79
	v_cvt_f32_i32_e32 v80, v80
	;; [unrolled: 1-line block ×3, first 2 shown]
	v_fma_mix_f32 v78, v102, v78, v102 op_sel:[0,0,1] op_sel_hi:[1,0,1]
	s_add_i32 s2, s2, 4
	v_add_f32_e32 v5, v5, v78
	v_fma_mix_f32 v78, v103, v79, v103 op_sel:[0,0,1] op_sel_hi:[1,0,1]
	v_fma_mix_f32 v79, v104, v80, v104 op_sel:[0,0,1] op_sel_hi:[1,0,1]
	;; [unrolled: 1-line block ×3, first 2 shown]
	v_add_u32_e32 v76, 16, v76
	v_add_u32_e32 v75, 4, v75
	v_add_u32_e32 v74, 4, v74
	v_add_u32_e32 v73, 4, v73
	v_add_u32_e32 v72, 4, v72
	v_add_u32_e32 v71, 4, v71
	v_add_u32_e32 v70, 32, v70
	s_cmp_lt_u32 s2, 12
	v_add_f32_e32 v49, v49, v78
	v_add_f32_e32 v46, v46, v79
	;; [unrolled: 1-line block ×3, first 2 shown]
	s_cbranch_scc1 .LBB219_11
; %bb.12:                               ;   in Loop: Header=BB219_5 Depth=1
	s_bitset1_b32 s16, 7
	s_cmp_ge_i32 s16, s15
	s_barrier
	s_cbranch_scc1 .LBB219_4
; %bb.13:                               ;   in Loop: Header=BB219_5 Depth=1
	v_add_u32_e32 v70, s21, v53
	v_cmp_gt_i32_e64 s[2:3], s9, v70
	s_and_b64 s[16:17], s[0:1], s[2:3]
	s_and_saveexec_b64 s[2:3], s[16:17]
	s_cbranch_execz .LBB219_15
; %bb.14:                               ;   in Loop: Header=BB219_5 Depth=1
	v_add_u32_e32 v70, v54, v70
	v_mad_i64_i32 v[70:71], s[16:17], v70, 36, v[1:2]
	global_load_dword v70, v[70:71], off offset:4
	s_waitcnt vmcnt(0)
	ds_write_b32 v48, v70
.LBB219_15:                             ;   in Loop: Header=BB219_5 Depth=1
	s_or_b64 exec, exec, s[2:3]
	s_and_saveexec_b64 s[16:17], vcc
	s_cbranch_execz .LBB219_18
; %bb.16:                               ;   in Loop: Header=BB219_5 Depth=1
	v_or_b32_e32 v70, 4, v69
	v_cmp_gt_i32_e64 s[2:3], s9, v70
	s_and_b64 s[2:3], s[0:1], s[2:3]
	s_and_b64 exec, exec, s[2:3]
	s_cbranch_execz .LBB219_18
; %bb.17:                               ;   in Loop: Header=BB219_5 Depth=1
	v_ashrrev_i32_e32 v70, 31, v69
	v_add_co_u32_e64 v69, s[2:3], v54, v69
	v_addc_co_u32_e64 v71, s[2:3], v55, v70, s[2:3]
	v_mad_u64_u32 v[69:70], s[2:3], v69, 36, s[6:7]
	v_mad_i32_i24 v70, v71, 36, v70
	global_load_dword v69, v[69:70], off offset:144
	s_waitcnt vmcnt(0)
	ds_write_b32 v51, v69
.LBB219_18:                             ;   in Loop: Header=BB219_5 Depth=1
	s_or_b64 exec, exec, s[16:17]
	s_mov_b32 s2, 12
	v_mov_b32_e32 v69, v50
	v_mov_b32_e32 v70, v47
	;; [unrolled: 1-line block ×7, first 2 shown]
	s_waitcnt lgkmcnt(0)
	s_barrier
.LBB219_19:                             ;   Parent Loop BB219_5 Depth=1
                                        ; =>  This Inner Loop Header: Depth=2
	ds_read_b128 v[76:79], v70
	ds_read_b128 v[80:83], v70 offset:16
	ds_read_b32 v100, v69
	ds_read2_b32 v[84:85], v75 offset0:2 offset1:3
	v_add_u32_e32 v88, 0x1080, v75
	v_add_u32_e32 v90, 0x1088, v75
	;; [unrolled: 1-line block ×5, first 2 shown]
	ds_read_b32 v101, v71
	ds_read2_b32 v[86:87], v75 offset1:1
	ds_read_b32 v102, v72
	ds_read_b32 v103, v73
	;; [unrolled: 1-line block ×3, first 2 shown]
	v_add_u32_e32 v98, 0x3188, v75
	ds_read2_b32 v[88:89], v88 offset1:1
	ds_read2_b32 v[90:91], v90 offset1:1
	;; [unrolled: 1-line block ×6, first 2 shown]
	s_waitcnt lgkmcnt(9)
	v_and_b32_e32 v105, 0xf0f0f0f, v86
	v_lshrrev_b32_e32 v86, 4, v86
	v_pk_mul_f16 v101, v100, v101
	s_waitcnt lgkmcnt(8)
	v_pk_mul_f16 v102, v100, v102
	s_waitcnt lgkmcnt(7)
	;; [unrolled: 2-line block ×3, first 2 shown]
	v_pk_mul_f16 v100, v100, v104
	v_and_b32_e32 v86, 0xf0f0f0f, v86
	v_dot4_i32_i8 v104, v105, v76, 0
	s_waitcnt lgkmcnt(5)
	v_and_b32_e32 v105, 0xf0f0f0f, v88
	v_lshrrev_b32_e32 v88, 4, v88
	s_waitcnt lgkmcnt(3)
	v_and_b32_e32 v112, 0xf0f0f0f, v92
	v_lshrrev_b32_e32 v92, 4, v92
	;; [unrolled: 3-line block ×3, first 2 shown]
	v_and_b32_e32 v106, 0xf0f0f0f, v87
	v_lshrrev_b32_e32 v87, 4, v87
	v_dot4_i32_i8 v86, v86, v80, v104
	v_and_b32_e32 v88, 0xf0f0f0f, v88
	v_dot4_i32_i8 v104, v105, v76, 0
	v_and_b32_e32 v92, 0xf0f0f0f, v92
	;; [unrolled: 2-line block ×4, first 2 shown]
	v_and_b32_e32 v109, 0xf0f0f0f, v89
	v_lshrrev_b32_e32 v89, 4, v89
	v_and_b32_e32 v113, 0xf0f0f0f, v93
	v_lshrrev_b32_e32 v93, 4, v93
	;; [unrolled: 2-line block ×3, first 2 shown]
	v_dot4_i32_i8 v86, v106, v77, v86
	v_dot4_i32_i8 v88, v88, v80, v104
	;; [unrolled: 1-line block ×4, first 2 shown]
	v_and_b32_e32 v107, 0xf0f0f0f, v84
	v_lshrrev_b32_e32 v84, 4, v84
	v_and_b32_e32 v89, 0xf0f0f0f, v89
	v_and_b32_e32 v93, 0xf0f0f0f, v93
	;; [unrolled: 1-line block ×3, first 2 shown]
	v_dot4_i32_i8 v80, v87, v81, v86
	v_dot4_i32_i8 v86, v109, v77, v88
	;; [unrolled: 1-line block ×4, first 2 shown]
	v_and_b32_e32 v84, 0xf0f0f0f, v84
	v_and_b32_e32 v110, 0xf0f0f0f, v90
	v_lshrrev_b32_e32 v90, 4, v90
	v_and_b32_e32 v114, 0xf0f0f0f, v94
	v_lshrrev_b32_e32 v94, 4, v94
	s_waitcnt lgkmcnt(0)
	v_and_b32_e32 v118, 0xf0f0f0f, v98
	v_lshrrev_b32_e32 v98, 4, v98
	v_dot4_i32_i8 v77, v107, v78, v80
	v_dot4_i32_i8 v80, v89, v81, v86
	;; [unrolled: 1-line block ×4, first 2 shown]
	v_and_b32_e32 v108, 0xf0f0f0f, v85
	v_lshrrev_b32_e32 v85, 4, v85
	v_and_b32_e32 v90, 0xf0f0f0f, v90
	v_and_b32_e32 v94, 0xf0f0f0f, v94
	;; [unrolled: 1-line block ×3, first 2 shown]
	v_dot4_i32_i8 v77, v84, v82, v77
	v_dot4_i32_i8 v80, v110, v78, v80
	;; [unrolled: 1-line block ×4, first 2 shown]
	v_and_b32_e32 v85, 0xf0f0f0f, v85
	v_and_b32_e32 v111, 0xf0f0f0f, v91
	v_lshrrev_b32_e32 v91, 4, v91
	v_and_b32_e32 v115, 0xf0f0f0f, v95
	v_lshrrev_b32_e32 v95, 4, v95
	;; [unrolled: 2-line block ×3, first 2 shown]
	v_dot4_i32_i8 v77, v108, v79, v77
	v_dot4_i32_i8 v78, v90, v82, v80
	;; [unrolled: 1-line block ×4, first 2 shown]
	v_and_b32_e32 v91, 0xf0f0f0f, v91
	v_and_b32_e32 v95, 0xf0f0f0f, v95
	;; [unrolled: 1-line block ×3, first 2 shown]
	v_dot4_i32_i8 v77, v85, v83, v77
	v_dot4_i32_i8 v78, v111, v79, v78
	;; [unrolled: 1-line block ×4, first 2 shown]
	v_cvt_f32_i32_e32 v77, v77
	v_dot4_i32_i8 v78, v91, v83, v78
	v_dot4_i32_i8 v79, v95, v83, v80
	;; [unrolled: 1-line block ×3, first 2 shown]
	v_cvt_f32_i32_e32 v78, v78
	v_cvt_f32_i32_e32 v79, v79
	;; [unrolled: 1-line block ×3, first 2 shown]
	v_fma_mix_f32 v77, v101, v77, v101 op_sel:[0,0,1] op_sel_hi:[1,0,1]
	s_add_i32 s2, s2, 4
	v_add_f32_e32 v5, v5, v77
	v_fma_mix_f32 v77, v102, v78, v102 op_sel:[0,0,1] op_sel_hi:[1,0,1]
	v_fma_mix_f32 v78, v103, v79, v103 op_sel:[0,0,1] op_sel_hi:[1,0,1]
	;; [unrolled: 1-line block ×3, first 2 shown]
	v_add_u32_e32 v75, 16, v75
	v_add_u32_e32 v74, 4, v74
	;; [unrolled: 1-line block ×7, first 2 shown]
	s_cmp_lt_u32 s2, 28
	v_add_f32_e32 v49, v49, v77
	v_add_f32_e32 v46, v46, v78
	;; [unrolled: 1-line block ×3, first 2 shown]
	s_cbranch_scc1 .LBB219_19
; %bb.20:                               ;   in Loop: Header=BB219_5 Depth=1
	s_barrier
	s_branch .LBB219_4
.LBB219_21:
	s_mul_i32 s0, s11, s8
	s_waitcnt vmcnt(0)
	v_cmp_gt_i32_e32 vcc, s0, v4
	s_and_saveexec_b64 s[0:1], vcc
	s_cbranch_execz .LBB219_30
; %bb.22:
	v_mul_lo_u32 v1, v4, s10
	v_add_u32_e32 v0, s18, v0
	v_cmp_gt_u32_e32 vcc, s10, v0
	s_and_saveexec_b64 s[0:1], vcc
	s_cbranch_execz .LBB219_24
; %bb.23:
	v_bfe_u32 v2, v5, 16, 1
	s_movk_i32 s2, 0x7fff
	v_add3_u32 v2, v5, v2, s2
	v_cmp_o_f32_e32 vcc, v5, v5
	v_mov_b32_e32 v4, 0x7fc0
	v_cndmask_b32_sdwa v2, v4, v2, vcc dst_sel:DWORD dst_unused:UNUSED_PAD src0_sel:DWORD src1_sel:WORD_1
	v_add_u32_e32 v4, v1, v0
	v_mov_b32_e32 v5, 0
	v_lshlrev_b64 v[4:5], 1, v[4:5]
	v_mov_b32_e32 v6, s13
	v_add_co_u32_e32 v4, vcc, s12, v4
	v_addc_co_u32_e32 v5, vcc, v6, v5, vcc
	global_store_short v[4:5], v2, off
.LBB219_24:
	s_or_b64 exec, exec, s[0:1]
	v_add_u32_e32 v2, 32, v0
	v_cmp_gt_u32_e32 vcc, s10, v2
	s_and_saveexec_b64 s[0:1], vcc
	s_cbranch_execz .LBB219_26
; %bb.25:
	v_bfe_u32 v4, v49, 16, 1
	s_movk_i32 s2, 0x7fff
	v_add3_u32 v4, v49, v4, s2
	v_cmp_o_f32_e32 vcc, v49, v49
	v_mov_b32_e32 v5, 0x7fc0
	v_cndmask_b32_sdwa v6, v5, v4, vcc dst_sel:DWORD dst_unused:UNUSED_PAD src0_sel:DWORD src1_sel:WORD_1
	v_add_u32_e32 v4, v1, v2
	v_mov_b32_e32 v5, 0
	v_lshlrev_b64 v[4:5], 1, v[4:5]
	v_mov_b32_e32 v2, s13
	v_add_co_u32_e32 v4, vcc, s12, v4
	v_addc_co_u32_e32 v5, vcc, v2, v5, vcc
	global_store_short v[4:5], v6, off
.LBB219_26:
	s_or_b64 exec, exec, s[0:1]
	v_add_u32_e32 v2, 64, v0
	v_cmp_gt_u32_e32 vcc, s10, v2
	s_and_saveexec_b64 s[0:1], vcc
	s_cbranch_execz .LBB219_28
; %bb.27:
	v_bfe_u32 v4, v46, 16, 1
	s_movk_i32 s2, 0x7fff
	v_add3_u32 v4, v46, v4, s2
	v_cmp_o_f32_e32 vcc, v46, v46
	v_mov_b32_e32 v5, 0x7fc0
	v_cndmask_b32_sdwa v6, v5, v4, vcc dst_sel:DWORD dst_unused:UNUSED_PAD src0_sel:DWORD src1_sel:WORD_1
	v_add_u32_e32 v4, v1, v2
	v_mov_b32_e32 v5, 0
	v_lshlrev_b64 v[4:5], 1, v[4:5]
	v_mov_b32_e32 v2, s13
	v_add_co_u32_e32 v4, vcc, s12, v4
	v_addc_co_u32_e32 v5, vcc, v2, v5, vcc
	global_store_short v[4:5], v6, off
.LBB219_28:
	s_or_b64 exec, exec, s[0:1]
	v_add_u32_e32 v0, 0x60, v0
	v_cmp_gt_u32_e32 vcc, s10, v0
	s_and_b64 exec, exec, vcc
	s_cbranch_execz .LBB219_30
; %bb.29:
	v_add_u32_e32 v0, v1, v0
	v_mov_b32_e32 v1, 0
	v_bfe_u32 v2, v3, 16, 1
	s_movk_i32 s0, 0x7fff
	v_lshlrev_b64 v[0:1], 1, v[0:1]
	v_add3_u32 v2, v3, v2, s0
	v_cmp_o_f32_e32 vcc, v3, v3
	v_mov_b32_e32 v3, 0x7fc0
	v_cndmask_b32_sdwa v2, v3, v2, vcc dst_sel:DWORD dst_unused:UNUSED_PAD src0_sel:DWORD src1_sel:WORD_1
	v_mov_b32_e32 v3, s13
	v_add_co_u32_e32 v0, vcc, s12, v0
	v_addc_co_u32_e32 v1, vcc, v3, v1, vcc
	global_store_short v[0:1], v2, off
.LBB219_30:
	s_endpgm
	.section	.rodata,"a",@progbits
	.p2align	6, 0x0
	.amdhsa_kernel _ZL8moe_q4_1IN3c108BFloat16ELb0EEvPKvS3_PT_PKiS7_S7_iiiiiii
		.amdhsa_group_segment_fixed_size 22272
		.amdhsa_private_segment_fixed_size 0
		.amdhsa_kernarg_size 76
		.amdhsa_user_sgpr_count 6
		.amdhsa_user_sgpr_private_segment_buffer 1
		.amdhsa_user_sgpr_dispatch_ptr 0
		.amdhsa_user_sgpr_queue_ptr 0
		.amdhsa_user_sgpr_kernarg_segment_ptr 1
		.amdhsa_user_sgpr_dispatch_id 0
		.amdhsa_user_sgpr_flat_scratch_init 0
		.amdhsa_user_sgpr_private_segment_size 0
		.amdhsa_uses_dynamic_stack 0
		.amdhsa_system_sgpr_private_segment_wavefront_offset 0
		.amdhsa_system_sgpr_workgroup_id_x 1
		.amdhsa_system_sgpr_workgroup_id_y 1
		.amdhsa_system_sgpr_workgroup_id_z 0
		.amdhsa_system_sgpr_workgroup_info 0
		.amdhsa_system_vgpr_workitem_id 1
		.amdhsa_next_free_vgpr 121
		.amdhsa_next_free_sgpr 98
		.amdhsa_reserve_vcc 1
		.amdhsa_reserve_flat_scratch 0
		.amdhsa_float_round_mode_32 0
		.amdhsa_float_round_mode_16_64 0
		.amdhsa_float_denorm_mode_32 3
		.amdhsa_float_denorm_mode_16_64 3
		.amdhsa_dx10_clamp 1
		.amdhsa_ieee_mode 1
		.amdhsa_fp16_overflow 0
		.amdhsa_exception_fp_ieee_invalid_op 0
		.amdhsa_exception_fp_denorm_src 0
		.amdhsa_exception_fp_ieee_div_zero 0
		.amdhsa_exception_fp_ieee_overflow 0
		.amdhsa_exception_fp_ieee_underflow 0
		.amdhsa_exception_fp_ieee_inexact 0
		.amdhsa_exception_int_div_zero 0
	.end_amdhsa_kernel
	.section	.text._ZL8moe_q4_1IN3c108BFloat16ELb0EEvPKvS3_PT_PKiS7_S7_iiiiiii,"axG",@progbits,_ZL8moe_q4_1IN3c108BFloat16ELb0EEvPKvS3_PT_PKiS7_S7_iiiiiii,comdat
.Lfunc_end219:
	.size	_ZL8moe_q4_1IN3c108BFloat16ELb0EEvPKvS3_PT_PKiS7_S7_iiiiiii, .Lfunc_end219-_ZL8moe_q4_1IN3c108BFloat16ELb0EEvPKvS3_PT_PKiS7_S7_iiiiiii
                                        ; -- End function
	.set _ZL8moe_q4_1IN3c108BFloat16ELb0EEvPKvS3_PT_PKiS7_S7_iiiiiii.num_vgpr, 121
	.set _ZL8moe_q4_1IN3c108BFloat16ELb0EEvPKvS3_PT_PKiS7_S7_iiiiiii.num_agpr, 0
	.set _ZL8moe_q4_1IN3c108BFloat16ELb0EEvPKvS3_PT_PKiS7_S7_iiiiiii.numbered_sgpr, 24
	.set _ZL8moe_q4_1IN3c108BFloat16ELb0EEvPKvS3_PT_PKiS7_S7_iiiiiii.num_named_barrier, 0
	.set _ZL8moe_q4_1IN3c108BFloat16ELb0EEvPKvS3_PT_PKiS7_S7_iiiiiii.private_seg_size, 0
	.set _ZL8moe_q4_1IN3c108BFloat16ELb0EEvPKvS3_PT_PKiS7_S7_iiiiiii.uses_vcc, 1
	.set _ZL8moe_q4_1IN3c108BFloat16ELb0EEvPKvS3_PT_PKiS7_S7_iiiiiii.uses_flat_scratch, 0
	.set _ZL8moe_q4_1IN3c108BFloat16ELb0EEvPKvS3_PT_PKiS7_S7_iiiiiii.has_dyn_sized_stack, 0
	.set _ZL8moe_q4_1IN3c108BFloat16ELb0EEvPKvS3_PT_PKiS7_S7_iiiiiii.has_recursion, 0
	.set _ZL8moe_q4_1IN3c108BFloat16ELb0EEvPKvS3_PT_PKiS7_S7_iiiiiii.has_indirect_call, 0
	.section	.AMDGPU.csdata,"",@progbits
; Kernel info:
; codeLenInByte = 4568
; TotalNumSgprs: 28
; NumVgprs: 121
; ScratchSize: 0
; MemoryBound: 0
; FloatMode: 240
; IeeeMode: 1
; LDSByteSize: 22272 bytes/workgroup (compile time only)
; SGPRBlocks: 12
; VGPRBlocks: 30
; NumSGPRsForWavesPerEU: 102
; NumVGPRsForWavesPerEU: 121
; Occupancy: 2
; WaveLimiterHint : 1
; COMPUTE_PGM_RSRC2:SCRATCH_EN: 0
; COMPUTE_PGM_RSRC2:USER_SGPR: 6
; COMPUTE_PGM_RSRC2:TRAP_HANDLER: 0
; COMPUTE_PGM_RSRC2:TGID_X_EN: 1
; COMPUTE_PGM_RSRC2:TGID_Y_EN: 1
; COMPUTE_PGM_RSRC2:TGID_Z_EN: 0
; COMPUTE_PGM_RSRC2:TIDIG_COMP_CNT: 1
	.section	.text._ZL8moe_q4_1IN3c108BFloat16ELb1EEvPKvS3_PT_PKiS7_S7_iiiiiii,"axG",@progbits,_ZL8moe_q4_1IN3c108BFloat16ELb1EEvPKvS3_PT_PKiS7_S7_iiiiiii,comdat
	.globl	_ZL8moe_q4_1IN3c108BFloat16ELb1EEvPKvS3_PT_PKiS7_S7_iiiiiii ; -- Begin function _ZL8moe_q4_1IN3c108BFloat16ELb1EEvPKvS3_PT_PKiS7_S7_iiiiiii
	.p2align	8
	.type	_ZL8moe_q4_1IN3c108BFloat16ELb1EEvPKvS3_PT_PKiS7_S7_iiiiiii,@function
_ZL8moe_q4_1IN3c108BFloat16ELb1EEvPKvS3_PT_PKiS7_S7_iiiiiii: ; @_ZL8moe_q4_1IN3c108BFloat16ELb1EEvPKvS3_PT_PKiS7_S7_iiiiiii
; %bb.0:
	s_load_dwordx4 s[0:3], s[4:5], 0x18
	s_mov_b32 s8, s7
	s_mov_b32 s9, 0
	s_lshl_b64 s[10:11], s[8:9], 2
	s_waitcnt lgkmcnt(0)
	s_add_u32 s2, s2, s10
	s_addc_u32 s3, s3, s11
	s_load_dword s2, s[2:3], 0x0
	s_waitcnt lgkmcnt(0)
	s_cmpk_gt_u32 s2, 0xff
	s_cbranch_scc1 .LBB220_30
; %bb.1:
	s_load_dwordx2 s[10:11], s[4:5], 0x28
	s_lshl_b32 s3, s8, 3
	s_waitcnt lgkmcnt(0)
	s_load_dword s7, s[10:11], 0x0
	s_waitcnt lgkmcnt(0)
	s_cmp_gt_u32 s3, s7
	s_cbranch_scc1 .LBB220_30
; %bb.2:
	v_add_u32_e32 v17, s3, v1
	v_mov_b32_e32 v18, 0
	v_lshlrev_b64 v[2:3], 2, v[17:18]
	v_mov_b32_e32 v4, s1
	v_add_co_u32_e32 v2, vcc, s0, v2
	v_addc_co_u32_e32 v3, vcc, v4, v3, vcc
	global_load_dword v21, v[2:3], off
	s_load_dwordx8 s[8:15], s[4:5], 0x30
	s_load_dwordx2 s[16:17], s[4:5], 0x10
	s_waitcnt lgkmcnt(0)
	s_lshl_b32 s15, s6, 7
	v_mov_b32_e32 v47, v18
	v_mov_b32_e32 v50, v18
	s_cmp_lt_i32 s9, 32
	v_mov_b32_e32 v22, v18
	s_cbranch_scc1 .LBB220_21
; %bb.3:
	s_ashr_i32 s0, s9, 31
	s_lshr_b32 s0, s0, 27
	s_load_dwordx4 s[4:7], s[4:5], 0x0
	s_add_i32 s0, s9, s0
	s_ashr_i32 s20, s0, 5
	s_ashr_i32 s0, s12, 31
	s_lshr_b32 s0, s0, 27
	s_add_i32 s0, s12, s0
	s_mul_i32 s2, s2, s8
	s_ashr_i32 s12, s0, 5
	s_ashr_i32 s0, s2, 31
	s_waitcnt lgkmcnt(0)
	s_add_u32 s1, s4, s2
	s_mul_i32 s2, s20, s15
	s_addc_u32 s0, s5, s0
	s_mul_hi_i32 s3, s2, 20
	s_mul_i32 s2, s2, 20
	s_add_u32 s8, s1, s2
	s_addc_u32 s21, s0, s3
	s_not_b32 s0, s15
	s_add_i32 s2, s10, s0
	v_lshlrev_b32_e32 v19, 2, v0
	v_min_i32_e32 v2, s2, v1
	s_movk_i32 s18, 0x84
	v_mul_lo_u32 v25, v2, s20
	v_mad_u64_u32 v[2:3], s[0:1], v2, s18, v[19:20]
	v_add_u32_e32 v3, 8, v1
	v_min_i32_e32 v3, s2, v3
	v_mul_lo_u32 v26, v3, s20
	v_mad_u64_u32 v[3:4], s[0:1], v3, s18, v[19:20]
	v_add_u32_e32 v4, 16, v1
	v_min_i32_e32 v4, s2, v4
	;; [unrolled: 4-line block ×15, first 2 shown]
	v_mul_lo_u32 v40, v17, s20
	v_mad_u64_u32 v[17:18], s[0:1], v17, s18, v[19:20]
	v_lshrrev_b32_e32 v42, 3, v0
	v_lshl_add_u32 v18, v1, 2, v42
	v_min_i32_e32 v20, s2, v18
	v_ashrrev_i32_e32 v44, 31, v20
	v_lshrrev_b32_e32 v44, 30, v44
	v_mul_lo_u32 v43, v20, s20
	v_add_u32_e32 v44, v20, v44
	v_lshlrev_b32_e32 v65, 5, v20
	v_add_u32_e32 v20, 32, v18
	v_min_i32_e32 v20, s2, v20
	v_and_b32_e32 v41, 7, v0
	v_ashrrev_i32_e32 v45, 31, v20
	v_and_b32_e32 v44, -4, v44
	v_lshlrev_b32_e32 v47, 2, v41
	s_movk_i32 s0, 0x4200
	v_lshrrev_b32_e32 v45, 30, v45
	v_add3_u32 v50, v44, v47, s0
	v_mul_lo_u32 v44, v20, s20
	v_add_u32_e32 v45, v20, v45
	v_lshlrev_b32_e32 v67, 5, v20
	v_add_u32_e32 v20, 64, v18
	v_min_i32_e32 v20, s2, v20
	v_ashrrev_i32_e32 v46, 31, v20
	v_add_u32_e32 v18, 0x60, v18
	v_and_b32_e32 v45, -4, v45
	v_lshrrev_b32_e32 v46, 30, v46
	v_min_i32_e32 v18, s2, v18
	v_add3_u32 v66, v45, v47, s0
	v_mul_lo_u32 v45, v20, s20
	v_add_u32_e32 v46, v20, v46
	v_lshlrev_b32_e32 v69, 5, v20
	v_ashrrev_i32_e32 v20, 31, v18
	v_lshrrev_b32_e32 v20, 30, v20
	v_add_u32_e32 v20, v18, v20
	v_and_b32_e32 v46, -4, v46
	v_and_b32_e32 v20, -4, v20
	s_abs_i32 s2, s14
	v_add3_u32 v68, v46, v47, s0
	v_add3_u32 v47, v20, v47, s0
	v_cvt_f32_u32_e32 v20, s2
	s_sub_i32 s0, 0, s2
	v_mov_b32_e32 v48, 0x5280
	v_mov_b32_e32 v51, 0x5680
	v_rcp_iflag_f32_e32 v20, v20
	v_lshl_add_u32 v48, v1, 7, v48
	v_lshl_add_u32 v1, v1, 4, v51
	v_and_b32_e32 v24, 12, v19
	v_mul_f32_e32 v20, 0x4f7ffffe, v20
	v_cvt_u32_f32_e32 v20, v20
	v_and_b32_e32 v55, 28, v19
	v_add_u32_e32 v51, v1, v19
	s_waitcnt vmcnt(0)
	v_xor_b32_e32 v59, s14, v21
	v_mul_lo_u32 v52, s0, v20
	v_ashrrev_i32_e32 v59, 31, v59
	v_mul_lo_u32 v46, v18, s20
	v_add_u32_e32 v58, 32, v0
	v_mul_hi_u32 v19, v20, v52
	v_sub_u32_e32 v52, 0, v21
	v_max_i32_e32 v54, v21, v52
	v_add_u32_e32 v57, 64, v0
	v_add_u32_e32 v19, v20, v19
	v_mul_hi_u32 v19, v54, v19
	v_add_u32_e32 v56, 0x60, v0
	v_lshrrev_b32_e32 v53, 3, v58
	v_and_b32_e32 v56, 0x1fc, v56
	v_mul_lo_u32 v20, v19, s2
	v_and_b32_e32 v57, 0x1fc, v57
	v_and_b32_e32 v58, 0x1fc, v58
	;; [unrolled: 1-line block ×3, first 2 shown]
	v_sub_u32_e32 v20, v54, v20
	v_add_u32_e32 v54, 1, v19
	v_cmp_le_u32_e64 s[0:1], s2, v20
	v_cndmask_b32_e64 v19, v19, v54, s[0:1]
	v_subrev_u32_e32 v54, s2, v20
	v_cndmask_b32_e64 v20, v20, v54, s[0:1]
	v_add_u32_e32 v54, 1, v19
	v_cmp_le_u32_e64 s[0:1], s2, v20
	v_cndmask_b32_e64 v19, v19, v54, s[0:1]
	v_xor_b32_e32 v19, v19, v59
	v_sub_u32_e32 v19, v19, v59
	v_mul_lo_u32 v54, v19, s12
	v_lshlrev_b32_e32 v59, 5, v0
	v_lshlrev_b32_e32 v18, 5, v18
	v_and_b32_e32 v49, 31, v0
	v_cmp_gt_u32_e32 vcc, 4, v0
	v_cmp_gt_i32_e64 s[0:1], s11, v19
	v_mov_b32_e32 v20, s7
	v_add_co_u32_e64 v19, s[2:3], s6, v55
	v_add_u32_e32 v61, v59, v56
	v_add_u32_e32 v62, v59, v57
	;; [unrolled: 1-line block ×4, first 2 shown]
	v_lshrrev_b32_e32 v23, 2, v0
	v_mov_b32_e32 v22, 0
	v_lshl_or_b32 v49, v49, 2, v48
	v_mul_u32_u24_e32 v52, 0x84, v0
	s_mov_b32 s10, 0
	v_addc_co_u32_e64 v20, s[2:3], 0, v20, s[2:3]
	s_and_b64 s[4:5], vcc, s[0:1]
	v_ashrrev_i32_e32 v55, 31, v54
	v_add_u32_e32 v56, 0x4e00, v61
	v_add_u32_e32 v57, 0x4a00, v62
	;; [unrolled: 1-line block ×4, first 2 shown]
	v_mad_u32_u24 v60, v0, s18, 64
	v_add_u32_e32 v61, 0x4e10, v61
	v_add_u32_e32 v62, 0x4a10, v62
	;; [unrolled: 1-line block ×8, first 2 shown]
	v_mov_b32_e32 v50, 0
	v_mov_b32_e32 v47, 0
	;; [unrolled: 1-line block ×3, first 2 shown]
	s_branch .LBB220_5
.LBB220_4:                              ;   in Loop: Header=BB220_5 Depth=1
	s_add_i32 s10, s10, 8
	s_cmp_ge_i32 s10, s20
	s_cbranch_scc1 .LBB220_21
.LBB220_5:                              ; =>This Loop Header: Depth=1
                                        ;     Child Loop BB220_11 Depth 2
                                        ;     Child Loop BB220_19 Depth 2
	s_mul_i32 s3, s10, 20
	s_mul_hi_u32 s2, s10, 20
	s_add_u32 s18, s8, s3
	s_addc_u32 s19, s21, s2
	v_mad_u64_u32 v[69:70], s[2:3], v23, 20, s[18:19]
	v_mad_i64_i32 v[71:72], s[2:3], v25, 20, v[69:70]
	v_mad_i64_i32 v[73:74], s[2:3], v26, 20, v[69:70]
	v_add_co_u32_e64 v71, s[2:3], v71, v24
	v_addc_co_u32_e64 v72, s[2:3], 0, v72, s[2:3]
	v_add_co_u32_e64 v73, s[2:3], v73, v24
	v_addc_co_u32_e64 v74, s[2:3], 0, v74, s[2:3]
	v_mad_i64_i32 v[75:76], s[2:3], v27, 20, v[69:70]
	v_mad_i64_i32 v[77:78], s[2:3], v28, 20, v[69:70]
	v_add_co_u32_e64 v75, s[2:3], v75, v24
	v_addc_co_u32_e64 v76, s[2:3], 0, v76, s[2:3]
	v_add_co_u32_e64 v77, s[2:3], v77, v24
	v_addc_co_u32_e64 v78, s[2:3], 0, v78, s[2:3]
	;; [unrolled: 6-line block ×4, first 2 shown]
	global_load_dword v87, v[71:72], off offset:4
	global_load_dword v88, v[73:74], off offset:4
	;; [unrolled: 1-line block ×8, first 2 shown]
	v_mad_i64_i32 v[71:72], s[2:3], v33, 20, v[69:70]
	v_mad_i64_i32 v[73:74], s[2:3], v34, 20, v[69:70]
	v_add_co_u32_e64 v71, s[2:3], v71, v24
	v_addc_co_u32_e64 v72, s[2:3], 0, v72, s[2:3]
	v_add_co_u32_e64 v73, s[2:3], v73, v24
	v_addc_co_u32_e64 v74, s[2:3], 0, v74, s[2:3]
	v_mad_i64_i32 v[75:76], s[2:3], v35, 20, v[69:70]
	v_mad_i64_i32 v[77:78], s[2:3], v36, 20, v[69:70]
	v_add_co_u32_e64 v75, s[2:3], v75, v24
	v_addc_co_u32_e64 v76, s[2:3], 0, v76, s[2:3]
	v_add_co_u32_e64 v77, s[2:3], v77, v24
	v_addc_co_u32_e64 v78, s[2:3], 0, v78, s[2:3]
	;; [unrolled: 6-line block ×4, first 2 shown]
	v_mad_u64_u32 v[85:86], s[2:3], v41, 20, s[18:19]
	global_load_dword v95, v[71:72], off offset:4
	global_load_dword v96, v[73:74], off offset:4
	global_load_dword v97, v[75:76], off offset:4
	s_nop 0
	global_load_dword v77, v[77:78], off offset:4
	s_nop 0
	global_load_dword v78, v[79:80], off offset:4
	;; [unrolled: 2-line block ×3, first 2 shown]
	global_load_dword v80, v[83:84], off offset:4
	s_nop 0
	global_load_dword v81, v[69:70], off offset:4
	s_lshl_b32 s18, s10, 5
	v_mad_i64_i32 v[69:70], s[2:3], v43, 20, v[85:86]
	v_mad_i64_i32 v[71:72], s[2:3], v44, 20, v[85:86]
	;; [unrolled: 1-line block ×4, first 2 shown]
	global_load_dword v69, v[69:70], off
	s_nop 0
	global_load_dword v70, v[71:72], off
	s_nop 0
	global_load_dword v71, v[73:74], off
	global_load_dword v72, v[75:76], off
	s_cmp_lt_i32 s18, s9
	s_waitcnt vmcnt(19)
	ds_write_b32 v2, v87
	s_waitcnt vmcnt(18)
	ds_write_b32 v3, v88
	;; [unrolled: 2-line block ×20, first 2 shown]
	s_cbranch_scc0 .LBB220_4
; %bb.6:                                ;   in Loop: Header=BB220_5 Depth=1
	v_add_u32_e32 v69, s10, v42
	v_cmp_gt_i32_e64 s[2:3], s12, v69
	s_and_b64 s[22:23], s[0:1], s[2:3]
	s_and_saveexec_b64 s[2:3], s[22:23]
	s_cbranch_execz .LBB220_8
; %bb.7:                                ;   in Loop: Header=BB220_5 Depth=1
	v_add_u32_e32 v69, v54, v69
	v_mad_i64_i32 v[69:70], s[22:23], v69, 36, v[19:20]
	global_load_dword v69, v[69:70], off offset:4
	s_waitcnt vmcnt(0)
	ds_write_b32 v49, v69
.LBB220_8:                              ;   in Loop: Header=BB220_5 Depth=1
	s_or_b64 exec, exec, s[2:3]
	v_add_u32_e32 v69, s10, v0
	v_cmp_gt_i32_e64 s[2:3], s12, v69
	s_and_b64 s[22:23], s[4:5], s[2:3]
	s_and_saveexec_b64 s[2:3], s[22:23]
	s_cbranch_execz .LBB220_10
; %bb.9:                                ;   in Loop: Header=BB220_5 Depth=1
	v_add_u32_e32 v70, v54, v69
	v_mad_i64_i32 v[70:71], s[22:23], v70, 36, s[6:7]
	global_load_dword v70, v[70:71], off
	s_waitcnt vmcnt(0)
	ds_write_b32 v51, v70
.LBB220_10:                             ;   in Loop: Header=BB220_5 Depth=1
	s_or_b64 exec, exec, s[2:3]
	s_mov_b32 s2, -4
	v_mov_b32_e32 v70, v48
	v_mov_b32_e32 v71, v1
	;; [unrolled: 1-line block ×7, first 2 shown]
	s_waitcnt lgkmcnt(0)
	s_barrier
.LBB220_11:                             ;   Parent Loop BB220_5 Depth=1
                                        ; =>  This Inner Loop Header: Depth=2
	ds_read_b128 v[77:80], v70
	ds_read_b128 v[81:84], v70 offset:16
	ds_read2_b32 v[85:86], v76 offset0:2 offset1:3
	v_add_u32_e32 v89, 0x1080, v76
	v_add_u32_e32 v91, 0x1088, v76
	;; [unrolled: 1-line block ×5, first 2 shown]
	ds_read_b32 v101, v71
	ds_read_b32 v102, v72
	ds_read2_b32 v[87:88], v76 offset1:1
	ds_read_b32 v103, v73
	ds_read_b32 v104, v74
	;; [unrolled: 1-line block ×3, first 2 shown]
	v_add_u32_e32 v99, 0x3188, v76
	ds_read2_b32 v[89:90], v89 offset1:1
	ds_read2_b32 v[91:92], v91 offset1:1
	;; [unrolled: 1-line block ×6, first 2 shown]
	s_waitcnt lgkmcnt(9)
	v_and_b32_e32 v106, 0xf0f0f0f, v87
	v_lshrrev_b32_e32 v87, 4, v87
	v_pk_mul_f16 v102, v101, v102
	s_waitcnt lgkmcnt(8)
	v_pk_mul_f16 v103, v101, v103
	s_waitcnt lgkmcnt(7)
	;; [unrolled: 2-line block ×3, first 2 shown]
	v_pk_mul_f16 v101, v101, v105
	v_and_b32_e32 v87, 0xf0f0f0f, v87
	v_dot4_i32_i8 v105, v106, v77, 0
	s_waitcnt lgkmcnt(5)
	v_and_b32_e32 v106, 0xf0f0f0f, v89
	v_lshrrev_b32_e32 v89, 4, v89
	s_waitcnt lgkmcnt(3)
	v_and_b32_e32 v113, 0xf0f0f0f, v93
	v_lshrrev_b32_e32 v93, 4, v93
	;; [unrolled: 3-line block ×3, first 2 shown]
	v_and_b32_e32 v107, 0xf0f0f0f, v88
	v_lshrrev_b32_e32 v88, 4, v88
	v_dot4_i32_i8 v87, v87, v81, v105
	v_and_b32_e32 v89, 0xf0f0f0f, v89
	v_dot4_i32_i8 v105, v106, v77, 0
	v_and_b32_e32 v93, 0xf0f0f0f, v93
	;; [unrolled: 2-line block ×4, first 2 shown]
	v_and_b32_e32 v110, 0xf0f0f0f, v90
	v_lshrrev_b32_e32 v90, 4, v90
	v_and_b32_e32 v114, 0xf0f0f0f, v94
	v_lshrrev_b32_e32 v94, 4, v94
	v_and_b32_e32 v118, 0xf0f0f0f, v98
	v_lshrrev_b32_e32 v98, 4, v98
	v_dot4_i32_i8 v87, v107, v78, v87
	v_dot4_i32_i8 v89, v89, v81, v105
	;; [unrolled: 1-line block ×4, first 2 shown]
	v_and_b32_e32 v108, 0xf0f0f0f, v85
	v_lshrrev_b32_e32 v85, 4, v85
	v_and_b32_e32 v90, 0xf0f0f0f, v90
	v_and_b32_e32 v94, 0xf0f0f0f, v94
	;; [unrolled: 1-line block ×3, first 2 shown]
	v_dot4_i32_i8 v81, v88, v82, v87
	v_dot4_i32_i8 v87, v110, v78, v89
	;; [unrolled: 1-line block ×4, first 2 shown]
	v_and_b32_e32 v85, 0xf0f0f0f, v85
	v_and_b32_e32 v111, 0xf0f0f0f, v91
	v_lshrrev_b32_e32 v91, 4, v91
	v_and_b32_e32 v115, 0xf0f0f0f, v95
	v_lshrrev_b32_e32 v95, 4, v95
	s_waitcnt lgkmcnt(0)
	v_and_b32_e32 v119, 0xf0f0f0f, v99
	v_lshrrev_b32_e32 v99, 4, v99
	v_dot4_i32_i8 v78, v108, v79, v81
	v_dot4_i32_i8 v81, v90, v82, v87
	;; [unrolled: 1-line block ×4, first 2 shown]
	v_and_b32_e32 v109, 0xf0f0f0f, v86
	v_lshrrev_b32_e32 v86, 4, v86
	v_and_b32_e32 v91, 0xf0f0f0f, v91
	v_and_b32_e32 v95, 0xf0f0f0f, v95
	;; [unrolled: 1-line block ×3, first 2 shown]
	v_dot4_i32_i8 v78, v85, v83, v78
	v_dot4_i32_i8 v81, v111, v79, v81
	;; [unrolled: 1-line block ×4, first 2 shown]
	v_and_b32_e32 v86, 0xf0f0f0f, v86
	v_and_b32_e32 v112, 0xf0f0f0f, v92
	v_lshrrev_b32_e32 v92, 4, v92
	v_and_b32_e32 v116, 0xf0f0f0f, v96
	v_lshrrev_b32_e32 v96, 4, v96
	v_and_b32_e32 v120, 0xf0f0f0f, v100
	v_lshrrev_b32_e32 v100, 4, v100
	v_dot4_i32_i8 v78, v109, v80, v78
	v_dot4_i32_i8 v79, v91, v83, v81
	;; [unrolled: 1-line block ×4, first 2 shown]
	v_and_b32_e32 v92, 0xf0f0f0f, v92
	v_and_b32_e32 v96, 0xf0f0f0f, v96
	;; [unrolled: 1-line block ×3, first 2 shown]
	v_dot4_i32_i8 v78, v86, v84, v78
	v_dot4_i32_i8 v79, v112, v80, v79
	v_dot4_i32_i8 v81, v116, v80, v81
	v_dot4_i32_i8 v77, v120, v80, v77
	v_cvt_f32_i32_e32 v78, v78
	v_dot4_i32_i8 v79, v92, v84, v79
	v_dot4_i32_i8 v80, v96, v84, v81
	;; [unrolled: 1-line block ×3, first 2 shown]
	v_cvt_f32_i32_e32 v79, v79
	v_cvt_f32_i32_e32 v80, v80
	;; [unrolled: 1-line block ×3, first 2 shown]
	v_fma_mix_f32 v78, v102, v78, v102 op_sel:[0,0,1] op_sel_hi:[1,0,1]
	s_add_i32 s2, s2, 4
	v_add_f32_e32 v22, v22, v78
	v_fma_mix_f32 v78, v103, v79, v103 op_sel:[0,0,1] op_sel_hi:[1,0,1]
	v_fma_mix_f32 v79, v104, v80, v104 op_sel:[0,0,1] op_sel_hi:[1,0,1]
	;; [unrolled: 1-line block ×3, first 2 shown]
	v_add_u32_e32 v76, 16, v76
	v_add_u32_e32 v75, 4, v75
	;; [unrolled: 1-line block ×7, first 2 shown]
	s_cmp_lt_u32 s2, 12
	v_add_f32_e32 v50, v50, v78
	v_add_f32_e32 v47, v47, v79
	;; [unrolled: 1-line block ×3, first 2 shown]
	s_cbranch_scc1 .LBB220_11
; %bb.12:                               ;   in Loop: Header=BB220_5 Depth=1
	s_bitset1_b32 s18, 7
	s_cmp_ge_i32 s18, s9
	s_barrier
	s_cbranch_scc1 .LBB220_4
; %bb.13:                               ;   in Loop: Header=BB220_5 Depth=1
	v_add_u32_e32 v70, s10, v53
	v_cmp_gt_i32_e64 s[2:3], s12, v70
	s_and_b64 s[18:19], s[0:1], s[2:3]
	s_and_saveexec_b64 s[2:3], s[18:19]
	s_cbranch_execz .LBB220_15
; %bb.14:                               ;   in Loop: Header=BB220_5 Depth=1
	v_add_u32_e32 v70, v54, v70
	v_mad_i64_i32 v[70:71], s[18:19], v70, 36, v[19:20]
	global_load_dword v70, v[70:71], off offset:4
	s_waitcnt vmcnt(0)
	ds_write_b32 v49, v70
.LBB220_15:                             ;   in Loop: Header=BB220_5 Depth=1
	s_or_b64 exec, exec, s[2:3]
	s_and_saveexec_b64 s[18:19], vcc
	s_cbranch_execz .LBB220_18
; %bb.16:                               ;   in Loop: Header=BB220_5 Depth=1
	v_or_b32_e32 v70, 4, v69
	v_cmp_gt_i32_e64 s[2:3], s12, v70
	s_and_b64 s[2:3], s[0:1], s[2:3]
	s_and_b64 exec, exec, s[2:3]
	s_cbranch_execz .LBB220_18
; %bb.17:                               ;   in Loop: Header=BB220_5 Depth=1
	v_ashrrev_i32_e32 v70, 31, v69
	v_add_co_u32_e64 v69, s[2:3], v54, v69
	v_addc_co_u32_e64 v71, s[2:3], v55, v70, s[2:3]
	v_mad_u64_u32 v[69:70], s[2:3], v69, 36, s[6:7]
	v_mad_i32_i24 v70, v71, 36, v70
	global_load_dword v69, v[69:70], off offset:144
	s_waitcnt vmcnt(0)
	ds_write_b32 v51, v69
.LBB220_18:                             ;   in Loop: Header=BB220_5 Depth=1
	s_or_b64 exec, exec, s[18:19]
	s_mov_b32 s2, 12
	v_mov_b32_e32 v69, v1
	v_mov_b32_e32 v70, v48
	;; [unrolled: 1-line block ×7, first 2 shown]
	s_waitcnt lgkmcnt(0)
	s_barrier
.LBB220_19:                             ;   Parent Loop BB220_5 Depth=1
                                        ; =>  This Inner Loop Header: Depth=2
	ds_read_b128 v[76:79], v70
	ds_read_b128 v[80:83], v70 offset:16
	ds_read_b32 v100, v69
	ds_read2_b32 v[84:85], v75 offset0:2 offset1:3
	v_add_u32_e32 v88, 0x1080, v75
	v_add_u32_e32 v90, 0x1088, v75
	v_add_u32_e32 v92, 0x2100, v75
	v_add_u32_e32 v94, 0x2108, v75
	v_add_u32_e32 v96, 0x3180, v75
	ds_read_b32 v101, v71
	ds_read2_b32 v[86:87], v75 offset1:1
	ds_read_b32 v102, v72
	ds_read_b32 v103, v73
	;; [unrolled: 1-line block ×3, first 2 shown]
	v_add_u32_e32 v98, 0x3188, v75
	ds_read2_b32 v[88:89], v88 offset1:1
	ds_read2_b32 v[90:91], v90 offset1:1
	;; [unrolled: 1-line block ×6, first 2 shown]
	s_waitcnt lgkmcnt(9)
	v_and_b32_e32 v105, 0xf0f0f0f, v86
	v_lshrrev_b32_e32 v86, 4, v86
	v_pk_mul_f16 v101, v100, v101
	s_waitcnt lgkmcnt(8)
	v_pk_mul_f16 v102, v100, v102
	s_waitcnt lgkmcnt(7)
	;; [unrolled: 2-line block ×3, first 2 shown]
	v_pk_mul_f16 v100, v100, v104
	v_and_b32_e32 v86, 0xf0f0f0f, v86
	v_dot4_i32_i8 v104, v105, v76, 0
	s_waitcnt lgkmcnt(5)
	v_and_b32_e32 v105, 0xf0f0f0f, v88
	v_lshrrev_b32_e32 v88, 4, v88
	s_waitcnt lgkmcnt(3)
	v_and_b32_e32 v112, 0xf0f0f0f, v92
	v_lshrrev_b32_e32 v92, 4, v92
	;; [unrolled: 3-line block ×3, first 2 shown]
	v_and_b32_e32 v106, 0xf0f0f0f, v87
	v_lshrrev_b32_e32 v87, 4, v87
	v_dot4_i32_i8 v86, v86, v80, v104
	v_and_b32_e32 v88, 0xf0f0f0f, v88
	v_dot4_i32_i8 v104, v105, v76, 0
	v_and_b32_e32 v92, 0xf0f0f0f, v92
	;; [unrolled: 2-line block ×4, first 2 shown]
	v_and_b32_e32 v109, 0xf0f0f0f, v89
	v_lshrrev_b32_e32 v89, 4, v89
	v_and_b32_e32 v113, 0xf0f0f0f, v93
	v_lshrrev_b32_e32 v93, 4, v93
	;; [unrolled: 2-line block ×3, first 2 shown]
	v_dot4_i32_i8 v86, v106, v77, v86
	v_dot4_i32_i8 v88, v88, v80, v104
	;; [unrolled: 1-line block ×4, first 2 shown]
	v_and_b32_e32 v107, 0xf0f0f0f, v84
	v_lshrrev_b32_e32 v84, 4, v84
	v_and_b32_e32 v89, 0xf0f0f0f, v89
	v_and_b32_e32 v93, 0xf0f0f0f, v93
	;; [unrolled: 1-line block ×3, first 2 shown]
	v_dot4_i32_i8 v80, v87, v81, v86
	v_dot4_i32_i8 v86, v109, v77, v88
	;; [unrolled: 1-line block ×4, first 2 shown]
	v_and_b32_e32 v84, 0xf0f0f0f, v84
	v_and_b32_e32 v110, 0xf0f0f0f, v90
	v_lshrrev_b32_e32 v90, 4, v90
	v_and_b32_e32 v114, 0xf0f0f0f, v94
	v_lshrrev_b32_e32 v94, 4, v94
	s_waitcnt lgkmcnt(0)
	v_and_b32_e32 v118, 0xf0f0f0f, v98
	v_lshrrev_b32_e32 v98, 4, v98
	v_dot4_i32_i8 v77, v107, v78, v80
	v_dot4_i32_i8 v80, v89, v81, v86
	;; [unrolled: 1-line block ×4, first 2 shown]
	v_and_b32_e32 v108, 0xf0f0f0f, v85
	v_lshrrev_b32_e32 v85, 4, v85
	v_and_b32_e32 v90, 0xf0f0f0f, v90
	v_and_b32_e32 v94, 0xf0f0f0f, v94
	;; [unrolled: 1-line block ×3, first 2 shown]
	v_dot4_i32_i8 v77, v84, v82, v77
	v_dot4_i32_i8 v80, v110, v78, v80
	v_dot4_i32_i8 v81, v114, v78, v86
	v_dot4_i32_i8 v76, v118, v78, v76
	v_and_b32_e32 v85, 0xf0f0f0f, v85
	v_and_b32_e32 v111, 0xf0f0f0f, v91
	v_lshrrev_b32_e32 v91, 4, v91
	v_and_b32_e32 v115, 0xf0f0f0f, v95
	v_lshrrev_b32_e32 v95, 4, v95
	;; [unrolled: 2-line block ×3, first 2 shown]
	v_dot4_i32_i8 v77, v108, v79, v77
	v_dot4_i32_i8 v78, v90, v82, v80
	;; [unrolled: 1-line block ×4, first 2 shown]
	v_and_b32_e32 v91, 0xf0f0f0f, v91
	v_and_b32_e32 v95, 0xf0f0f0f, v95
	v_and_b32_e32 v99, 0xf0f0f0f, v99
	v_dot4_i32_i8 v77, v85, v83, v77
	v_dot4_i32_i8 v78, v111, v79, v78
	;; [unrolled: 1-line block ×4, first 2 shown]
	v_cvt_f32_i32_e32 v77, v77
	v_dot4_i32_i8 v78, v91, v83, v78
	v_dot4_i32_i8 v79, v95, v83, v80
	;; [unrolled: 1-line block ×3, first 2 shown]
	v_cvt_f32_i32_e32 v78, v78
	v_cvt_f32_i32_e32 v79, v79
	;; [unrolled: 1-line block ×3, first 2 shown]
	v_fma_mix_f32 v77, v101, v77, v101 op_sel:[0,0,1] op_sel_hi:[1,0,1]
	s_add_i32 s2, s2, 4
	v_add_f32_e32 v22, v22, v77
	v_fma_mix_f32 v77, v102, v78, v102 op_sel:[0,0,1] op_sel_hi:[1,0,1]
	v_fma_mix_f32 v78, v103, v79, v103 op_sel:[0,0,1] op_sel_hi:[1,0,1]
	;; [unrolled: 1-line block ×3, first 2 shown]
	v_add_u32_e32 v75, 16, v75
	v_add_u32_e32 v74, 4, v74
	;; [unrolled: 1-line block ×7, first 2 shown]
	s_cmp_lt_u32 s2, 28
	v_add_f32_e32 v50, v50, v77
	v_add_f32_e32 v47, v47, v78
	;; [unrolled: 1-line block ×3, first 2 shown]
	s_cbranch_scc1 .LBB220_19
; %bb.20:                               ;   in Loop: Header=BB220_5 Depth=1
	s_barrier
	s_branch .LBB220_4
.LBB220_21:
	s_mul_i32 s0, s14, s11
	s_waitcnt vmcnt(0)
	v_cmp_gt_i32_e32 vcc, s0, v21
	s_and_saveexec_b64 s[0:1], vcc
	s_cbranch_execz .LBB220_30
; %bb.22:
	v_mul_lo_u32 v1, v21, s13
	v_add_u32_e32 v0, s15, v0
	v_cmp_gt_u32_e32 vcc, s13, v0
	s_and_saveexec_b64 s[0:1], vcc
	s_cbranch_execz .LBB220_24
; %bb.23:
	v_bfe_u32 v2, v22, 16, 1
	s_movk_i32 s2, 0x7fff
	v_add3_u32 v2, v22, v2, s2
	v_cmp_o_f32_e32 vcc, v22, v22
	v_mov_b32_e32 v3, 0x7fc0
	v_cndmask_b32_sdwa v4, v3, v2, vcc dst_sel:DWORD dst_unused:UNUSED_PAD src0_sel:DWORD src1_sel:WORD_1
	v_add_u32_e32 v2, v1, v0
	v_mov_b32_e32 v3, 0
	v_lshlrev_b64 v[2:3], 1, v[2:3]
	v_mov_b32_e32 v5, s17
	v_add_co_u32_e32 v2, vcc, s16, v2
	v_addc_co_u32_e32 v3, vcc, v5, v3, vcc
	global_store_short v[2:3], v4, off
.LBB220_24:
	s_or_b64 exec, exec, s[0:1]
	v_add_u32_e32 v2, 32, v0
	v_cmp_gt_u32_e32 vcc, s13, v2
	s_and_saveexec_b64 s[0:1], vcc
	s_cbranch_execz .LBB220_26
; %bb.25:
	v_bfe_u32 v3, v50, 16, 1
	s_movk_i32 s2, 0x7fff
	v_add3_u32 v3, v50, v3, s2
	v_cmp_o_f32_e32 vcc, v50, v50
	v_mov_b32_e32 v4, 0x7fc0
	v_cndmask_b32_sdwa v4, v4, v3, vcc dst_sel:DWORD dst_unused:UNUSED_PAD src0_sel:DWORD src1_sel:WORD_1
	v_add_u32_e32 v2, v1, v2
	v_mov_b32_e32 v3, 0
	v_lshlrev_b64 v[2:3], 1, v[2:3]
	v_mov_b32_e32 v5, s17
	v_add_co_u32_e32 v2, vcc, s16, v2
	v_addc_co_u32_e32 v3, vcc, v5, v3, vcc
	global_store_short v[2:3], v4, off
.LBB220_26:
	s_or_b64 exec, exec, s[0:1]
	v_add_u32_e32 v2, 64, v0
	v_cmp_gt_u32_e32 vcc, s13, v2
	s_and_saveexec_b64 s[0:1], vcc
	s_cbranch_execz .LBB220_28
; %bb.27:
	v_bfe_u32 v3, v47, 16, 1
	s_movk_i32 s2, 0x7fff
	v_add3_u32 v3, v47, v3, s2
	v_cmp_o_f32_e32 vcc, v47, v47
	v_mov_b32_e32 v4, 0x7fc0
	v_cndmask_b32_sdwa v4, v4, v3, vcc dst_sel:DWORD dst_unused:UNUSED_PAD src0_sel:DWORD src1_sel:WORD_1
	v_add_u32_e32 v2, v1, v2
	v_mov_b32_e32 v3, 0
	v_lshlrev_b64 v[2:3], 1, v[2:3]
	v_mov_b32_e32 v5, s17
	v_add_co_u32_e32 v2, vcc, s16, v2
	v_addc_co_u32_e32 v3, vcc, v5, v3, vcc
	global_store_short v[2:3], v4, off
.LBB220_28:
	s_or_b64 exec, exec, s[0:1]
	v_add_u32_e32 v0, 0x60, v0
	v_cmp_gt_u32_e32 vcc, s13, v0
	s_and_b64 exec, exec, vcc
	s_cbranch_execz .LBB220_30
; %bb.29:
	v_add_u32_e32 v0, v1, v0
	v_mov_b32_e32 v1, 0
	v_bfe_u32 v2, v18, 16, 1
	s_movk_i32 s0, 0x7fff
	v_lshlrev_b64 v[0:1], 1, v[0:1]
	v_add3_u32 v2, v18, v2, s0
	v_cmp_o_f32_e32 vcc, v18, v18
	v_mov_b32_e32 v3, 0x7fc0
	v_cndmask_b32_sdwa v2, v3, v2, vcc dst_sel:DWORD dst_unused:UNUSED_PAD src0_sel:DWORD src1_sel:WORD_1
	v_mov_b32_e32 v3, s17
	v_add_co_u32_e32 v0, vcc, s16, v0
	v_addc_co_u32_e32 v1, vcc, v3, v1, vcc
	global_store_short v[0:1], v2, off
.LBB220_30:
	s_endpgm
	.section	.rodata,"a",@progbits
	.p2align	6, 0x0
	.amdhsa_kernel _ZL8moe_q4_1IN3c108BFloat16ELb1EEvPKvS3_PT_PKiS7_S7_iiiiiii
		.amdhsa_group_segment_fixed_size 22272
		.amdhsa_private_segment_fixed_size 0
		.amdhsa_kernarg_size 76
		.amdhsa_user_sgpr_count 6
		.amdhsa_user_sgpr_private_segment_buffer 1
		.amdhsa_user_sgpr_dispatch_ptr 0
		.amdhsa_user_sgpr_queue_ptr 0
		.amdhsa_user_sgpr_kernarg_segment_ptr 1
		.amdhsa_user_sgpr_dispatch_id 0
		.amdhsa_user_sgpr_flat_scratch_init 0
		.amdhsa_user_sgpr_private_segment_size 0
		.amdhsa_uses_dynamic_stack 0
		.amdhsa_system_sgpr_private_segment_wavefront_offset 0
		.amdhsa_system_sgpr_workgroup_id_x 1
		.amdhsa_system_sgpr_workgroup_id_y 1
		.amdhsa_system_sgpr_workgroup_id_z 0
		.amdhsa_system_sgpr_workgroup_info 0
		.amdhsa_system_vgpr_workitem_id 1
		.amdhsa_next_free_vgpr 121
		.amdhsa_next_free_sgpr 98
		.amdhsa_reserve_vcc 1
		.amdhsa_reserve_flat_scratch 0
		.amdhsa_float_round_mode_32 0
		.amdhsa_float_round_mode_16_64 0
		.amdhsa_float_denorm_mode_32 3
		.amdhsa_float_denorm_mode_16_64 3
		.amdhsa_dx10_clamp 1
		.amdhsa_ieee_mode 1
		.amdhsa_fp16_overflow 0
		.amdhsa_exception_fp_ieee_invalid_op 0
		.amdhsa_exception_fp_denorm_src 0
		.amdhsa_exception_fp_ieee_div_zero 0
		.amdhsa_exception_fp_ieee_overflow 0
		.amdhsa_exception_fp_ieee_underflow 0
		.amdhsa_exception_fp_ieee_inexact 0
		.amdhsa_exception_int_div_zero 0
	.end_amdhsa_kernel
	.section	.text._ZL8moe_q4_1IN3c108BFloat16ELb1EEvPKvS3_PT_PKiS7_S7_iiiiiii,"axG",@progbits,_ZL8moe_q4_1IN3c108BFloat16ELb1EEvPKvS3_PT_PKiS7_S7_iiiiiii,comdat
.Lfunc_end220:
	.size	_ZL8moe_q4_1IN3c108BFloat16ELb1EEvPKvS3_PT_PKiS7_S7_iiiiiii, .Lfunc_end220-_ZL8moe_q4_1IN3c108BFloat16ELb1EEvPKvS3_PT_PKiS7_S7_iiiiiii
                                        ; -- End function
	.set _ZL8moe_q4_1IN3c108BFloat16ELb1EEvPKvS3_PT_PKiS7_S7_iiiiiii.num_vgpr, 121
	.set _ZL8moe_q4_1IN3c108BFloat16ELb1EEvPKvS3_PT_PKiS7_S7_iiiiiii.num_agpr, 0
	.set _ZL8moe_q4_1IN3c108BFloat16ELb1EEvPKvS3_PT_PKiS7_S7_iiiiiii.numbered_sgpr, 24
	.set _ZL8moe_q4_1IN3c108BFloat16ELb1EEvPKvS3_PT_PKiS7_S7_iiiiiii.num_named_barrier, 0
	.set _ZL8moe_q4_1IN3c108BFloat16ELb1EEvPKvS3_PT_PKiS7_S7_iiiiiii.private_seg_size, 0
	.set _ZL8moe_q4_1IN3c108BFloat16ELb1EEvPKvS3_PT_PKiS7_S7_iiiiiii.uses_vcc, 1
	.set _ZL8moe_q4_1IN3c108BFloat16ELb1EEvPKvS3_PT_PKiS7_S7_iiiiiii.uses_flat_scratch, 0
	.set _ZL8moe_q4_1IN3c108BFloat16ELb1EEvPKvS3_PT_PKiS7_S7_iiiiiii.has_dyn_sized_stack, 0
	.set _ZL8moe_q4_1IN3c108BFloat16ELb1EEvPKvS3_PT_PKiS7_S7_iiiiiii.has_recursion, 0
	.set _ZL8moe_q4_1IN3c108BFloat16ELb1EEvPKvS3_PT_PKiS7_S7_iiiiiii.has_indirect_call, 0
	.section	.AMDGPU.csdata,"",@progbits
; Kernel info:
; codeLenInByte = 4832
; TotalNumSgprs: 28
; NumVgprs: 121
; ScratchSize: 0
; MemoryBound: 0
; FloatMode: 240
; IeeeMode: 1
; LDSByteSize: 22272 bytes/workgroup (compile time only)
; SGPRBlocks: 12
; VGPRBlocks: 30
; NumSGPRsForWavesPerEU: 102
; NumVGPRsForWavesPerEU: 121
; Occupancy: 2
; WaveLimiterHint : 1
; COMPUTE_PGM_RSRC2:SCRATCH_EN: 0
; COMPUTE_PGM_RSRC2:USER_SGPR: 6
; COMPUTE_PGM_RSRC2:TRAP_HANDLER: 0
; COMPUTE_PGM_RSRC2:TGID_X_EN: 1
; COMPUTE_PGM_RSRC2:TGID_Y_EN: 1
; COMPUTE_PGM_RSRC2:TGID_Z_EN: 0
; COMPUTE_PGM_RSRC2:TIDIG_COMP_CNT: 1
	.section	.text._ZL8moe_q5_0IN3c108BFloat16ELb0EEvPKvS3_PT_PKiS7_S7_iiiiiii,"axG",@progbits,_ZL8moe_q5_0IN3c108BFloat16ELb0EEvPKvS3_PT_PKiS7_S7_iiiiiii,comdat
	.globl	_ZL8moe_q5_0IN3c108BFloat16ELb0EEvPKvS3_PT_PKiS7_S7_iiiiiii ; -- Begin function _ZL8moe_q5_0IN3c108BFloat16ELb0EEvPKvS3_PT_PKiS7_S7_iiiiiii
	.p2align	8
	.type	_ZL8moe_q5_0IN3c108BFloat16ELb0EEvPKvS3_PT_PKiS7_S7_iiiiiii,@function
_ZL8moe_q5_0IN3c108BFloat16ELb0EEvPKvS3_PT_PKiS7_S7_iiiiiii: ; @_ZL8moe_q5_0IN3c108BFloat16ELb0EEvPKvS3_PT_PKiS7_S7_iiiiiii
; %bb.0:
	s_load_dwordx4 s[0:3], s[4:5], 0x18
	s_mov_b32 s8, s7
	s_mov_b32 s9, 0
	s_lshl_b64 s[10:11], s[8:9], 2
	s_waitcnt lgkmcnt(0)
	s_add_u32 s2, s2, s10
	s_addc_u32 s3, s3, s11
	s_load_dword s2, s[2:3], 0x0
	s_waitcnt lgkmcnt(0)
	s_cmpk_gt_u32 s2, 0xff
	s_cbranch_scc1 .LBB221_26
; %bb.1:
	s_load_dwordx2 s[10:11], s[4:5], 0x28
	s_lshl_b32 s3, s8, 3
	s_waitcnt lgkmcnt(0)
	s_load_dword s7, s[10:11], 0x0
	s_waitcnt lgkmcnt(0)
	s_cmp_gt_u32 s3, s7
	s_cbranch_scc1 .LBB221_26
; %bb.2:
	v_add_u32_e32 v8, s3, v1
	v_mov_b32_e32 v9, 0
	v_lshlrev_b64 v[2:3], 2, v[8:9]
	v_mov_b32_e32 v4, s1
	v_add_co_u32_e32 v2, vcc, s0, v2
	v_addc_co_u32_e32 v3, vcc, v4, v3, vcc
	global_load_dword v10, v[2:3], off
	s_load_dwordx2 s[14:15], s[4:5], 0x30
	s_load_dwordx2 s[12:13], s[4:5], 0x10
	s_load_dwordx4 s[8:11], s[4:5], 0x3c
	s_lshl_b32 s20, s6, 7
	v_mov_b32_e32 v107, v9
	s_waitcnt lgkmcnt(0)
	s_cmp_lt_i32 s15, 32
	v_mov_b32_e32 v112, v9
	v_mov_b32_e32 v11, v9
	s_cbranch_scc1 .LBB221_17
; %bb.3:
	s_ashr_i32 s0, s15, 31
	s_ashr_i32 s1, s9, 31
	s_lshr_b32 s0, s0, 27
	s_lshr_b32 s1, s1, 27
	v_lshrrev_b32_e32 v29, 3, v0
	s_add_i32 s0, s15, s0
	s_add_i32 s1, s9, s1
	v_lshl_add_u32 v6, v1, 2, v29
	s_ashr_i32 s21, s0, 5
	s_ashr_i32 s9, s1, 5
	v_lshlrev_b32_e32 v2, 3, v0
	s_movk_i32 s1, 0x104
	v_add_u32_e32 v8, 32, v6
	v_mad_u32_u24 v13, v1, s1, v2
	v_and_b32_e32 v109, 7, v0
	v_mul_lo_u32 v107, s21, v6
	v_and_b32_e32 v2, 0x7fc, v6
	v_lshlrev_b32_e32 v3, 5, v6
	v_and_b32_e32 v4, 0xffc, v8
	v_lshlrev_b32_e32 v9, 5, v8
	v_add_u32_e32 v8, 64, v6
	v_add_u32_e32 v6, 0x60, v6
	s_mul_i32 s14, s2, s14
	v_lshlrev_b32_e32 v7, 2, v109
	s_mov_b32 s2, 0x8200
	v_and_b32_e32 v30, 0xffc, v8
	v_lshlrev_b32_e32 v120, 5, v8
	v_and_b32_e32 v8, 0xffc, v6
	v_add3_u32 v121, v8, v7, s2
	v_mov_b32_e32 v8, 0x9280
	v_add3_u32 v119, v30, v7, s2
	v_lshlrev_b32_e32 v122, 5, v6
	v_and_b32_e32 v6, 31, v0
	v_lshl_add_u32 v30, v1, 7, v8
	v_lshl_or_b32 v31, v6, 2, v30
	v_mov_b32_e32 v6, 0x9680
	v_lshlrev_b32_e32 v5, 2, v0
	v_lshl_add_u32 v32, v1, 4, v6
	s_abs_i32 s3, s11
	v_and_b32_e32 v12, 12, v5
	v_add3_u32 v2, v2, v7, s2
	v_add3_u32 v4, v4, v7, s2
	v_and_b32_e32 v7, 28, v5
	v_add_u32_e32 v33, v32, v5
	v_cvt_f32_u32_e32 v5, s3
	v_mul_lo_u32 v43, s21, v1
	v_and_b32_e32 v1, 0xfc, v0
	v_lshlrev_b32_e32 v6, 5, v0
	v_rcp_iflag_f32_e32 v5, v5
	s_sub_i32 s16, 0, s3
	v_add3_u32 v35, v6, v1, s2
	v_add_u32_e32 v1, 32, v0
	v_mul_f32_e32 v5, 0x4f7ffffe, v5
	v_cvt_u32_f32_e32 v5, v5
	v_and_b32_e32 v6, 0x1fc, v1
	v_lshlrev_b32_e32 v8, 5, v1
	v_add3_u32 v36, v8, v6, s2
	v_mul_lo_u32 v38, s16, v5
	v_add_u32_e32 v6, 64, v0
	v_and_b32_e32 v8, 0x1fc, v6
	v_lshlrev_b32_e32 v6, 5, v6
	v_add3_u32 v37, v6, v8, s2
	v_mul_hi_u32 v8, v5, v38
	s_waitcnt vmcnt(0)
	v_sub_u32_e32 v39, 0, v10
	v_max_i32_e32 v40, v10, v39
	v_lshrrev_b32_e32 v39, 3, v1
	v_add_u32_e32 v5, v5, v8
	v_mul_hi_u32 v5, v40, v5
	v_add_u32_e32 v6, 0x60, v0
	v_and_b32_e32 v38, 0x1fc, v6
	v_lshlrev_b32_e32 v6, 5, v6
	v_mul_lo_u32 v1, v5, s3
	v_add_u32_e32 v8, 1, v5
	v_add3_u32 v38, v6, v38, s2
	v_xor_b32_e32 v6, s11, v10
	v_sub_u32_e32 v1, v40, v1
	v_cmp_le_u32_e32 vcc, s3, v1
	v_cndmask_b32_e32 v5, v5, v8, vcc
	v_subrev_u32_e32 v8, s3, v1
	v_cndmask_b32_e32 v1, v1, v8, vcc
	v_add_u32_e32 v8, 1, v5
	v_cmp_le_u32_e32 vcc, s3, v1
	s_load_dwordx4 s[4:7], s[4:5], 0x0
	v_ashrrev_i32_e32 v6, 31, v6
	v_cndmask_b32_e32 v1, v5, v8, vcc
	v_xor_b32_e32 v1, v1, v6
	v_sub_u32_e32 v1, v1, v6
	v_cmp_gt_i32_e64 s[2:3], s8, v1
	v_mul_lo_u32 v1, v1, s9
	s_waitcnt lgkmcnt(0)
	v_mov_b32_e32 v6, s7
	v_add_co_u32_e32 v5, vcc, s6, v7
	v_addc_co_u32_e32 v6, vcc, 0, v6, vcc
	v_ashrrev_i32_e32 v7, 31, v1
	v_add_co_u32_e32 v8, vcc, v1, v0
	s_mul_i32 s23, s21, s20
	v_addc_co_u32_e32 v44, vcc, 0, v7, vcc
	v_mad_u64_u32 v[7:8], s[18:19], v8, 36, s[6:7]
	v_lshrrev_b32_e32 v42, 2, v0
	s_mul_hi_i32 s19, s23, 22
	s_mul_i32 s18, s23, 22
	v_mad_u64_u32 v[101:102], s[26:27], v42, 22, s[18:19]
	s_movk_i32 s23, 0x90
	v_mad_i32_i24 v8, v44, 36, v8
	v_mad_u64_u32 v[45:46], s[26:27], v43, 22, v[101:102]
	v_add_co_u32_e32 v7, vcc, s23, v7
	v_addc_co_u32_e32 v8, vcc, 0, v8, vcc
	s_lshl_b32 s1, s21, 3
	v_add_u32_e32 v40, v39, v1
	v_add_u32_e32 v41, v29, v1
	;; [unrolled: 1-line block ×3, first 2 shown]
	v_add_co_u32_e32 v1, vcc, v45, v12
	v_add_u32_e32 v47, s1, v43
	v_addc_co_u32_e32 v43, vcc, 0, v46, vcc
	v_mov_b32_e32 v44, s5
	v_add_co_u32_e32 v1, vcc, s4, v1
	v_addc_co_u32_e32 v44, vcc, v44, v43, vcc
	v_add_co_u32_e32 v43, vcc, 6, v1
	v_mad_u64_u32 v[49:50], s[26:27], v47, 22, v[101:102]
	v_addc_co_u32_e32 v44, vcc, 0, v44, vcc
	v_mov_b32_e32 v1, s5
	v_add_co_u32_e32 v45, vcc, s4, v45
	v_addc_co_u32_e32 v46, vcc, v1, v46, vcc
	v_add_co_u32_e32 v1, vcc, v49, v12
	v_add_u32_e32 v51, s1, v47
	v_addc_co_u32_e32 v47, vcc, 0, v50, vcc
	v_mov_b32_e32 v48, s5
	v_add_co_u32_e32 v1, vcc, s4, v1
	v_addc_co_u32_e32 v48, vcc, v48, v47, vcc
	v_add_co_u32_e32 v47, vcc, 6, v1
	v_addc_co_u32_e32 v48, vcc, 0, v48, vcc
	v_mov_b32_e32 v1, s5
	v_add_co_u32_e32 v49, vcc, s4, v49
	v_mad_u64_u32 v[53:54], s[26:27], v51, 22, v[101:102]
	v_addc_co_u32_e32 v1, vcc, v1, v50, vcc
	v_add_co_u32_e32 v49, vcc, 2, v49
	v_addc_co_u32_e32 v50, vcc, 0, v1, vcc
	v_add_co_u32_e32 v1, vcc, v53, v12
	v_add_u32_e32 v55, s1, v51
	v_addc_co_u32_e32 v51, vcc, 0, v54, vcc
	v_mov_b32_e32 v52, s5
	v_add_co_u32_e32 v1, vcc, s4, v1
	v_addc_co_u32_e32 v52, vcc, v52, v51, vcc
	v_add_co_u32_e32 v51, vcc, 6, v1
	v_addc_co_u32_e32 v52, vcc, 0, v52, vcc
	v_mov_b32_e32 v1, s5
	v_add_co_u32_e32 v53, vcc, s4, v53
	v_mad_u64_u32 v[57:58], s[26:27], v55, 22, v[101:102]
	v_addc_co_u32_e32 v1, vcc, v1, v54, vcc
	v_add_co_u32_e32 v53, vcc, 2, v53
	v_addc_co_u32_e32 v54, vcc, 0, v1, vcc
	v_add_co_u32_e32 v1, vcc, v57, v12
	v_add_u32_e32 v59, s1, v55
	v_addc_co_u32_e32 v55, vcc, 0, v58, vcc
	v_mov_b32_e32 v56, s5
	v_add_co_u32_e32 v1, vcc, s4, v1
	v_addc_co_u32_e32 v56, vcc, v56, v55, vcc
	v_add_co_u32_e32 v55, vcc, 6, v1
	v_addc_co_u32_e32 v56, vcc, 0, v56, vcc
	v_mov_b32_e32 v1, s5
	v_add_co_u32_e32 v57, vcc, s4, v57
	v_mad_u64_u32 v[61:62], s[26:27], v59, 22, v[101:102]
	v_addc_co_u32_e32 v1, vcc, v1, v58, vcc
	v_add_co_u32_e32 v57, vcc, 2, v57
	v_addc_co_u32_e32 v58, vcc, 0, v1, vcc
	v_add_co_u32_e32 v1, vcc, v61, v12
	v_add_u32_e32 v63, s1, v59
	v_addc_co_u32_e32 v59, vcc, 0, v62, vcc
	v_mov_b32_e32 v60, s5
	v_add_co_u32_e32 v1, vcc, s4, v1
	v_addc_co_u32_e32 v60, vcc, v60, v59, vcc
	v_add_co_u32_e32 v59, vcc, 6, v1
	v_addc_co_u32_e32 v60, vcc, 0, v60, vcc
	v_mov_b32_e32 v1, s5
	v_add_co_u32_e32 v61, vcc, s4, v61
	v_mad_u64_u32 v[65:66], s[26:27], v63, 22, v[101:102]
	v_addc_co_u32_e32 v1, vcc, v1, v62, vcc
	v_add_co_u32_e32 v61, vcc, 2, v61
	v_addc_co_u32_e32 v62, vcc, 0, v1, vcc
	v_add_co_u32_e32 v1, vcc, v65, v12
	v_add_u32_e32 v67, s1, v63
	v_addc_co_u32_e32 v63, vcc, 0, v66, vcc
	v_mov_b32_e32 v64, s5
	v_add_co_u32_e32 v1, vcc, s4, v1
	v_addc_co_u32_e32 v64, vcc, v64, v63, vcc
	v_add_co_u32_e32 v63, vcc, 6, v1
	v_addc_co_u32_e32 v64, vcc, 0, v64, vcc
	v_mov_b32_e32 v1, s5
	v_add_co_u32_e32 v65, vcc, s4, v65
	v_mad_u64_u32 v[69:70], s[26:27], v67, 22, v[101:102]
	v_addc_co_u32_e32 v1, vcc, v1, v66, vcc
	v_add_co_u32_e32 v65, vcc, 2, v65
	v_addc_co_u32_e32 v66, vcc, 0, v1, vcc
	v_add_co_u32_e32 v1, vcc, v69, v12
	v_add_u32_e32 v71, s1, v67
	v_addc_co_u32_e32 v67, vcc, 0, v70, vcc
	v_mov_b32_e32 v68, s5
	v_add_co_u32_e32 v1, vcc, s4, v1
	v_addc_co_u32_e32 v68, vcc, v68, v67, vcc
	v_add_co_u32_e32 v67, vcc, 6, v1
	v_addc_co_u32_e32 v68, vcc, 0, v68, vcc
	v_mov_b32_e32 v1, s5
	v_add_co_u32_e32 v69, vcc, s4, v69
	v_mad_u64_u32 v[73:74], s[26:27], v71, 22, v[101:102]
	v_addc_co_u32_e32 v1, vcc, v1, v70, vcc
	v_add_co_u32_e32 v69, vcc, 2, v69
	v_addc_co_u32_e32 v70, vcc, 0, v1, vcc
	v_add_co_u32_e32 v1, vcc, v73, v12
	v_add_u32_e32 v75, s1, v71
	v_addc_co_u32_e32 v71, vcc, 0, v74, vcc
	v_mov_b32_e32 v72, s5
	v_add_co_u32_e32 v1, vcc, s4, v1
	v_addc_co_u32_e32 v72, vcc, v72, v71, vcc
	v_add_co_u32_e32 v71, vcc, 6, v1
	v_addc_co_u32_e32 v72, vcc, 0, v72, vcc
	v_mov_b32_e32 v1, s5
	v_add_co_u32_e32 v73, vcc, s4, v73
	v_mad_u64_u32 v[77:78], s[26:27], v75, 22, v[101:102]
	v_addc_co_u32_e32 v1, vcc, v1, v74, vcc
	v_add_co_u32_e32 v73, vcc, 2, v73
	v_addc_co_u32_e32 v74, vcc, 0, v1, vcc
	v_add_co_u32_e32 v1, vcc, v77, v12
	v_add_u32_e32 v79, s1, v75
	v_addc_co_u32_e32 v75, vcc, 0, v78, vcc
	v_mov_b32_e32 v76, s5
	v_add_co_u32_e32 v1, vcc, s4, v1
	v_addc_co_u32_e32 v76, vcc, v76, v75, vcc
	v_add_co_u32_e32 v75, vcc, 6, v1
	v_addc_co_u32_e32 v76, vcc, 0, v76, vcc
	v_mov_b32_e32 v1, s5
	v_add_co_u32_e32 v77, vcc, s4, v77
	v_mad_u64_u32 v[81:82], s[26:27], v79, 22, v[101:102]
	v_addc_co_u32_e32 v1, vcc, v1, v78, vcc
	v_add_co_u32_e32 v77, vcc, 2, v77
	v_addc_co_u32_e32 v78, vcc, 0, v1, vcc
	v_add_co_u32_e32 v1, vcc, v81, v12
	v_add_u32_e32 v83, s1, v79
	v_addc_co_u32_e32 v79, vcc, 0, v82, vcc
	v_mov_b32_e32 v80, s5
	v_add_co_u32_e32 v1, vcc, s4, v1
	v_addc_co_u32_e32 v80, vcc, v80, v79, vcc
	v_add_co_u32_e32 v79, vcc, 6, v1
	v_addc_co_u32_e32 v80, vcc, 0, v80, vcc
	v_mov_b32_e32 v1, s5
	v_add_co_u32_e32 v81, vcc, s4, v81
	v_mad_u64_u32 v[85:86], s[26:27], v83, 22, v[101:102]
	v_addc_co_u32_e32 v1, vcc, v1, v82, vcc
	v_add_co_u32_e32 v81, vcc, 2, v81
	v_addc_co_u32_e32 v82, vcc, 0, v1, vcc
	v_add_co_u32_e32 v1, vcc, v85, v12
	v_add_u32_e32 v87, s1, v83
	v_addc_co_u32_e32 v83, vcc, 0, v86, vcc
	v_mov_b32_e32 v84, s5
	v_add_co_u32_e32 v1, vcc, s4, v1
	v_addc_co_u32_e32 v84, vcc, v84, v83, vcc
	v_add_co_u32_e32 v83, vcc, 6, v1
	v_addc_co_u32_e32 v84, vcc, 0, v84, vcc
	v_mov_b32_e32 v1, s5
	v_add_co_u32_e32 v85, vcc, s4, v85
	v_mad_u64_u32 v[89:90], s[26:27], v87, 22, v[101:102]
	v_addc_co_u32_e32 v1, vcc, v1, v86, vcc
	v_add_co_u32_e32 v85, vcc, 2, v85
	v_addc_co_u32_e32 v86, vcc, 0, v1, vcc
	v_add_co_u32_e32 v1, vcc, v89, v12
	v_add_u32_e32 v91, s1, v87
	v_addc_co_u32_e32 v87, vcc, 0, v90, vcc
	v_mov_b32_e32 v88, s5
	v_add_co_u32_e32 v1, vcc, s4, v1
	v_addc_co_u32_e32 v88, vcc, v88, v87, vcc
	v_add_co_u32_e32 v87, vcc, 6, v1
	v_addc_co_u32_e32 v88, vcc, 0, v88, vcc
	v_mov_b32_e32 v1, s5
	v_add_co_u32_e32 v89, vcc, s4, v89
	v_mad_u64_u32 v[93:94], s[26:27], v91, 22, v[101:102]
	v_addc_co_u32_e32 v1, vcc, v1, v90, vcc
	v_add_co_u32_e32 v89, vcc, 2, v89
	v_addc_co_u32_e32 v90, vcc, 0, v1, vcc
	v_add_co_u32_e32 v1, vcc, v93, v12
	v_add_u32_e32 v95, s1, v91
	v_addc_co_u32_e32 v91, vcc, 0, v94, vcc
	v_mov_b32_e32 v92, s5
	v_add_co_u32_e32 v1, vcc, s4, v1
	v_addc_co_u32_e32 v92, vcc, v92, v91, vcc
	v_add_co_u32_e32 v91, vcc, 6, v1
	v_addc_co_u32_e32 v92, vcc, 0, v92, vcc
	v_mov_b32_e32 v1, s5
	v_add_co_u32_e32 v93, vcc, s4, v93
	v_mad_u64_u32 v[97:98], s[26:27], v95, 22, v[101:102]
	v_addc_co_u32_e32 v1, vcc, v1, v94, vcc
	v_add_co_u32_e32 v93, vcc, 2, v93
	v_addc_co_u32_e32 v94, vcc, 0, v1, vcc
	v_add_co_u32_e32 v1, vcc, v97, v12
	v_add_u32_e32 v99, s1, v95
	v_addc_co_u32_e32 v95, vcc, 0, v98, vcc
	v_mov_b32_e32 v96, s5
	v_add_co_u32_e32 v1, vcc, s4, v1
	v_addc_co_u32_e32 v96, vcc, v96, v95, vcc
	v_add_co_u32_e32 v95, vcc, 6, v1
	v_addc_co_u32_e32 v96, vcc, 0, v96, vcc
	v_mov_b32_e32 v1, s5
	v_add_co_u32_e32 v97, vcc, s4, v97
	v_mad_u64_u32 v[103:104], s[26:27], v99, 22, v[101:102]
	v_addc_co_u32_e32 v1, vcc, v1, v98, vcc
	v_add_co_u32_e32 v97, vcc, 2, v97
	v_addc_co_u32_e32 v98, vcc, 0, v1, vcc
	v_add_co_u32_e32 v1, vcc, v103, v12
	v_add_u32_e32 v105, s1, v99
	v_addc_co_u32_e32 v99, vcc, 0, v104, vcc
	v_mov_b32_e32 v100, s5
	v_add_co_u32_e32 v1, vcc, s4, v1
	v_addc_co_u32_e32 v100, vcc, v100, v99, vcc
	v_add_co_u32_e32 v99, vcc, 6, v1
	v_addc_co_u32_e32 v100, vcc, 0, v100, vcc
	v_mov_b32_e32 v1, s5
	v_add_co_u32_e32 v103, vcc, s4, v103
	v_mad_u64_u32 v[105:106], s[26:27], v105, 22, v[101:102]
	v_addc_co_u32_e32 v1, vcc, v1, v104, vcc
	v_add_co_u32_e32 v101, vcc, 2, v103
	v_addc_co_u32_e32 v102, vcc, 0, v1, vcc
	v_add_co_u32_e32 v1, vcc, v105, v12
	v_addc_co_u32_e32 v103, vcc, 0, v106, vcc
	v_mov_b32_e32 v104, s5
	v_add_co_u32_e32 v1, vcc, s4, v1
	v_addc_co_u32_e32 v104, vcc, v104, v103, vcc
	v_add_co_u32_e32 v103, vcc, 6, v1
	s_andn2_b32 s0, s0, 31
	v_addc_co_u32_e32 v104, vcc, 0, v104, vcc
	v_add_u32_e32 v110, s0, v107
	v_mov_b32_e32 v1, s5
	v_add_co_u32_e32 v105, vcc, s4, v105
	v_mad_u64_u32 v[107:108], s[26:27], v107, 22, 0
	v_addc_co_u32_e32 v1, vcc, v1, v106, vcc
	v_add_co_u32_e32 v105, vcc, 2, v105
	v_addc_co_u32_e32 v106, vcc, 0, v1, vcc
	v_mov_b32_e32 v1, s19
	v_add_co_u32_e32 v107, vcc, s18, v107
	v_addc_co_u32_e32 v1, vcc, v1, v108, vcc
	v_mul_u32_u24_e32 v118, 22, v109
	v_add_u32_e32 v112, s0, v110
	v_mul_hi_u32_u24_e32 v117, 22, v109
	v_add_co_u32_e32 v107, vcc, v107, v118
	v_mad_u64_u32 v[110:111], s[26:27], v110, 22, 0
	v_addc_co_u32_e32 v1, vcc, v1, v117, vcc
	v_mov_b32_e32 v109, s5
	v_add_co_u32_e32 v108, vcc, s4, v107
	v_addc_co_u32_e32 v109, vcc, v109, v1, vcc
	v_mov_b32_e32 v1, s19
	v_add_co_u32_e32 v107, vcc, s18, v110
	v_addc_co_u32_e32 v1, vcc, v1, v111, vcc
	v_add_u32_e32 v114, s0, v112
	v_add_co_u32_e32 v107, vcc, v107, v118
	v_mad_u64_u32 v[112:113], s[26:27], v112, 22, 0
	v_addc_co_u32_e32 v1, vcc, v1, v117, vcc
	v_mov_b32_e32 v111, s5
	v_add_co_u32_e32 v110, vcc, s4, v107
	v_addc_co_u32_e32 v111, vcc, v111, v1, vcc
	v_mov_b32_e32 v1, s19
	v_add_co_u32_e32 v107, vcc, s18, v112
	v_addc_co_u32_e32 v1, vcc, v1, v113, vcc
	v_add_co_u32_e32 v107, vcc, v107, v118
	v_mad_u64_u32 v[115:116], s[26:27], v114, 22, 0
	v_addc_co_u32_e32 v1, vcc, v1, v117, vcc
	v_mov_b32_e32 v112, s5
	v_add_co_u32_e32 v113, vcc, s4, v107
	v_addc_co_u32_e32 v114, vcc, v112, v1, vcc
	v_mov_b32_e32 v1, s19
	v_add_co_u32_e32 v107, vcc, s18, v115
	v_addc_co_u32_e32 v1, vcc, v1, v116, vcc
	v_add_co_u32_e32 v107, vcc, v107, v118
	v_addc_co_u32_e32 v1, vcc, v1, v117, vcc
	s_ashr_i32 s24, s14, 31
	v_cmp_gt_u32_e64 s[0:1], 4, v0
	v_add_co_u32_e32 v115, vcc, s4, v107
	v_mov_b32_e32 v11, 0
	v_add_u32_e32 v14, 0x820, v13
	v_add_u32_e32 v15, 0x1040, v13
	;; [unrolled: 1-line block ×15, first 2 shown]
	v_mul_u32_u24_e32 v34, 0x104, v0
	s_mov_b32 s22, 0
	s_and_b64 s[16:17], s[0:1], s[2:3]
	v_addc_co_u32_e32 v116, vcc, v112, v1, vcc
	s_movk_i32 s18, 0x80
	s_movk_i32 s19, 0x1f00
	s_mov_b32 s23, 0xc0c0105
	v_add_u32_e32 v117, v2, v3
	v_add_u32_e32 v118, v4, v9
	v_add_u32_e32 v119, v119, v120
	v_add_u32_e32 v120, v121, v122
	v_mov_b32_e32 v121, s24
	v_mov_b32_e32 v122, 8
	;; [unrolled: 1-line block ×5, first 2 shown]
	s_branch .LBB221_6
.LBB221_4:                              ;   in Loop: Header=BB221_6 Depth=1
	s_or_b64 exec, exec, s[4:5]
	s_waitcnt lgkmcnt(0)
	s_barrier
	ds_read_b128 v[1:4], v32
	ds_read2_b32 v[139:140], v34 offset0:32 offset1:33
	ds_read_b128 v[123:126], v30
	ds_read_b128 v[127:130], v30 offset:16
	ds_read_b128 v[131:134], v30 offset:32
	;; [unrolled: 1-line block ×3, first 2 shown]
	ds_read2_b32 v[141:142], v35 offset0:4 offset1:5
	ds_read2_b32 v[143:144], v34 offset0:34 offset1:35
	s_waitcnt lgkmcnt(5)
	v_dot4_i32_i8 v139, v139, v123, 0
	s_waitcnt lgkmcnt(4)
	v_dot4_i32_i8 v149, v140, v127, v139
	ds_read2_b32 v[139:140], v34 offset0:36 offset1:37
	ds_read2_b32 v[145:146], v34 offset0:38 offset1:39
	ds_read2_b32 v[147:148], v34 offset0:40 offset1:41
	s_waitcnt lgkmcnt(4)
	v_mul_f32_e32 v141, v1, v141
	s_waitcnt lgkmcnt(3)
	v_dot4_i32_i8 v143, v143, v124, v149
	v_dot4_i32_i8 v143, v144, v128, v143
	s_waitcnt lgkmcnt(2)
	v_dot4_i32_i8 v139, v139, v125, v143
	v_dot4_i32_i8 v139, v140, v129, v139
	;; [unrolled: 3-line block ×3, first 2 shown]
	v_add_u32_e32 v149, 0x2100, v34
	v_cvt_f32_i32_e32 v151, v139
	ds_read2_b32 v[139:140], v34 offset0:58 offset1:59
	ds_read2_b32 v[143:144], v34 offset0:60 offset1:61
	ds_read2_b32 v[145:146], v34 offset0:62 offset1:63
	ds_read2_b32 v[149:150], v149 offset1:1
	v_add_u32_e32 v157, 0x2110, v34
	v_fmac_f32_e32 v11, v141, v151
	ds_read2_b32 v[151:152], v36 offset0:4 offset1:5
	ds_read2_b32 v[153:154], v38 offset0:4 offset1:5
	;; [unrolled: 1-line block ×3, first 2 shown]
	v_add_u32_e32 v159, 0x2118, v34
	s_waitcnt lgkmcnt(3)
	v_dot4_i32_i8 v141, v149, v123, 0
	v_add_u32_e32 v149, 0x2108, v34
	v_dot4_i32_i8 v141, v150, v127, v141
	ds_read2_b32 v[149:150], v149 offset1:1
	v_add_u32_e32 v161, 0x4180, v34
	ds_read2_b32 v[157:158], v157 offset1:1
	ds_read2_b32 v[159:160], v159 offset1:1
	;; [unrolled: 1-line block ×3, first 2 shown]
	s_waitcnt lgkmcnt(6)
	v_mul_f32_e32 v151, v1, v151
	v_add_u32_e32 v165, 0x4198, v34
	s_waitcnt lgkmcnt(3)
	v_dot4_i32_i8 v141, v149, v124, v141
	v_dot4_i32_i8 v141, v150, v128, v141
	s_waitcnt lgkmcnt(2)
	v_dot4_i32_i8 v141, v157, v125, v141
	v_dot4_i32_i8 v141, v158, v129, v141
	;; [unrolled: 3-line block ×3, first 2 shown]
	v_cvt_f32_i32_e32 v141, v141
	ds_read2_b32 v[149:150], v37 offset0:4 offset1:5
	ds_read2_b32 v[157:158], v36 offset0:6 offset1:7
	;; [unrolled: 1-line block ×3, first 2 shown]
	v_add_u32_e32 v167, 0x6200, v34
	v_fmac_f32_e32 v112, v151, v141
	s_waitcnt lgkmcnt(3)
	v_dot4_i32_i8 v141, v161, v123, 0
	v_add_u32_e32 v151, 0x4188, v34
	v_dot4_i32_i8 v141, v162, v127, v141
	ds_read2_b32 v[161:162], v151 offset1:1
	v_add_u32_e32 v151, 0x4190, v34
	ds_read2_b32 v[163:164], v151 offset1:1
	ds_read2_b32 v[165:166], v165 offset1:1
	;; [unrolled: 1-line block ×3, first 2 shown]
	v_add_u32_e32 v151, 0x6218, v34
	s_waitcnt lgkmcnt(6)
	v_mul_f32_e32 v149, v1, v149
	s_waitcnt lgkmcnt(3)
	v_dot4_i32_i8 v141, v161, v124, v141
	v_dot4_i32_i8 v141, v162, v128, v141
	s_waitcnt lgkmcnt(0)
	v_dot4_i32_i8 v123, v167, v123, 0
	v_dot4_i32_i8 v123, v168, v127, v123
	v_add_u32_e32 v127, 0x6208, v34
	ds_read2_b32 v[161:162], v127 offset1:1
	v_dot4_i32_i8 v141, v163, v125, v141
	v_dot4_i32_i8 v141, v164, v129, v141
	v_dot4_i32_i8 v141, v165, v126, v141
	v_add_u32_e32 v127, 0x6210, v34
	v_add_u32_e32 v167, 0x2120, v34
	v_dot4_i32_i8 v141, v166, v130, v141
	ds_read2_b32 v[163:164], v127 offset1:1
	ds_read2_b32 v[165:166], v151 offset1:1
	;; [unrolled: 1-line block ×3, first 2 shown]
	s_waitcnt lgkmcnt(3)
	v_dot4_i32_i8 v123, v161, v124, v123
	v_dot4_i32_i8 v123, v162, v128, v123
	s_waitcnt lgkmcnt(2)
	v_dot4_i32_i8 v123, v163, v125, v123
	v_dot4_i32_i8 v123, v164, v129, v123
	;; [unrolled: 3-line block ×3, first 2 shown]
	v_cvt_f32_i32_e32 v123, v123
	v_mul_f32_e32 v1, v1, v153
	ds_read2_b32 v[161:162], v37 offset0:6 offset1:7
	v_cvt_f32_i32_e32 v141, v141
	v_fmac_f32_e32 v9, v1, v123
	ds_read2_b32 v[123:124], v34 offset0:42 offset1:43
	v_dot4_i32_i8 v1, v147, v131, 0
	v_dot4_i32_i8 v1, v148, v135, v1
	ds_read2_b32 v[125:126], v34 offset0:44 offset1:45
	ds_read2_b32 v[127:128], v34 offset0:46 offset1:47
	;; [unrolled: 1-line block ×3, first 2 shown]
	v_fmac_f32_e32 v107, v149, v141
	s_waitcnt lgkmcnt(3)
	v_dot4_i32_i8 v1, v123, v132, v1
	v_dot4_i32_i8 v123, v167, v131, 0
	;; [unrolled: 1-line block ×3, first 2 shown]
	v_add_u32_e32 v123, 0x2128, v34
	v_dot4_i32_i8 v1, v124, v136, v1
	ds_read2_b32 v[123:124], v123 offset1:1
	s_waitcnt lgkmcnt(3)
	v_dot4_i32_i8 v1, v125, v133, v1
	v_dot4_i32_i8 v1, v126, v137, v1
	s_waitcnt lgkmcnt(2)
	v_dot4_i32_i8 v1, v127, v134, v1
	v_add_u32_e32 v125, 0x2130, v34
	v_add_u32_e32 v127, 0x2138, v34
	;; [unrolled: 1-line block ×3, first 2 shown]
	v_dot4_i32_i8 v1, v128, v138, v1
	ds_read2_b32 v[125:126], v125 offset1:1
	ds_read2_b32 v[127:128], v127 offset1:1
	;; [unrolled: 1-line block ×3, first 2 shown]
	s_waitcnt lgkmcnt(3)
	v_dot4_i32_i8 v123, v123, v132, v141
	v_dot4_i32_i8 v123, v124, v136, v123
	s_waitcnt lgkmcnt(2)
	v_dot4_i32_i8 v123, v125, v133, v123
	v_dot4_i32_i8 v123, v126, v137, v123
	s_waitcnt lgkmcnt(1)
	v_dot4_i32_i8 v123, v127, v134, v123
	v_cvt_f32_i32_e32 v1, v1
	v_dot4_i32_i8 v123, v128, v138, v123
	v_cvt_f32_i32_e32 v123, v123
	v_mul_f32_e32 v124, v2, v142
	v_fmac_f32_e32 v11, v124, v1
	v_mul_f32_e32 v1, v2, v152
	v_fmac_f32_e32 v112, v1, v123
	s_waitcnt lgkmcnt(0)
	v_dot4_i32_i8 v1, v129, v131, 0
	v_add_u32_e32 v123, 0x41a8, v34
	v_add_u32_e32 v125, 0x41b0, v34
	;; [unrolled: 1-line block ×4, first 2 shown]
	v_dot4_i32_i8 v1, v130, v135, v1
	ds_read2_b32 v[123:124], v123 offset1:1
	ds_read2_b32 v[125:126], v125 offset1:1
	;; [unrolled: 1-line block ×4, first 2 shown]
	v_mul_f32_e32 v149, v2, v150
	s_waitcnt lgkmcnt(3)
	v_dot4_i32_i8 v1, v123, v132, v1
	s_waitcnt lgkmcnt(0)
	v_dot4_i32_i8 v123, v129, v131, 0
	v_dot4_i32_i8 v129, v130, v135, v123
	v_add_u32_e32 v123, 0x6228, v34
	v_dot4_i32_i8 v1, v124, v136, v1
	ds_read2_b32 v[123:124], v123 offset1:1
	v_dot4_i32_i8 v1, v125, v133, v1
	v_dot4_i32_i8 v1, v126, v137, v1
	;; [unrolled: 1-line block ×3, first 2 shown]
	v_add_u32_e32 v125, 0x6230, v34
	v_add_u32_e32 v127, 0x6238, v34
	v_dot4_i32_i8 v1, v128, v138, v1
	v_add_u32_e32 v130, 0x2140, v34
	ds_read2_b32 v[125:126], v125 offset1:1
	ds_read2_b32 v[127:128], v127 offset1:1
	;; [unrolled: 1-line block ×3, first 2 shown]
	s_waitcnt lgkmcnt(3)
	v_dot4_i32_i8 v123, v123, v132, v129
	v_dot4_i32_i8 v123, v124, v136, v123
	s_waitcnt lgkmcnt(2)
	v_dot4_i32_i8 v123, v125, v133, v123
	v_dot4_i32_i8 v123, v126, v137, v123
	s_waitcnt lgkmcnt(1)
	v_dot4_i32_i8 v123, v127, v134, v123
	v_cvt_f32_i32_e32 v1, v1
	v_dot4_i32_i8 v123, v128, v138, v123
	v_cvt_f32_i32_e32 v131, v123
	ds_read_b128 v[123:126], v30 offset:64
	ds_read_b128 v[127:130], v30 offset:80
	v_fmac_f32_e32 v107, v149, v1
	v_mul_f32_e32 v1, v2, v154
	v_fmac_f32_e32 v9, v1, v131
	ds_read2_b32 v[1:2], v34 offset0:50 offset1:51
	s_waitcnt lgkmcnt(2)
	v_dot4_i32_i8 v131, v147, v123, 0
	s_waitcnt lgkmcnt(1)
	v_dot4_i32_i8 v137, v148, v127, v131
	ds_read2_b32 v[131:132], v34 offset0:52 offset1:53
	ds_read2_b32 v[133:134], v34 offset0:54 offset1:55
	ds_read2_b32 v[135:136], v34 offset0:56 offset1:57
	s_waitcnt lgkmcnt(3)
	v_dot4_i32_i8 v1, v1, v124, v137
	v_dot4_i32_i8 v1, v2, v128, v1
	s_waitcnt lgkmcnt(2)
	v_dot4_i32_i8 v1, v131, v125, v1
	v_dot4_i32_i8 v1, v132, v129, v1
	;; [unrolled: 3-line block ×3, first 2 shown]
	v_cvt_f32_i32_e32 v147, v1
	v_dot4_i32_i8 v1, v141, v123, 0
	v_dot4_i32_i8 v141, v142, v127, v1
	v_add_u32_e32 v1, 0x2148, v34
	ds_read2_b32 v[1:2], v1 offset1:1
	v_add_u32_e32 v131, 0x2150, v34
	v_add_u32_e32 v133, 0x2158, v34
	;; [unrolled: 1-line block ×3, first 2 shown]
	ds_read2_b32 v[131:132], v131 offset1:1
	ds_read2_b32 v[133:134], v133 offset1:1
	ds_read2_b32 v[137:138], v137 offset1:1
	s_waitcnt lgkmcnt(3)
	v_dot4_i32_i8 v1, v1, v124, v141
	v_dot4_i32_i8 v1, v2, v128, v1
	s_waitcnt lgkmcnt(2)
	v_dot4_i32_i8 v1, v131, v125, v1
	v_dot4_i32_i8 v1, v132, v129, v1
	;; [unrolled: 3-line block ×3, first 2 shown]
	v_cvt_f32_i32_e32 v1, v1
	v_mul_f32_e32 v2, v3, v159
	v_fmac_f32_e32 v11, v2, v147
	v_mul_f32_e32 v2, v3, v157
	v_fmac_f32_e32 v112, v2, v1
	s_waitcnt lgkmcnt(0)
	v_dot4_i32_i8 v1, v137, v123, 0
	v_dot4_i32_i8 v141, v138, v127, v1
	v_add_u32_e32 v1, 0x41c8, v34
	ds_read2_b32 v[1:2], v1 offset1:1
	v_add_u32_e32 v131, 0x41d0, v34
	v_add_u32_e32 v133, 0x41d8, v34
	;; [unrolled: 1-line block ×3, first 2 shown]
	ds_read2_b32 v[131:132], v131 offset1:1
	ds_read2_b32 v[133:134], v133 offset1:1
	;; [unrolled: 1-line block ×3, first 2 shown]
	s_waitcnt lgkmcnt(3)
	v_dot4_i32_i8 v1, v1, v124, v141
	v_dot4_i32_i8 v1, v2, v128, v1
	s_waitcnt lgkmcnt(2)
	v_dot4_i32_i8 v1, v131, v125, v1
	v_dot4_i32_i8 v1, v132, v129, v1
	;; [unrolled: 3-line block ×3, first 2 shown]
	v_cvt_f32_i32_e32 v142, v1
	s_waitcnt lgkmcnt(0)
	v_dot4_i32_i8 v1, v137, v123, 0
	v_dot4_i32_i8 v123, v138, v127, v1
	v_add_u32_e32 v1, 0x6248, v34
	ds_read2_b32 v[1:2], v1 offset1:1
	v_add_u32_e32 v127, 0x6250, v34
	v_add_u32_e32 v133, 0x6258, v34
	;; [unrolled: 1-line block ×3, first 2 shown]
	ds_read2_b32 v[131:132], v127 offset1:1
	ds_read2_b32 v[133:134], v133 offset1:1
	;; [unrolled: 1-line block ×3, first 2 shown]
	s_waitcnt lgkmcnt(3)
	v_dot4_i32_i8 v1, v1, v124, v123
	v_dot4_i32_i8 v1, v2, v128, v1
	s_waitcnt lgkmcnt(2)
	v_dot4_i32_i8 v1, v131, v125, v1
	v_dot4_i32_i8 v1, v132, v129, v1
	;; [unrolled: 3-line block ×3, first 2 shown]
	v_cvt_f32_i32_e32 v1, v1
	ds_read_b128 v[123:126], v30 offset:96
	ds_read_b128 v[127:130], v30 offset:112
	v_mul_f32_e32 v2, v3, v155
	v_mul_f32_e32 v141, v3, v161
	v_fmac_f32_e32 v9, v2, v1
	s_waitcnt lgkmcnt(1)
	v_dot4_i32_i8 v1, v135, v123, 0
	s_waitcnt lgkmcnt(0)
	v_dot4_i32_i8 v1, v136, v127, v1
	v_dot4_i32_i8 v1, v139, v124, v1
	;; [unrolled: 1-line block ×7, first 2 shown]
	v_cvt_f32_i32_e32 v3, v1
	v_dot4_i32_i8 v1, v137, v123, 0
	v_dot4_i32_i8 v137, v138, v127, v1
	v_add_u32_e32 v1, 0x2168, v34
	ds_read2_b32 v[1:2], v1 offset1:1
	v_add_u32_e32 v131, 0x2170, v34
	v_add_u32_e32 v133, 0x2178, v34
	;; [unrolled: 1-line block ×3, first 2 shown]
	ds_read2_b32 v[131:132], v131 offset1:1
	ds_read2_b32 v[133:134], v133 offset1:1
	;; [unrolled: 1-line block ×3, first 2 shown]
	s_waitcnt lgkmcnt(3)
	v_dot4_i32_i8 v1, v1, v124, v137
	v_dot4_i32_i8 v1, v2, v128, v1
	s_waitcnt lgkmcnt(2)
	v_dot4_i32_i8 v1, v131, v125, v1
	v_dot4_i32_i8 v1, v132, v129, v1
	;; [unrolled: 3-line block ×3, first 2 shown]
	v_cvt_f32_i32_e32 v1, v1
	v_mul_f32_e32 v2, v4, v160
	v_fmac_f32_e32 v11, v2, v3
	v_mul_f32_e32 v2, v4, v158
	v_fmac_f32_e32 v112, v2, v1
	s_waitcnt lgkmcnt(0)
	v_dot4_i32_i8 v1, v135, v123, 0
	v_dot4_i32_i8 v3, v136, v127, v1
	v_add_u32_e32 v1, 0x41e8, v34
	ds_read2_b32 v[1:2], v1 offset1:1
	v_add_u32_e32 v131, 0x41f0, v34
	v_add_u32_e32 v133, 0x41f8, v34
	;; [unrolled: 1-line block ×3, first 2 shown]
	ds_read2_b32 v[131:132], v131 offset1:1
	ds_read2_b32 v[133:134], v133 offset1:1
	;; [unrolled: 1-line block ×3, first 2 shown]
	s_waitcnt lgkmcnt(3)
	v_dot4_i32_i8 v1, v1, v124, v3
	v_dot4_i32_i8 v1, v2, v128, v1
	s_waitcnt lgkmcnt(2)
	v_dot4_i32_i8 v1, v131, v125, v1
	v_dot4_i32_i8 v1, v132, v129, v1
	;; [unrolled: 3-line block ×3, first 2 shown]
	v_cvt_f32_i32_e32 v3, v1
	s_waitcnt lgkmcnt(0)
	v_dot4_i32_i8 v1, v135, v123, 0
	v_dot4_i32_i8 v123, v136, v127, v1
	v_add_u32_e32 v1, 0x6268, v34
	ds_read2_b32 v[1:2], v1 offset1:1
	v_add_u32_e32 v127, 0x6270, v34
	ds_read2_b32 v[131:132], v127 offset1:1
	;; [unrolled: 2-line block ×3, first 2 shown]
	s_waitcnt lgkmcnt(2)
	v_dot4_i32_i8 v1, v1, v124, v123
	v_dot4_i32_i8 v1, v2, v128, v1
	s_waitcnt lgkmcnt(1)
	v_dot4_i32_i8 v1, v131, v125, v1
	v_dot4_i32_i8 v1, v132, v129, v1
	s_waitcnt lgkmcnt(0)
	v_dot4_i32_i8 v1, v133, v126, v1
	v_dot4_i32_i8 v1, v134, v130, v1
	v_cvt_f32_i32_e32 v1, v1
	v_fmac_f32_e32 v107, v141, v142
	v_mul_f32_e32 v2, v4, v162
	v_fmac_f32_e32 v107, v2, v3
	v_mul_f32_e32 v2, v4, v156
	v_fmac_f32_e32 v9, v2, v1
	s_barrier
.LBB221_5:                              ;   in Loop: Header=BB221_6 Depth=1
	v_add_co_u32_e32 v7, vcc, 0x120, v7
	v_addc_co_u32_e32 v8, vcc, 0, v8, vcc
	v_add_co_u32_e32 v43, vcc, 0xb0, v43
	v_addc_co_u32_e32 v44, vcc, 0, v44, vcc
	;; [unrolled: 2-line block ×36, first 2 shown]
	s_add_i32 s22, s22, 8
	s_addk_i32 s18, 0x100
	v_add_co_u32_e32 v115, vcc, 0xb0, v115
	s_cmp_ge_i32 s22, s21
	v_addc_co_u32_e32 v116, vcc, 0, v116, vcc
	s_cbranch_scc1 .LBB221_17
.LBB221_6:                              ; =>This Inner Loop Header: Depth=1
	v_add_co_u32_e32 v1, vcc, s14, v43
	v_addc_co_u32_e32 v2, vcc, v44, v121, vcc
	global_load_dword v123, v[1:2], off
	v_add_co_u32_e32 v1, vcc, s14, v45
	v_addc_co_u32_e32 v2, vcc, v46, v121, vcc
	global_load_dword v124, v[1:2], off offset:2
	v_add_co_u32_e32 v1, vcc, s14, v47
	v_addc_co_u32_e32 v2, vcc, v48, v121, vcc
	v_add_co_u32_e32 v3, vcc, s14, v49
	v_addc_co_u32_e32 v4, vcc, v50, v121, vcc
	global_load_dword v125, v[3:4], off
	global_load_dword v126, v[1:2], off
	v_add_co_u32_e32 v1, vcc, s14, v51
	v_addc_co_u32_e32 v2, vcc, v52, v121, vcc
	v_add_co_u32_e32 v3, vcc, s14, v53
	v_addc_co_u32_e32 v4, vcc, v54, v121, vcc
	global_load_dword v127, v[1:2], off
	global_load_dword v128, v[3:4], off
	s_add_i32 s4, s18, 0xffffff80
	s_cmp_lt_i32 s4, s15
	s_waitcnt vmcnt(5)
	v_and_b32_e32 v2, 0xf0f0f0f, v123
	v_lshrrev_b32_e32 v3, 4, v123
	v_and_b32_e32 v3, 0xf0f0f0f, v3
	s_waitcnt vmcnt(4)
	v_ashrrev_i32_e32 v1, v12, v124
	v_lshlrev_b32_e32 v124, 4, v1
	v_lshlrev_b32_e32 v129, 18, v1
	;; [unrolled: 1-line block ×3, first 2 shown]
	v_lshrrev_b32_e32 v131, 12, v1
	v_lshrrev_b32_e32 v132, 5, v1
	v_lshlrev_b32_e32 v133, 2, v1
	v_and_b32_e32 v124, 16, v124
	s_waitcnt vmcnt(3)
	v_ashrrev_i32_e32 v123, v12, v125
	v_lshlrev_b32_e32 v125, 11, v1
	v_lshlrev_b32_e32 v1, 9, v1
	v_and_b32_e32 v125, 0x1000, v125
	v_and_b32_e32 v129, 0x100000, v129
	;; [unrolled: 1-line block ×7, first 2 shown]
	v_or3_b32 v124, v124, v2, v125
	v_or3_b32 v2, v2, v129, v130
	v_or3_b32 v125, v131, v3, v132
	v_or3_b32 v1, v3, v133, v1
	v_and_b32_e32 v129, 0x1f00, v124
	v_lshlrev_b16_e32 v124, 8, v124
	v_and_b32_sdwa v130, v2, s19 dst_sel:DWORD dst_unused:UNUSED_PAD src0_sel:WORD_1 src1_sel:DWORD
	v_lshlrev_b16_sdwa v2, v122, v2 dst_sel:DWORD dst_unused:UNUSED_PAD src0_sel:DWORD src1_sel:WORD_1
	v_and_b32_e32 v132, 0x1f00, v125
	v_lshlrev_b16_e32 v125, 8, v125
	v_and_b32_sdwa v131, v1, s19 dst_sel:DWORD dst_unused:UNUSED_PAD src0_sel:WORD_1 src1_sel:DWORD
	v_lshlrev_b16_sdwa v1, v122, v1 dst_sel:DWORD dst_unused:UNUSED_PAD src0_sel:DWORD src1_sel:WORD_1
	v_add_u16_e32 v129, 0xf000, v129
	v_add_u16_e32 v124, 0xf000, v124
	;; [unrolled: 1-line block ×5, first 2 shown]
	v_lshlrev_b32_e32 v134, 4, v123
	v_lshlrev_b32_e32 v135, 11, v123
	v_lshlrev_b32_e32 v136, 18, v123
	v_lshlrev_b32_e32 v137, 25, v123
	v_add_u16_e32 v131, 0xf000, v131
	v_add_u16_e32 v1, 0xf000, v1
	v_perm_b32 v124, v124, v129, s23
	v_perm_b32 v2, v2, v130, s23
	v_or_b32_sdwa v125, v132, v125 dst_sel:DWORD dst_unused:UNUSED_PAD src0_sel:DWORD src1_sel:BYTE_1
	s_waitcnt vmcnt(2)
	v_and_b32_e32 v4, 0xf0f0f0f, v126
	v_and_b32_e32 v134, 16, v134
	;; [unrolled: 1-line block ×5, first 2 shown]
	v_perm_b32 v1, v1, v131, s23
	v_lshl_or_b32 v2, v2, 16, v124
	v_add_u16_e32 v124, 0xf000, v125
	v_or3_b32 v3, v134, v4, v135
	v_or3_b32 v4, v4, v136, v137
	v_lshl_or_b32 v1, v1, 16, v124
	v_and_b32_e32 v133, 0x1f00, v3
	ds_write2_b32 v13, v2, v1 offset1:1
	v_lshlrev_b16_e32 v1, 8, v3
	v_and_b32_sdwa v2, v4, s19 dst_sel:DWORD dst_unused:UNUSED_PAD src0_sel:WORD_1 src1_sel:DWORD
	v_lshlrev_b16_sdwa v3, v122, v4 dst_sel:DWORD dst_unused:UNUSED_PAD src0_sel:DWORD src1_sel:WORD_1
	v_add_u16_e32 v133, 0xf000, v133
	v_add_u16_e32 v1, 0xf000, v1
	;; [unrolled: 1-line block ×4, first 2 shown]
	v_perm_b32 v1, v1, v133, s23
	v_perm_b32 v2, v3, v2, s23
	v_lshl_or_b32 v124, v2, 16, v1
	v_lshrrev_b32_e32 v1, 4, v126
	v_and_b32_e32 v125, 0xf0f0f0f, v1
	v_add_co_u32_e32 v1, vcc, s14, v55
	v_addc_co_u32_e32 v2, vcc, v56, v121, vcc
	v_add_co_u32_e32 v3, vcc, s14, v57
	v_addc_co_u32_e32 v4, vcc, v58, v121, vcc
	v_lshrrev_b32_e32 v126, 12, v123
	global_load_dword v129, v[3:4], off
	global_load_dword v130, v[1:2], off
	v_lshrrev_b32_e32 v2, 5, v123
	v_and_b32_e32 v1, 16, v126
	v_and_b32_e32 v2, 0x1000, v2
	v_or3_b32 v1, v1, v125, v2
	v_lshlrev_b32_e32 v2, 2, v123
	v_lshlrev_b32_e32 v3, 9, v123
	v_and_b32_e32 v2, 0x100000, v2
	v_and_b32_e32 v3, 0x10000000, v3
	v_or3_b32 v2, v125, v2, v3
	v_and_b32_sdwa v3, v2, s19 dst_sel:DWORD dst_unused:UNUSED_PAD src0_sel:WORD_1 src1_sel:DWORD
	v_lshlrev_b16_sdwa v2, v122, v2 dst_sel:DWORD dst_unused:UNUSED_PAD src0_sel:DWORD src1_sel:WORD_1
	v_add_u16_e32 v3, 0xf000, v3
	v_add_u16_e32 v2, 0xf000, v2
	v_perm_b32 v2, v2, v3, s23
	v_and_b32_e32 v3, 0x1f00, v1
	v_lshlrev_b16_e32 v1, 8, v1
	v_add_u16_e32 v1, 0xf000, v1
	v_or_b32_sdwa v1, v3, v1 dst_sel:DWORD dst_unused:UNUSED_PAD src0_sel:DWORD src1_sel:BYTE_1
	v_add_u16_e32 v1, 0xf000, v1
	s_waitcnt vmcnt(2)
	v_ashrrev_i32_e32 v123, v12, v128
	v_lshl_or_b32 v1, v2, 16, v1
	v_lshlrev_b32_e32 v2, 4, v123
	v_lshlrev_b32_e32 v3, 11, v123
	ds_write2_b32 v14, v124, v1 offset1:1
	v_and_b32_e32 v1, 0xf0f0f0f, v127
	v_and_b32_e32 v2, 16, v2
	;; [unrolled: 1-line block ×3, first 2 shown]
	v_or3_b32 v2, v2, v1, v3
	v_lshlrev_b32_e32 v3, 18, v123
	v_lshlrev_b32_e32 v4, 25, v123
	v_and_b32_e32 v3, 0x100000, v3
	v_and_b32_e32 v4, 0x10000000, v4
	v_or3_b32 v1, v1, v3, v4
	v_and_b32_e32 v3, 0x1f00, v2
	v_lshlrev_b16_e32 v2, 8, v2
	v_add_u16_e32 v3, 0xf000, v3
	v_add_u16_e32 v2, 0xf000, v2
	v_perm_b32 v2, v2, v3, s23
	v_and_b32_sdwa v3, v1, s19 dst_sel:DWORD dst_unused:UNUSED_PAD src0_sel:WORD_1 src1_sel:DWORD
	v_lshlrev_b16_sdwa v1, v122, v1 dst_sel:DWORD dst_unused:UNUSED_PAD src0_sel:DWORD src1_sel:WORD_1
	v_add_u16_e32 v3, 0xf000, v3
	v_add_u16_e32 v1, 0xf000, v1
	v_perm_b32 v1, v1, v3, s23
	v_lshl_or_b32 v124, v1, 16, v2
	v_lshrrev_b32_e32 v1, 4, v127
	v_and_b32_e32 v125, 0xf0f0f0f, v1
	v_add_co_u32_e32 v1, vcc, s14, v59
	v_addc_co_u32_e32 v2, vcc, v60, v121, vcc
	v_add_co_u32_e32 v3, vcc, s14, v61
	v_addc_co_u32_e32 v4, vcc, v62, v121, vcc
	global_load_dword v127, v[3:4], off
	global_load_dword v128, v[1:2], off
	v_lshrrev_b32_e32 v126, 12, v123
	v_lshrrev_b32_e32 v2, 5, v123
	v_and_b32_e32 v1, 16, v126
	v_and_b32_e32 v2, 0x1000, v2
	v_or3_b32 v1, v1, v125, v2
	v_lshlrev_b32_e32 v2, 2, v123
	v_lshlrev_b32_e32 v3, 9, v123
	v_and_b32_e32 v2, 0x100000, v2
	v_and_b32_e32 v3, 0x10000000, v3
	v_or3_b32 v2, v125, v2, v3
	v_and_b32_sdwa v3, v2, s19 dst_sel:DWORD dst_unused:UNUSED_PAD src0_sel:WORD_1 src1_sel:DWORD
	v_lshlrev_b16_sdwa v2, v122, v2 dst_sel:DWORD dst_unused:UNUSED_PAD src0_sel:DWORD src1_sel:WORD_1
	v_add_u16_e32 v3, 0xf000, v3
	v_add_u16_e32 v2, 0xf000, v2
	v_perm_b32 v2, v2, v3, s23
	v_and_b32_e32 v3, 0x1f00, v1
	v_lshlrev_b16_e32 v1, 8, v1
	v_add_u16_e32 v1, 0xf000, v1
	v_or_b32_sdwa v1, v3, v1 dst_sel:DWORD dst_unused:UNUSED_PAD src0_sel:DWORD src1_sel:BYTE_1
	v_add_u16_e32 v1, 0xf000, v1
	v_lshl_or_b32 v1, v2, 16, v1
	ds_write2_b32 v15, v124, v1 offset1:1
	s_waitcnt vmcnt(3)
	v_ashrrev_i32_e32 v123, v12, v129
	v_lshlrev_b32_e32 v2, 4, v123
	v_lshlrev_b32_e32 v3, 11, v123
	s_waitcnt vmcnt(2)
	v_and_b32_e32 v1, 0xf0f0f0f, v130
	v_and_b32_e32 v2, 16, v2
	;; [unrolled: 1-line block ×3, first 2 shown]
	v_or3_b32 v2, v2, v1, v3
	v_lshlrev_b32_e32 v3, 18, v123
	v_lshlrev_b32_e32 v4, 25, v123
	v_and_b32_e32 v3, 0x100000, v3
	v_and_b32_e32 v4, 0x10000000, v4
	v_or3_b32 v1, v1, v3, v4
	v_and_b32_e32 v3, 0x1f00, v2
	v_lshlrev_b16_e32 v2, 8, v2
	v_add_u16_e32 v3, 0xf000, v3
	v_add_u16_e32 v2, 0xf000, v2
	v_perm_b32 v2, v2, v3, s23
	v_and_b32_sdwa v3, v1, s19 dst_sel:DWORD dst_unused:UNUSED_PAD src0_sel:WORD_1 src1_sel:DWORD
	v_lshlrev_b16_sdwa v1, v122, v1 dst_sel:DWORD dst_unused:UNUSED_PAD src0_sel:DWORD src1_sel:WORD_1
	v_add_u16_e32 v3, 0xf000, v3
	v_add_u16_e32 v1, 0xf000, v1
	v_perm_b32 v1, v1, v3, s23
	v_lshl_or_b32 v124, v1, 16, v2
	v_lshrrev_b32_e32 v1, 4, v130
	v_and_b32_e32 v125, 0xf0f0f0f, v1
	v_add_co_u32_e32 v1, vcc, s14, v63
	v_addc_co_u32_e32 v2, vcc, v64, v121, vcc
	v_add_co_u32_e32 v3, vcc, s14, v65
	v_addc_co_u32_e32 v4, vcc, v66, v121, vcc
	v_lshrrev_b32_e32 v126, 12, v123
	global_load_dword v129, v[3:4], off
	global_load_dword v130, v[1:2], off
	v_lshrrev_b32_e32 v2, 5, v123
	v_and_b32_e32 v1, 16, v126
	v_and_b32_e32 v2, 0x1000, v2
	v_or3_b32 v1, v1, v125, v2
	v_lshlrev_b32_e32 v2, 2, v123
	v_lshlrev_b32_e32 v3, 9, v123
	v_and_b32_e32 v2, 0x100000, v2
	v_and_b32_e32 v3, 0x10000000, v3
	v_or3_b32 v2, v125, v2, v3
	v_and_b32_sdwa v3, v2, s19 dst_sel:DWORD dst_unused:UNUSED_PAD src0_sel:WORD_1 src1_sel:DWORD
	v_lshlrev_b16_sdwa v2, v122, v2 dst_sel:DWORD dst_unused:UNUSED_PAD src0_sel:DWORD src1_sel:WORD_1
	v_add_u16_e32 v3, 0xf000, v3
	v_add_u16_e32 v2, 0xf000, v2
	v_perm_b32 v2, v2, v3, s23
	v_and_b32_e32 v3, 0x1f00, v1
	v_lshlrev_b16_e32 v1, 8, v1
	v_add_u16_e32 v1, 0xf000, v1
	v_or_b32_sdwa v1, v3, v1 dst_sel:DWORD dst_unused:UNUSED_PAD src0_sel:DWORD src1_sel:BYTE_1
	v_add_u16_e32 v1, 0xf000, v1
	v_lshl_or_b32 v1, v2, 16, v1
	s_waitcnt vmcnt(3)
	v_ashrrev_i32_e32 v123, v12, v127
	v_lshlrev_b32_e32 v2, 4, v123
	v_lshlrev_b32_e32 v3, 11, v123
	ds_write2_b32 v16, v124, v1 offset1:1
	s_waitcnt vmcnt(2)
	v_and_b32_e32 v1, 0xf0f0f0f, v128
	v_and_b32_e32 v2, 16, v2
	;; [unrolled: 1-line block ×3, first 2 shown]
	v_or3_b32 v2, v2, v1, v3
	v_lshlrev_b32_e32 v3, 18, v123
	v_lshlrev_b32_e32 v4, 25, v123
	v_and_b32_e32 v3, 0x100000, v3
	v_and_b32_e32 v4, 0x10000000, v4
	v_or3_b32 v1, v1, v3, v4
	v_and_b32_e32 v3, 0x1f00, v2
	v_lshlrev_b16_e32 v2, 8, v2
	v_add_u16_e32 v3, 0xf000, v3
	v_add_u16_e32 v2, 0xf000, v2
	v_perm_b32 v2, v2, v3, s23
	v_and_b32_sdwa v3, v1, s19 dst_sel:DWORD dst_unused:UNUSED_PAD src0_sel:WORD_1 src1_sel:DWORD
	v_lshlrev_b16_sdwa v1, v122, v1 dst_sel:DWORD dst_unused:UNUSED_PAD src0_sel:DWORD src1_sel:WORD_1
	v_add_u16_e32 v3, 0xf000, v3
	v_add_u16_e32 v1, 0xf000, v1
	v_perm_b32 v1, v1, v3, s23
	v_lshl_or_b32 v124, v1, 16, v2
	v_lshrrev_b32_e32 v1, 4, v128
	v_and_b32_e32 v125, 0xf0f0f0f, v1
	v_add_co_u32_e32 v1, vcc, s14, v67
	v_addc_co_u32_e32 v2, vcc, v68, v121, vcc
	v_add_co_u32_e32 v3, vcc, s14, v69
	v_addc_co_u32_e32 v4, vcc, v70, v121, vcc
	global_load_dword v127, v[3:4], off
	global_load_dword v128, v[1:2], off
	v_lshrrev_b32_e32 v126, 12, v123
	v_lshrrev_b32_e32 v2, 5, v123
	v_and_b32_e32 v1, 16, v126
	v_and_b32_e32 v2, 0x1000, v2
	v_or3_b32 v1, v1, v125, v2
	v_lshlrev_b32_e32 v2, 2, v123
	v_lshlrev_b32_e32 v3, 9, v123
	v_and_b32_e32 v2, 0x100000, v2
	v_and_b32_e32 v3, 0x10000000, v3
	v_or3_b32 v2, v125, v2, v3
	v_and_b32_sdwa v3, v2, s19 dst_sel:DWORD dst_unused:UNUSED_PAD src0_sel:WORD_1 src1_sel:DWORD
	v_lshlrev_b16_sdwa v2, v122, v2 dst_sel:DWORD dst_unused:UNUSED_PAD src0_sel:DWORD src1_sel:WORD_1
	v_add_u16_e32 v3, 0xf000, v3
	v_add_u16_e32 v2, 0xf000, v2
	v_perm_b32 v2, v2, v3, s23
	v_and_b32_e32 v3, 0x1f00, v1
	v_lshlrev_b16_e32 v1, 8, v1
	v_add_u16_e32 v1, 0xf000, v1
	v_or_b32_sdwa v1, v3, v1 dst_sel:DWORD dst_unused:UNUSED_PAD src0_sel:DWORD src1_sel:BYTE_1
	v_add_u16_e32 v1, 0xf000, v1
	v_lshl_or_b32 v1, v2, 16, v1
	ds_write2_b32 v17, v124, v1 offset1:1
	s_waitcnt vmcnt(3)
	v_ashrrev_i32_e32 v123, v12, v129
	v_lshlrev_b32_e32 v2, 4, v123
	v_lshlrev_b32_e32 v3, 11, v123
	s_waitcnt vmcnt(2)
	v_and_b32_e32 v1, 0xf0f0f0f, v130
	v_and_b32_e32 v2, 16, v2
	;; [unrolled: 1-line block ×3, first 2 shown]
	v_or3_b32 v2, v2, v1, v3
	v_lshlrev_b32_e32 v3, 18, v123
	v_lshlrev_b32_e32 v4, 25, v123
	v_and_b32_e32 v3, 0x100000, v3
	v_and_b32_e32 v4, 0x10000000, v4
	v_or3_b32 v1, v1, v3, v4
	v_and_b32_e32 v3, 0x1f00, v2
	v_lshlrev_b16_e32 v2, 8, v2
	v_add_u16_e32 v3, 0xf000, v3
	v_add_u16_e32 v2, 0xf000, v2
	v_perm_b32 v2, v2, v3, s23
	v_and_b32_sdwa v3, v1, s19 dst_sel:DWORD dst_unused:UNUSED_PAD src0_sel:WORD_1 src1_sel:DWORD
	v_lshlrev_b16_sdwa v1, v122, v1 dst_sel:DWORD dst_unused:UNUSED_PAD src0_sel:DWORD src1_sel:WORD_1
	v_add_u16_e32 v3, 0xf000, v3
	v_add_u16_e32 v1, 0xf000, v1
	v_perm_b32 v1, v1, v3, s23
	v_lshl_or_b32 v124, v1, 16, v2
	v_lshrrev_b32_e32 v1, 4, v130
	v_and_b32_e32 v125, 0xf0f0f0f, v1
	v_add_co_u32_e32 v1, vcc, s14, v71
	v_addc_co_u32_e32 v2, vcc, v72, v121, vcc
	v_add_co_u32_e32 v3, vcc, s14, v73
	v_addc_co_u32_e32 v4, vcc, v74, v121, vcc
	v_lshrrev_b32_e32 v126, 12, v123
	global_load_dword v129, v[3:4], off
	global_load_dword v130, v[1:2], off
	v_lshrrev_b32_e32 v2, 5, v123
	v_and_b32_e32 v1, 16, v126
	v_and_b32_e32 v2, 0x1000, v2
	v_or3_b32 v1, v1, v125, v2
	v_lshlrev_b32_e32 v2, 2, v123
	v_lshlrev_b32_e32 v3, 9, v123
	v_and_b32_e32 v2, 0x100000, v2
	v_and_b32_e32 v3, 0x10000000, v3
	v_or3_b32 v2, v125, v2, v3
	v_and_b32_sdwa v3, v2, s19 dst_sel:DWORD dst_unused:UNUSED_PAD src0_sel:WORD_1 src1_sel:DWORD
	v_lshlrev_b16_sdwa v2, v122, v2 dst_sel:DWORD dst_unused:UNUSED_PAD src0_sel:DWORD src1_sel:WORD_1
	v_add_u16_e32 v3, 0xf000, v3
	v_add_u16_e32 v2, 0xf000, v2
	v_perm_b32 v2, v2, v3, s23
	v_and_b32_e32 v3, 0x1f00, v1
	v_lshlrev_b16_e32 v1, 8, v1
	v_add_u16_e32 v1, 0xf000, v1
	v_or_b32_sdwa v1, v3, v1 dst_sel:DWORD dst_unused:UNUSED_PAD src0_sel:DWORD src1_sel:BYTE_1
	v_add_u16_e32 v1, 0xf000, v1
	v_lshl_or_b32 v1, v2, 16, v1
	s_waitcnt vmcnt(3)
	v_ashrrev_i32_e32 v123, v12, v127
	v_lshlrev_b32_e32 v2, 4, v123
	v_lshlrev_b32_e32 v3, 11, v123
	ds_write2_b32 v18, v124, v1 offset1:1
	s_waitcnt vmcnt(2)
	v_and_b32_e32 v1, 0xf0f0f0f, v128
	v_and_b32_e32 v2, 16, v2
	;; [unrolled: 1-line block ×3, first 2 shown]
	v_or3_b32 v2, v2, v1, v3
	v_lshlrev_b32_e32 v3, 18, v123
	v_lshlrev_b32_e32 v4, 25, v123
	v_and_b32_e32 v3, 0x100000, v3
	v_and_b32_e32 v4, 0x10000000, v4
	v_or3_b32 v1, v1, v3, v4
	v_and_b32_e32 v3, 0x1f00, v2
	v_lshlrev_b16_e32 v2, 8, v2
	v_add_u16_e32 v3, 0xf000, v3
	v_add_u16_e32 v2, 0xf000, v2
	v_perm_b32 v2, v2, v3, s23
	v_and_b32_sdwa v3, v1, s19 dst_sel:DWORD dst_unused:UNUSED_PAD src0_sel:WORD_1 src1_sel:DWORD
	v_lshlrev_b16_sdwa v1, v122, v1 dst_sel:DWORD dst_unused:UNUSED_PAD src0_sel:DWORD src1_sel:WORD_1
	v_add_u16_e32 v3, 0xf000, v3
	v_add_u16_e32 v1, 0xf000, v1
	v_perm_b32 v1, v1, v3, s23
	v_lshl_or_b32 v124, v1, 16, v2
	v_lshrrev_b32_e32 v1, 4, v128
	v_and_b32_e32 v125, 0xf0f0f0f, v1
	v_add_co_u32_e32 v1, vcc, s14, v75
	v_addc_co_u32_e32 v2, vcc, v76, v121, vcc
	v_add_co_u32_e32 v3, vcc, s14, v77
	v_addc_co_u32_e32 v4, vcc, v78, v121, vcc
	global_load_dword v127, v[3:4], off
	global_load_dword v128, v[1:2], off
	v_lshrrev_b32_e32 v126, 12, v123
	v_lshrrev_b32_e32 v2, 5, v123
	v_and_b32_e32 v1, 16, v126
	v_and_b32_e32 v2, 0x1000, v2
	v_or3_b32 v1, v1, v125, v2
	v_lshlrev_b32_e32 v2, 2, v123
	v_lshlrev_b32_e32 v3, 9, v123
	v_and_b32_e32 v2, 0x100000, v2
	v_and_b32_e32 v3, 0x10000000, v3
	v_or3_b32 v2, v125, v2, v3
	v_and_b32_sdwa v3, v2, s19 dst_sel:DWORD dst_unused:UNUSED_PAD src0_sel:WORD_1 src1_sel:DWORD
	v_lshlrev_b16_sdwa v2, v122, v2 dst_sel:DWORD dst_unused:UNUSED_PAD src0_sel:DWORD src1_sel:WORD_1
	v_add_u16_e32 v3, 0xf000, v3
	v_add_u16_e32 v2, 0xf000, v2
	v_perm_b32 v2, v2, v3, s23
	v_and_b32_e32 v3, 0x1f00, v1
	v_lshlrev_b16_e32 v1, 8, v1
	v_add_u16_e32 v1, 0xf000, v1
	v_or_b32_sdwa v1, v3, v1 dst_sel:DWORD dst_unused:UNUSED_PAD src0_sel:DWORD src1_sel:BYTE_1
	v_add_u16_e32 v1, 0xf000, v1
	v_lshl_or_b32 v1, v2, 16, v1
	ds_write2_b32 v19, v124, v1 offset1:1
	s_waitcnt vmcnt(3)
	v_ashrrev_i32_e32 v123, v12, v129
	v_lshlrev_b32_e32 v2, 4, v123
	v_lshlrev_b32_e32 v3, 11, v123
	s_waitcnt vmcnt(2)
	v_and_b32_e32 v1, 0xf0f0f0f, v130
	v_and_b32_e32 v2, 16, v2
	;; [unrolled: 1-line block ×3, first 2 shown]
	v_or3_b32 v2, v2, v1, v3
	v_lshlrev_b32_e32 v3, 18, v123
	v_lshlrev_b32_e32 v4, 25, v123
	v_and_b32_e32 v3, 0x100000, v3
	v_and_b32_e32 v4, 0x10000000, v4
	v_or3_b32 v1, v1, v3, v4
	v_and_b32_e32 v3, 0x1f00, v2
	v_lshlrev_b16_e32 v2, 8, v2
	v_add_u16_e32 v3, 0xf000, v3
	v_add_u16_e32 v2, 0xf000, v2
	v_perm_b32 v2, v2, v3, s23
	v_and_b32_sdwa v3, v1, s19 dst_sel:DWORD dst_unused:UNUSED_PAD src0_sel:WORD_1 src1_sel:DWORD
	v_lshlrev_b16_sdwa v1, v122, v1 dst_sel:DWORD dst_unused:UNUSED_PAD src0_sel:DWORD src1_sel:WORD_1
	v_add_u16_e32 v3, 0xf000, v3
	v_add_u16_e32 v1, 0xf000, v1
	v_perm_b32 v1, v1, v3, s23
	v_lshl_or_b32 v124, v1, 16, v2
	v_lshrrev_b32_e32 v1, 4, v130
	v_and_b32_e32 v125, 0xf0f0f0f, v1
	v_add_co_u32_e32 v1, vcc, s14, v79
	v_addc_co_u32_e32 v2, vcc, v80, v121, vcc
	v_add_co_u32_e32 v3, vcc, s14, v81
	v_addc_co_u32_e32 v4, vcc, v82, v121, vcc
	v_lshrrev_b32_e32 v126, 12, v123
	global_load_dword v129, v[3:4], off
	global_load_dword v130, v[1:2], off
	v_lshrrev_b32_e32 v2, 5, v123
	v_and_b32_e32 v1, 16, v126
	v_and_b32_e32 v2, 0x1000, v2
	v_or3_b32 v1, v1, v125, v2
	v_lshlrev_b32_e32 v2, 2, v123
	v_lshlrev_b32_e32 v3, 9, v123
	v_and_b32_e32 v2, 0x100000, v2
	v_and_b32_e32 v3, 0x10000000, v3
	v_or3_b32 v2, v125, v2, v3
	v_and_b32_sdwa v3, v2, s19 dst_sel:DWORD dst_unused:UNUSED_PAD src0_sel:WORD_1 src1_sel:DWORD
	v_lshlrev_b16_sdwa v2, v122, v2 dst_sel:DWORD dst_unused:UNUSED_PAD src0_sel:DWORD src1_sel:WORD_1
	v_add_u16_e32 v3, 0xf000, v3
	v_add_u16_e32 v2, 0xf000, v2
	v_perm_b32 v2, v2, v3, s23
	v_and_b32_e32 v3, 0x1f00, v1
	v_lshlrev_b16_e32 v1, 8, v1
	v_add_u16_e32 v1, 0xf000, v1
	v_or_b32_sdwa v1, v3, v1 dst_sel:DWORD dst_unused:UNUSED_PAD src0_sel:DWORD src1_sel:BYTE_1
	v_add_u16_e32 v1, 0xf000, v1
	v_lshl_or_b32 v1, v2, 16, v1
	s_waitcnt vmcnt(3)
	v_ashrrev_i32_e32 v123, v12, v127
	v_lshlrev_b32_e32 v2, 4, v123
	v_lshlrev_b32_e32 v3, 11, v123
	ds_write2_b32 v20, v124, v1 offset1:1
	s_waitcnt vmcnt(2)
	v_and_b32_e32 v1, 0xf0f0f0f, v128
	v_and_b32_e32 v2, 16, v2
	;; [unrolled: 1-line block ×3, first 2 shown]
	v_or3_b32 v2, v2, v1, v3
	v_lshlrev_b32_e32 v3, 18, v123
	v_lshlrev_b32_e32 v4, 25, v123
	v_and_b32_e32 v3, 0x100000, v3
	v_and_b32_e32 v4, 0x10000000, v4
	v_or3_b32 v1, v1, v3, v4
	v_and_b32_e32 v3, 0x1f00, v2
	v_lshlrev_b16_e32 v2, 8, v2
	v_add_u16_e32 v3, 0xf000, v3
	v_add_u16_e32 v2, 0xf000, v2
	v_perm_b32 v2, v2, v3, s23
	v_and_b32_sdwa v3, v1, s19 dst_sel:DWORD dst_unused:UNUSED_PAD src0_sel:WORD_1 src1_sel:DWORD
	v_lshlrev_b16_sdwa v1, v122, v1 dst_sel:DWORD dst_unused:UNUSED_PAD src0_sel:DWORD src1_sel:WORD_1
	v_add_u16_e32 v3, 0xf000, v3
	v_add_u16_e32 v1, 0xf000, v1
	v_perm_b32 v1, v1, v3, s23
	v_lshl_or_b32 v124, v1, 16, v2
	v_lshrrev_b32_e32 v1, 4, v128
	v_and_b32_e32 v125, 0xf0f0f0f, v1
	v_add_co_u32_e32 v1, vcc, s14, v83
	v_addc_co_u32_e32 v2, vcc, v84, v121, vcc
	v_add_co_u32_e32 v3, vcc, s14, v85
	v_addc_co_u32_e32 v4, vcc, v86, v121, vcc
	global_load_dword v127, v[3:4], off
	global_load_dword v128, v[1:2], off
	v_lshrrev_b32_e32 v126, 12, v123
	v_lshrrev_b32_e32 v2, 5, v123
	v_and_b32_e32 v1, 16, v126
	v_and_b32_e32 v2, 0x1000, v2
	v_or3_b32 v1, v1, v125, v2
	v_lshlrev_b32_e32 v2, 2, v123
	v_lshlrev_b32_e32 v3, 9, v123
	v_and_b32_e32 v2, 0x100000, v2
	v_and_b32_e32 v3, 0x10000000, v3
	v_or3_b32 v2, v125, v2, v3
	v_and_b32_sdwa v3, v2, s19 dst_sel:DWORD dst_unused:UNUSED_PAD src0_sel:WORD_1 src1_sel:DWORD
	v_lshlrev_b16_sdwa v2, v122, v2 dst_sel:DWORD dst_unused:UNUSED_PAD src0_sel:DWORD src1_sel:WORD_1
	v_add_u16_e32 v3, 0xf000, v3
	v_add_u16_e32 v2, 0xf000, v2
	v_perm_b32 v2, v2, v3, s23
	v_and_b32_e32 v3, 0x1f00, v1
	v_lshlrev_b16_e32 v1, 8, v1
	v_add_u16_e32 v1, 0xf000, v1
	v_or_b32_sdwa v1, v3, v1 dst_sel:DWORD dst_unused:UNUSED_PAD src0_sel:DWORD src1_sel:BYTE_1
	v_add_u16_e32 v1, 0xf000, v1
	v_lshl_or_b32 v1, v2, 16, v1
	ds_write2_b32 v21, v124, v1 offset1:1
	s_waitcnt vmcnt(3)
	v_ashrrev_i32_e32 v123, v12, v129
	v_lshlrev_b32_e32 v2, 4, v123
	v_lshlrev_b32_e32 v3, 11, v123
	s_waitcnt vmcnt(2)
	v_and_b32_e32 v1, 0xf0f0f0f, v130
	v_and_b32_e32 v2, 16, v2
	;; [unrolled: 1-line block ×3, first 2 shown]
	v_or3_b32 v2, v2, v1, v3
	v_lshlrev_b32_e32 v3, 18, v123
	v_lshlrev_b32_e32 v4, 25, v123
	v_and_b32_e32 v3, 0x100000, v3
	v_and_b32_e32 v4, 0x10000000, v4
	v_or3_b32 v1, v1, v3, v4
	v_and_b32_e32 v3, 0x1f00, v2
	v_lshlrev_b16_e32 v2, 8, v2
	v_add_u16_e32 v3, 0xf000, v3
	v_add_u16_e32 v2, 0xf000, v2
	v_perm_b32 v2, v2, v3, s23
	v_and_b32_sdwa v3, v1, s19 dst_sel:DWORD dst_unused:UNUSED_PAD src0_sel:WORD_1 src1_sel:DWORD
	v_lshlrev_b16_sdwa v1, v122, v1 dst_sel:DWORD dst_unused:UNUSED_PAD src0_sel:DWORD src1_sel:WORD_1
	v_add_u16_e32 v3, 0xf000, v3
	v_add_u16_e32 v1, 0xf000, v1
	v_perm_b32 v1, v1, v3, s23
	v_lshl_or_b32 v124, v1, 16, v2
	v_lshrrev_b32_e32 v1, 4, v130
	v_and_b32_e32 v125, 0xf0f0f0f, v1
	v_add_co_u32_e32 v1, vcc, s14, v87
	v_addc_co_u32_e32 v2, vcc, v88, v121, vcc
	v_add_co_u32_e32 v3, vcc, s14, v89
	v_addc_co_u32_e32 v4, vcc, v90, v121, vcc
	v_lshrrev_b32_e32 v126, 12, v123
	global_load_dword v129, v[3:4], off
	global_load_dword v130, v[1:2], off
	v_lshrrev_b32_e32 v2, 5, v123
	v_and_b32_e32 v1, 16, v126
	v_and_b32_e32 v2, 0x1000, v2
	v_or3_b32 v1, v1, v125, v2
	v_lshlrev_b32_e32 v2, 2, v123
	v_lshlrev_b32_e32 v3, 9, v123
	v_and_b32_e32 v2, 0x100000, v2
	v_and_b32_e32 v3, 0x10000000, v3
	v_or3_b32 v2, v125, v2, v3
	v_and_b32_sdwa v3, v2, s19 dst_sel:DWORD dst_unused:UNUSED_PAD src0_sel:WORD_1 src1_sel:DWORD
	v_lshlrev_b16_sdwa v2, v122, v2 dst_sel:DWORD dst_unused:UNUSED_PAD src0_sel:DWORD src1_sel:WORD_1
	v_add_u16_e32 v3, 0xf000, v3
	v_add_u16_e32 v2, 0xf000, v2
	v_perm_b32 v2, v2, v3, s23
	v_and_b32_e32 v3, 0x1f00, v1
	v_lshlrev_b16_e32 v1, 8, v1
	v_add_u16_e32 v1, 0xf000, v1
	v_or_b32_sdwa v1, v3, v1 dst_sel:DWORD dst_unused:UNUSED_PAD src0_sel:DWORD src1_sel:BYTE_1
	v_add_u16_e32 v1, 0xf000, v1
	v_lshl_or_b32 v1, v2, 16, v1
	s_waitcnt vmcnt(3)
	v_ashrrev_i32_e32 v123, v12, v127
	v_lshlrev_b32_e32 v2, 4, v123
	v_lshlrev_b32_e32 v3, 11, v123
	ds_write2_b32 v22, v124, v1 offset1:1
	s_waitcnt vmcnt(2)
	v_and_b32_e32 v1, 0xf0f0f0f, v128
	v_and_b32_e32 v2, 16, v2
	;; [unrolled: 1-line block ×3, first 2 shown]
	v_or3_b32 v2, v2, v1, v3
	v_lshlrev_b32_e32 v3, 18, v123
	v_lshlrev_b32_e32 v4, 25, v123
	v_and_b32_e32 v3, 0x100000, v3
	v_and_b32_e32 v4, 0x10000000, v4
	v_or3_b32 v1, v1, v3, v4
	v_and_b32_e32 v3, 0x1f00, v2
	v_lshlrev_b16_e32 v2, 8, v2
	v_add_u16_e32 v3, 0xf000, v3
	v_add_u16_e32 v2, 0xf000, v2
	v_perm_b32 v2, v2, v3, s23
	v_and_b32_sdwa v3, v1, s19 dst_sel:DWORD dst_unused:UNUSED_PAD src0_sel:WORD_1 src1_sel:DWORD
	v_lshlrev_b16_sdwa v1, v122, v1 dst_sel:DWORD dst_unused:UNUSED_PAD src0_sel:DWORD src1_sel:WORD_1
	v_add_u16_e32 v3, 0xf000, v3
	v_add_u16_e32 v1, 0xf000, v1
	v_perm_b32 v1, v1, v3, s23
	v_lshl_or_b32 v124, v1, 16, v2
	v_lshrrev_b32_e32 v1, 4, v128
	v_and_b32_e32 v125, 0xf0f0f0f, v1
	v_add_co_u32_e32 v1, vcc, s14, v91
	v_addc_co_u32_e32 v2, vcc, v92, v121, vcc
	v_add_co_u32_e32 v3, vcc, s14, v93
	v_addc_co_u32_e32 v4, vcc, v94, v121, vcc
	global_load_dword v127, v[3:4], off
	global_load_dword v128, v[1:2], off
	v_lshrrev_b32_e32 v126, 12, v123
	v_lshrrev_b32_e32 v2, 5, v123
	v_and_b32_e32 v1, 16, v126
	v_and_b32_e32 v2, 0x1000, v2
	v_or3_b32 v1, v1, v125, v2
	v_lshlrev_b32_e32 v2, 2, v123
	v_lshlrev_b32_e32 v3, 9, v123
	v_and_b32_e32 v2, 0x100000, v2
	v_and_b32_e32 v3, 0x10000000, v3
	v_or3_b32 v2, v125, v2, v3
	v_and_b32_sdwa v3, v2, s19 dst_sel:DWORD dst_unused:UNUSED_PAD src0_sel:WORD_1 src1_sel:DWORD
	v_lshlrev_b16_sdwa v2, v122, v2 dst_sel:DWORD dst_unused:UNUSED_PAD src0_sel:DWORD src1_sel:WORD_1
	v_add_u16_e32 v3, 0xf000, v3
	v_add_u16_e32 v2, 0xf000, v2
	v_perm_b32 v2, v2, v3, s23
	v_and_b32_e32 v3, 0x1f00, v1
	v_lshlrev_b16_e32 v1, 8, v1
	v_add_u16_e32 v1, 0xf000, v1
	v_or_b32_sdwa v1, v3, v1 dst_sel:DWORD dst_unused:UNUSED_PAD src0_sel:DWORD src1_sel:BYTE_1
	v_add_u16_e32 v1, 0xf000, v1
	v_lshl_or_b32 v1, v2, 16, v1
	ds_write2_b32 v23, v124, v1 offset1:1
	s_waitcnt vmcnt(3)
	v_ashrrev_i32_e32 v123, v12, v129
	v_lshlrev_b32_e32 v2, 4, v123
	v_lshlrev_b32_e32 v3, 11, v123
	s_waitcnt vmcnt(2)
	v_and_b32_e32 v1, 0xf0f0f0f, v130
	v_and_b32_e32 v2, 16, v2
	;; [unrolled: 1-line block ×3, first 2 shown]
	v_or3_b32 v2, v2, v1, v3
	v_lshlrev_b32_e32 v3, 18, v123
	v_lshlrev_b32_e32 v4, 25, v123
	v_and_b32_e32 v3, 0x100000, v3
	v_and_b32_e32 v4, 0x10000000, v4
	v_or3_b32 v1, v1, v3, v4
	v_and_b32_e32 v3, 0x1f00, v2
	v_lshlrev_b16_e32 v2, 8, v2
	v_add_u16_e32 v3, 0xf000, v3
	v_add_u16_e32 v2, 0xf000, v2
	v_perm_b32 v2, v2, v3, s23
	v_and_b32_sdwa v3, v1, s19 dst_sel:DWORD dst_unused:UNUSED_PAD src0_sel:WORD_1 src1_sel:DWORD
	v_lshlrev_b16_sdwa v1, v122, v1 dst_sel:DWORD dst_unused:UNUSED_PAD src0_sel:DWORD src1_sel:WORD_1
	v_add_u16_e32 v3, 0xf000, v3
	v_add_u16_e32 v1, 0xf000, v1
	v_perm_b32 v1, v1, v3, s23
	v_lshl_or_b32 v124, v1, 16, v2
	v_lshrrev_b32_e32 v1, 4, v130
	v_and_b32_e32 v125, 0xf0f0f0f, v1
	v_add_co_u32_e32 v1, vcc, s14, v95
	v_addc_co_u32_e32 v2, vcc, v96, v121, vcc
	v_add_co_u32_e32 v3, vcc, s14, v97
	v_addc_co_u32_e32 v4, vcc, v98, v121, vcc
	v_lshrrev_b32_e32 v126, 12, v123
	global_load_dword v129, v[3:4], off
	global_load_dword v130, v[1:2], off
	v_lshrrev_b32_e32 v2, 5, v123
	v_and_b32_e32 v1, 16, v126
	v_and_b32_e32 v2, 0x1000, v2
	v_or3_b32 v1, v1, v125, v2
	v_lshlrev_b32_e32 v2, 2, v123
	v_lshlrev_b32_e32 v3, 9, v123
	v_and_b32_e32 v2, 0x100000, v2
	v_and_b32_e32 v3, 0x10000000, v3
	v_or3_b32 v2, v125, v2, v3
	v_and_b32_sdwa v3, v2, s19 dst_sel:DWORD dst_unused:UNUSED_PAD src0_sel:WORD_1 src1_sel:DWORD
	v_lshlrev_b16_sdwa v2, v122, v2 dst_sel:DWORD dst_unused:UNUSED_PAD src0_sel:DWORD src1_sel:WORD_1
	v_add_u16_e32 v3, 0xf000, v3
	v_add_u16_e32 v2, 0xf000, v2
	v_perm_b32 v2, v2, v3, s23
	v_and_b32_e32 v3, 0x1f00, v1
	v_lshlrev_b16_e32 v1, 8, v1
	v_add_u16_e32 v1, 0xf000, v1
	v_or_b32_sdwa v1, v3, v1 dst_sel:DWORD dst_unused:UNUSED_PAD src0_sel:DWORD src1_sel:BYTE_1
	v_add_u16_e32 v1, 0xf000, v1
	v_lshl_or_b32 v1, v2, 16, v1
	s_waitcnt vmcnt(3)
	v_ashrrev_i32_e32 v123, v12, v127
	v_lshlrev_b32_e32 v2, 4, v123
	v_lshlrev_b32_e32 v3, 11, v123
	ds_write2_b32 v24, v124, v1 offset1:1
	s_waitcnt vmcnt(2)
	v_and_b32_e32 v1, 0xf0f0f0f, v128
	v_and_b32_e32 v2, 16, v2
	;; [unrolled: 1-line block ×3, first 2 shown]
	v_or3_b32 v2, v2, v1, v3
	v_lshlrev_b32_e32 v3, 18, v123
	v_lshlrev_b32_e32 v4, 25, v123
	v_and_b32_e32 v3, 0x100000, v3
	v_and_b32_e32 v4, 0x10000000, v4
	v_or3_b32 v1, v1, v3, v4
	v_and_b32_e32 v3, 0x1f00, v2
	v_lshlrev_b16_e32 v2, 8, v2
	v_add_u16_e32 v3, 0xf000, v3
	v_add_u16_e32 v2, 0xf000, v2
	v_perm_b32 v2, v2, v3, s23
	v_and_b32_sdwa v3, v1, s19 dst_sel:DWORD dst_unused:UNUSED_PAD src0_sel:WORD_1 src1_sel:DWORD
	v_lshlrev_b16_sdwa v1, v122, v1 dst_sel:DWORD dst_unused:UNUSED_PAD src0_sel:DWORD src1_sel:WORD_1
	v_add_u16_e32 v3, 0xf000, v3
	v_add_u16_e32 v1, 0xf000, v1
	v_perm_b32 v1, v1, v3, s23
	v_lshl_or_b32 v124, v1, 16, v2
	v_lshrrev_b32_e32 v1, 4, v128
	v_and_b32_e32 v125, 0xf0f0f0f, v1
	v_add_co_u32_e32 v1, vcc, s14, v99
	v_addc_co_u32_e32 v2, vcc, v100, v121, vcc
	v_add_co_u32_e32 v3, vcc, s14, v101
	v_addc_co_u32_e32 v4, vcc, v102, v121, vcc
	global_load_dword v127, v[3:4], off
	global_load_dword v128, v[1:2], off
	v_lshrrev_b32_e32 v126, 12, v123
	v_lshrrev_b32_e32 v2, 5, v123
	v_and_b32_e32 v1, 16, v126
	v_and_b32_e32 v2, 0x1000, v2
	v_or3_b32 v1, v1, v125, v2
	v_lshlrev_b32_e32 v2, 2, v123
	v_lshlrev_b32_e32 v3, 9, v123
	v_and_b32_e32 v2, 0x100000, v2
	v_and_b32_e32 v3, 0x10000000, v3
	v_or3_b32 v2, v125, v2, v3
	v_and_b32_sdwa v3, v2, s19 dst_sel:DWORD dst_unused:UNUSED_PAD src0_sel:WORD_1 src1_sel:DWORD
	v_lshlrev_b16_sdwa v2, v122, v2 dst_sel:DWORD dst_unused:UNUSED_PAD src0_sel:DWORD src1_sel:WORD_1
	v_add_u16_e32 v3, 0xf000, v3
	v_add_u16_e32 v2, 0xf000, v2
	v_perm_b32 v2, v2, v3, s23
	v_and_b32_e32 v3, 0x1f00, v1
	v_lshlrev_b16_e32 v1, 8, v1
	v_add_u16_e32 v1, 0xf000, v1
	v_or_b32_sdwa v1, v3, v1 dst_sel:DWORD dst_unused:UNUSED_PAD src0_sel:DWORD src1_sel:BYTE_1
	v_add_u16_e32 v1, 0xf000, v1
	v_lshl_or_b32 v1, v2, 16, v1
	ds_write2_b32 v25, v124, v1 offset1:1
	s_waitcnt vmcnt(3)
	v_ashrrev_i32_e32 v1, v12, v129
	v_lshlrev_b32_e32 v3, 4, v1
	v_lshlrev_b32_e32 v4, 11, v1
	s_waitcnt vmcnt(2)
	v_and_b32_e32 v2, 0xf0f0f0f, v130
	v_and_b32_e32 v3, 16, v3
	;; [unrolled: 1-line block ×3, first 2 shown]
	v_or3_b32 v3, v3, v2, v4
	v_lshlrev_b32_e32 v4, 18, v1
	v_lshlrev_b32_e32 v123, 25, v1
	v_and_b32_e32 v4, 0x100000, v4
	v_and_b32_e32 v123, 0x10000000, v123
	v_or3_b32 v2, v2, v4, v123
	v_and_b32_e32 v4, 0x1f00, v3
	v_lshlrev_b16_e32 v3, 8, v3
	v_add_u16_e32 v4, 0xf000, v4
	v_add_u16_e32 v3, 0xf000, v3
	v_perm_b32 v3, v3, v4, s23
	v_and_b32_sdwa v4, v2, s19 dst_sel:DWORD dst_unused:UNUSED_PAD src0_sel:WORD_1 src1_sel:DWORD
	v_lshlrev_b16_sdwa v2, v122, v2 dst_sel:DWORD dst_unused:UNUSED_PAD src0_sel:DWORD src1_sel:WORD_1
	v_add_u16_e32 v4, 0xf000, v4
	v_add_u16_e32 v2, 0xf000, v2
	v_perm_b32 v2, v2, v4, s23
	v_lshl_or_b32 v123, v2, 16, v3
	v_lshrrev_b32_e32 v2, 4, v130
	v_lshrrev_b32_e32 v3, 12, v1
	;; [unrolled: 1-line block ×3, first 2 shown]
	v_and_b32_e32 v2, 0xf0f0f0f, v2
	v_and_b32_e32 v3, 16, v3
	;; [unrolled: 1-line block ×3, first 2 shown]
	v_or3_b32 v124, v3, v2, v4
	v_lshlrev_b32_e32 v3, 2, v1
	v_lshlrev_b32_e32 v1, 9, v1
	v_and_b32_e32 v3, 0x100000, v3
	v_and_b32_e32 v1, 0x10000000, v1
	v_or3_b32 v125, v2, v3, v1
	v_add_co_u32_e32 v1, vcc, s14, v103
	v_addc_co_u32_e32 v2, vcc, v104, v121, vcc
	v_add_co_u32_e32 v3, vcc, s14, v105
	v_addc_co_u32_e32 v4, vcc, v106, v121, vcc
	v_and_b32_sdwa v126, v125, s19 dst_sel:DWORD dst_unused:UNUSED_PAD src0_sel:WORD_1 src1_sel:DWORD
	global_load_dword v3, v[3:4], off
	s_nop 0
	global_load_dword v4, v[1:2], off
	v_lshlrev_b16_sdwa v2, v122, v125 dst_sel:DWORD dst_unused:UNUSED_PAD src0_sel:DWORD src1_sel:WORD_1
	v_add_u16_e32 v1, 0xf000, v126
	v_add_u16_e32 v2, 0xf000, v2
	v_perm_b32 v1, v2, v1, s23
	v_and_b32_e32 v2, 0x1f00, v124
	v_lshlrev_b16_e32 v124, 8, v124
	v_add_u16_e32 v124, 0xf000, v124
	v_or_b32_sdwa v2, v2, v124 dst_sel:DWORD dst_unused:UNUSED_PAD src0_sel:DWORD src1_sel:BYTE_1
	v_add_u16_e32 v2, 0xf000, v2
	v_lshl_or_b32 v1, v1, 16, v2
	ds_write2_b32 v26, v123, v1 offset1:1
	s_waitcnt vmcnt(3)
	v_ashrrev_i32_e32 v123, v12, v127
	v_lshlrev_b32_e32 v2, 4, v123
	v_lshlrev_b32_e32 v124, 11, v123
	s_waitcnt vmcnt(2)
	v_and_b32_e32 v1, 0xf0f0f0f, v128
	v_and_b32_e32 v2, 16, v2
	;; [unrolled: 1-line block ×3, first 2 shown]
	v_or3_b32 v2, v2, v1, v124
	v_lshlrev_b32_e32 v124, 18, v123
	v_lshlrev_b32_e32 v125, 25, v123
	v_and_b32_e32 v124, 0x100000, v124
	v_and_b32_e32 v125, 0x10000000, v125
	v_or3_b32 v1, v1, v124, v125
	v_and_b32_e32 v124, 0x1f00, v2
	v_lshlrev_b16_e32 v2, 8, v2
	v_add_u16_e32 v124, 0xf000, v124
	v_add_u16_e32 v2, 0xf000, v2
	v_perm_b32 v124, v2, v124, s23
	v_and_b32_sdwa v2, v1, s19 dst_sel:DWORD dst_unused:UNUSED_PAD src0_sel:WORD_1 src1_sel:DWORD
	v_lshlrev_b16_sdwa v126, v122, v1 dst_sel:DWORD dst_unused:UNUSED_PAD src0_sel:DWORD src1_sel:WORD_1
	v_add_co_u32_e32 v1, vcc, s14, v108
	v_add_u16_e32 v125, 0xf000, v2
	v_addc_co_u32_e32 v2, vcc, v109, v121, vcc
	global_load_ushort v127, v[1:2], off
	v_add_co_u32_e32 v1, vcc, s14, v110
	v_addc_co_u32_e32 v2, vcc, v111, v121, vcc
	global_load_ushort v129, v[1:2], off
	v_add_co_u32_e32 v1, vcc, s14, v113
	;; [unrolled: 3-line block ×3, first 2 shown]
	v_addc_co_u32_e32 v2, vcc, v116, v121, vcc
	global_load_ushort v1, v[1:2], off
	v_add_u16_e32 v2, 0xf000, v126
	v_perm_b32 v2, v2, v125, s23
	v_lshl_or_b32 v2, v2, 16, v124
	v_lshrrev_b32_e32 v124, 4, v128
	v_lshrrev_b32_e32 v125, 12, v123
	;; [unrolled: 1-line block ×3, first 2 shown]
	v_and_b32_e32 v124, 0xf0f0f0f, v124
	v_and_b32_e32 v125, 16, v125
	;; [unrolled: 1-line block ×3, first 2 shown]
	v_or3_b32 v125, v125, v124, v126
	v_lshlrev_b32_e32 v126, 2, v123
	v_lshlrev_b32_e32 v123, 9, v123
	v_and_b32_e32 v126, 0x100000, v126
	v_and_b32_e32 v123, 0x10000000, v123
	v_or3_b32 v123, v124, v126, v123
	v_and_b32_sdwa v124, v123, s19 dst_sel:DWORD dst_unused:UNUSED_PAD src0_sel:WORD_1 src1_sel:DWORD
	v_lshlrev_b16_sdwa v123, v122, v123 dst_sel:DWORD dst_unused:UNUSED_PAD src0_sel:DWORD src1_sel:WORD_1
	v_add_u16_e32 v124, 0xf000, v124
	v_add_u16_e32 v123, 0xf000, v123
	v_perm_b32 v123, v123, v124, s23
	v_and_b32_e32 v124, 0x1f00, v125
	v_lshlrev_b16_e32 v125, 8, v125
	v_add_u16_e32 v125, 0xf000, v125
	v_or_b32_sdwa v124, v124, v125 dst_sel:DWORD dst_unused:UNUSED_PAD src0_sel:DWORD src1_sel:BYTE_1
	v_add_u16_e32 v124, 0xf000, v124
	v_lshl_or_b32 v123, v123, 16, v124
	ds_write2_b32 v27, v2, v123 offset1:1
	s_waitcnt vmcnt(5)
	v_ashrrev_i32_e32 v2, v12, v3
	v_lshlrev_b32_e32 v123, 4, v2
	v_lshlrev_b32_e32 v124, 11, v2
	s_waitcnt vmcnt(4)
	v_and_b32_e32 v3, 0xf0f0f0f, v4
	v_and_b32_e32 v123, 16, v123
	;; [unrolled: 1-line block ×3, first 2 shown]
	v_or3_b32 v123, v123, v3, v124
	v_lshlrev_b32_e32 v124, 18, v2
	v_lshlrev_b32_e32 v125, 25, v2
	v_and_b32_e32 v124, 0x100000, v124
	v_and_b32_e32 v125, 0x10000000, v125
	v_or3_b32 v3, v3, v124, v125
	v_and_b32_e32 v124, 0x1f00, v123
	v_lshlrev_b16_e32 v123, 8, v123
	v_add_u16_e32 v124, 0xf000, v124
	v_add_u16_e32 v123, 0xf000, v123
	v_perm_b32 v123, v123, v124, s23
	v_and_b32_sdwa v124, v3, s19 dst_sel:DWORD dst_unused:UNUSED_PAD src0_sel:WORD_1 src1_sel:DWORD
	v_lshlrev_b16_sdwa v3, v122, v3 dst_sel:DWORD dst_unused:UNUSED_PAD src0_sel:DWORD src1_sel:WORD_1
	v_add_u16_e32 v124, 0xf000, v124
	v_add_u16_e32 v3, 0xf000, v3
	v_perm_b32 v3, v3, v124, s23
	v_lshl_or_b32 v3, v3, 16, v123
	v_lshrrev_b32_e32 v4, 4, v4
	v_lshrrev_b32_e32 v123, 12, v2
	;; [unrolled: 1-line block ×3, first 2 shown]
	v_and_b32_e32 v4, 0xf0f0f0f, v4
	v_and_b32_e32 v123, 16, v123
	;; [unrolled: 1-line block ×3, first 2 shown]
	v_or3_b32 v123, v123, v4, v124
	v_lshlrev_b32_e32 v124, 2, v2
	v_lshlrev_b32_e32 v2, 9, v2
	v_and_b32_e32 v124, 0x100000, v124
	v_and_b32_e32 v2, 0x10000000, v2
	v_or3_b32 v2, v4, v124, v2
	v_and_b32_sdwa v4, v2, s19 dst_sel:DWORD dst_unused:UNUSED_PAD src0_sel:WORD_1 src1_sel:DWORD
	v_lshlrev_b16_sdwa v2, v122, v2 dst_sel:DWORD dst_unused:UNUSED_PAD src0_sel:DWORD src1_sel:WORD_1
	v_add_u16_e32 v4, 0xf000, v4
	v_add_u16_e32 v2, 0xf000, v2
	v_perm_b32 v2, v2, v4, s23
	v_and_b32_e32 v4, 0x1f00, v123
	v_lshlrev_b16_e32 v123, 8, v123
	v_add_u16_e32 v123, 0xf000, v123
	v_or_b32_sdwa v4, v4, v123 dst_sel:DWORD dst_unused:UNUSED_PAD src0_sel:DWORD src1_sel:BYTE_1
	v_add_u16_e32 v4, 0xf000, v4
	v_lshl_or_b32 v2, v2, 16, v4
	s_waitcnt vmcnt(3)
	v_cvt_f32_f16_e32 v4, v127
	ds_write2_b32 v28, v3, v2 offset1:1
	s_waitcnt vmcnt(1)
	v_cvt_f32_f16_e32 v2, v130
	v_cvt_f32_f16_e32 v123, v129
	ds_write_b32 v117, v4
	ds_write_b32 v118, v123
	s_waitcnt vmcnt(0)
	v_cvt_f32_f16_e32 v1, v1
	ds_write_b32 v119, v2
	ds_write_b32 v120, v1
	s_cbranch_scc0 .LBB221_5
; %bb.7:                                ;   in Loop: Header=BB221_6 Depth=1
	v_add_u32_e32 v1, s22, v29
	v_cmp_gt_i32_e32 vcc, s9, v1
	s_and_b64 s[24:25], s[2:3], vcc
	s_and_saveexec_b64 s[4:5], s[24:25]
	s_cbranch_execz .LBB221_9
; %bb.8:                                ;   in Loop: Header=BB221_6 Depth=1
	v_add_u32_e32 v1, s22, v41
	v_mad_i64_i32 v[1:2], s[24:25], v1, 36, v[5:6]
	global_load_dword v1, v[1:2], off offset:4
	s_waitcnt vmcnt(0)
	ds_write_b32 v31, v1
.LBB221_9:                              ;   in Loop: Header=BB221_6 Depth=1
	s_or_b64 exec, exec, s[4:5]
	v_add_u32_e32 v123, s22, v0
	v_cmp_gt_i32_e32 vcc, s9, v123
	s_and_b64 s[24:25], s[16:17], vcc
	s_and_saveexec_b64 s[4:5], s[24:25]
	s_cbranch_execz .LBB221_11
; %bb.10:                               ;   in Loop: Header=BB221_6 Depth=1
	v_add_u32_e32 v1, s22, v42
	v_mad_i64_i32 v[1:2], s[24:25], v1, 36, s[6:7]
	global_load_dword v1, v[1:2], off
	s_waitcnt vmcnt(0)
	v_cvt_f32_f16_e32 v1, v1
	ds_write_b32 v33, v1
.LBB221_11:                             ;   in Loop: Header=BB221_6 Depth=1
	s_or_b64 exec, exec, s[4:5]
	s_waitcnt lgkmcnt(0)
	s_barrier
	ds_read_b128 v[1:4], v32
	ds_read2_b32 v[140:141], v34 offset1:1
	ds_read_b128 v[124:127], v30
	ds_read_b128 v[128:131], v30 offset:16
	ds_read_b128 v[132:135], v30 offset:32
	;; [unrolled: 1-line block ×3, first 2 shown]
	ds_read2_b32 v[142:143], v35 offset1:1
	ds_read2_b32 v[144:145], v34 offset0:2 offset1:3
	s_waitcnt lgkmcnt(5)
	v_dot4_i32_i8 v140, v140, v124, 0
	s_waitcnt lgkmcnt(4)
	v_dot4_i32_i8 v150, v141, v128, v140
	ds_read2_b32 v[140:141], v34 offset0:4 offset1:5
	ds_read2_b32 v[146:147], v34 offset0:6 offset1:7
	;; [unrolled: 1-line block ×3, first 2 shown]
	s_waitcnt lgkmcnt(4)
	v_mul_f32_e32 v142, v1, v142
	s_waitcnt lgkmcnt(3)
	v_dot4_i32_i8 v144, v144, v125, v150
	v_dot4_i32_i8 v144, v145, v129, v144
	s_waitcnt lgkmcnt(2)
	v_dot4_i32_i8 v140, v140, v126, v144
	v_dot4_i32_i8 v140, v141, v130, v140
	;; [unrolled: 3-line block ×3, first 2 shown]
	v_add_u32_e32 v150, 0x2080, v34
	v_cvt_f32_i32_e32 v152, v140
	ds_read2_b32 v[140:141], v34 offset0:26 offset1:27
	ds_read2_b32 v[144:145], v34 offset0:28 offset1:29
	;; [unrolled: 1-line block ×3, first 2 shown]
	ds_read2_b32 v[150:151], v150 offset1:1
	v_add_u32_e32 v158, 0x2090, v34
	v_fmac_f32_e32 v11, v142, v152
	ds_read2_b32 v[152:153], v36 offset1:1
	ds_read2_b32 v[154:155], v38 offset1:1
	ds_read2_b32 v[156:157], v38 offset0:2 offset1:3
	v_add_u32_e32 v160, 0x2098, v34
	s_waitcnt lgkmcnt(3)
	v_dot4_i32_i8 v142, v150, v124, 0
	v_add_u32_e32 v150, 0x2088, v34
	v_dot4_i32_i8 v142, v151, v128, v142
	ds_read2_b32 v[150:151], v150 offset1:1
	v_add_u32_e32 v162, 0x4100, v34
	ds_read2_b32 v[158:159], v158 offset1:1
	ds_read2_b32 v[160:161], v160 offset1:1
	;; [unrolled: 1-line block ×3, first 2 shown]
	s_waitcnt lgkmcnt(6)
	v_mul_f32_e32 v152, v1, v152
	v_add_u32_e32 v166, 0x4118, v34
	s_waitcnt lgkmcnt(3)
	v_dot4_i32_i8 v142, v150, v125, v142
	v_dot4_i32_i8 v142, v151, v129, v142
	s_waitcnt lgkmcnt(2)
	v_dot4_i32_i8 v142, v158, v126, v142
	v_dot4_i32_i8 v142, v159, v130, v142
	;; [unrolled: 3-line block ×3, first 2 shown]
	v_cvt_f32_i32_e32 v142, v142
	ds_read2_b32 v[150:151], v37 offset1:1
	ds_read2_b32 v[158:159], v36 offset0:2 offset1:3
	ds_read2_b32 v[160:161], v35 offset0:2 offset1:3
	v_add_u32_e32 v168, 0x6180, v34
	s_cmp_ge_i32 s18, s15
	v_fmac_f32_e32 v112, v152, v142
	s_waitcnt lgkmcnt(3)
	v_dot4_i32_i8 v142, v162, v124, 0
	v_add_u32_e32 v152, 0x4108, v34
	v_dot4_i32_i8 v142, v163, v128, v142
	ds_read2_b32 v[162:163], v152 offset1:1
	v_add_u32_e32 v152, 0x4110, v34
	ds_read2_b32 v[164:165], v152 offset1:1
	ds_read2_b32 v[166:167], v166 offset1:1
	;; [unrolled: 1-line block ×3, first 2 shown]
	v_add_u32_e32 v152, 0x6198, v34
	s_waitcnt lgkmcnt(6)
	v_mul_f32_e32 v150, v1, v150
	s_waitcnt lgkmcnt(3)
	v_dot4_i32_i8 v142, v162, v125, v142
	v_dot4_i32_i8 v142, v163, v129, v142
	s_waitcnt lgkmcnt(0)
	v_dot4_i32_i8 v124, v168, v124, 0
	v_dot4_i32_i8 v124, v169, v128, v124
	v_add_u32_e32 v128, 0x6188, v34
	ds_read2_b32 v[162:163], v128 offset1:1
	v_dot4_i32_i8 v142, v164, v126, v142
	v_dot4_i32_i8 v142, v165, v130, v142
	;; [unrolled: 1-line block ×3, first 2 shown]
	v_add_u32_e32 v128, 0x6190, v34
	v_add_u32_e32 v168, 0x20a0, v34
	v_dot4_i32_i8 v142, v167, v131, v142
	ds_read2_b32 v[164:165], v128 offset1:1
	ds_read2_b32 v[166:167], v152 offset1:1
	;; [unrolled: 1-line block ×3, first 2 shown]
	s_waitcnt lgkmcnt(3)
	v_dot4_i32_i8 v124, v162, v125, v124
	v_dot4_i32_i8 v124, v163, v129, v124
	s_waitcnt lgkmcnt(2)
	v_dot4_i32_i8 v124, v164, v126, v124
	v_dot4_i32_i8 v124, v165, v130, v124
	s_waitcnt lgkmcnt(1)
	v_dot4_i32_i8 v124, v166, v127, v124
	v_dot4_i32_i8 v124, v167, v131, v124
	v_cvt_f32_i32_e32 v124, v124
	v_mul_f32_e32 v1, v1, v154
	ds_read2_b32 v[162:163], v37 offset0:2 offset1:3
	v_cvt_f32_i32_e32 v142, v142
	v_fmac_f32_e32 v9, v1, v124
	ds_read2_b32 v[124:125], v34 offset0:10 offset1:11
	v_dot4_i32_i8 v1, v148, v132, 0
	v_dot4_i32_i8 v1, v149, v136, v1
	ds_read2_b32 v[126:127], v34 offset0:12 offset1:13
	ds_read2_b32 v[128:129], v34 offset0:14 offset1:15
	ds_read2_b32 v[148:149], v34 offset0:16 offset1:17
	v_fmac_f32_e32 v107, v150, v142
	s_waitcnt lgkmcnt(3)
	v_dot4_i32_i8 v1, v124, v133, v1
	v_dot4_i32_i8 v124, v168, v132, 0
	;; [unrolled: 1-line block ×3, first 2 shown]
	v_add_u32_e32 v124, 0x20a8, v34
	v_dot4_i32_i8 v1, v125, v137, v1
	ds_read2_b32 v[124:125], v124 offset1:1
	s_waitcnt lgkmcnt(3)
	v_dot4_i32_i8 v1, v126, v134, v1
	v_dot4_i32_i8 v1, v127, v138, v1
	s_waitcnt lgkmcnt(2)
	v_dot4_i32_i8 v1, v128, v135, v1
	v_add_u32_e32 v126, 0x20b0, v34
	v_add_u32_e32 v128, 0x20b8, v34
	;; [unrolled: 1-line block ×3, first 2 shown]
	v_dot4_i32_i8 v1, v129, v139, v1
	ds_read2_b32 v[126:127], v126 offset1:1
	ds_read2_b32 v[128:129], v128 offset1:1
	;; [unrolled: 1-line block ×3, first 2 shown]
	s_waitcnt lgkmcnt(3)
	v_dot4_i32_i8 v124, v124, v133, v142
	v_dot4_i32_i8 v124, v125, v137, v124
	s_waitcnt lgkmcnt(2)
	v_dot4_i32_i8 v124, v126, v134, v124
	v_dot4_i32_i8 v124, v127, v138, v124
	s_waitcnt lgkmcnt(1)
	v_dot4_i32_i8 v124, v128, v135, v124
	v_cvt_f32_i32_e32 v1, v1
	v_dot4_i32_i8 v124, v129, v139, v124
	v_cvt_f32_i32_e32 v124, v124
	v_mul_f32_e32 v125, v2, v143
	v_fmac_f32_e32 v11, v125, v1
	v_mul_f32_e32 v1, v2, v153
	v_fmac_f32_e32 v112, v1, v124
	s_waitcnt lgkmcnt(0)
	v_dot4_i32_i8 v1, v130, v132, 0
	v_add_u32_e32 v124, 0x4128, v34
	v_add_u32_e32 v126, 0x4130, v34
	;; [unrolled: 1-line block ×4, first 2 shown]
	v_dot4_i32_i8 v1, v131, v136, v1
	ds_read2_b32 v[124:125], v124 offset1:1
	ds_read2_b32 v[126:127], v126 offset1:1
	;; [unrolled: 1-line block ×4, first 2 shown]
	v_mul_f32_e32 v150, v2, v151
	s_waitcnt lgkmcnt(3)
	v_dot4_i32_i8 v1, v124, v133, v1
	s_waitcnt lgkmcnt(0)
	v_dot4_i32_i8 v124, v130, v132, 0
	v_dot4_i32_i8 v130, v131, v136, v124
	v_add_u32_e32 v124, 0x61a8, v34
	v_dot4_i32_i8 v1, v125, v137, v1
	ds_read2_b32 v[124:125], v124 offset1:1
	v_dot4_i32_i8 v1, v126, v134, v1
	v_dot4_i32_i8 v1, v127, v138, v1
	;; [unrolled: 1-line block ×3, first 2 shown]
	v_add_u32_e32 v126, 0x61b0, v34
	v_add_u32_e32 v128, 0x61b8, v34
	v_dot4_i32_i8 v1, v129, v139, v1
	v_add_u32_e32 v131, 0x20c0, v34
	ds_read2_b32 v[126:127], v126 offset1:1
	ds_read2_b32 v[128:129], v128 offset1:1
	;; [unrolled: 1-line block ×3, first 2 shown]
	s_waitcnt lgkmcnt(3)
	v_dot4_i32_i8 v124, v124, v133, v130
	v_dot4_i32_i8 v124, v125, v137, v124
	s_waitcnt lgkmcnt(2)
	v_dot4_i32_i8 v124, v126, v134, v124
	v_dot4_i32_i8 v124, v127, v138, v124
	s_waitcnt lgkmcnt(1)
	v_dot4_i32_i8 v124, v128, v135, v124
	v_cvt_f32_i32_e32 v1, v1
	v_dot4_i32_i8 v124, v129, v139, v124
	v_cvt_f32_i32_e32 v132, v124
	ds_read_b128 v[124:127], v30 offset:64
	ds_read_b128 v[128:131], v30 offset:80
	v_fmac_f32_e32 v107, v150, v1
	v_mul_f32_e32 v1, v2, v155
	v_fmac_f32_e32 v9, v1, v132
	ds_read2_b32 v[1:2], v34 offset0:18 offset1:19
	s_waitcnt lgkmcnt(2)
	v_dot4_i32_i8 v132, v148, v124, 0
	s_waitcnt lgkmcnt(1)
	v_dot4_i32_i8 v138, v149, v128, v132
	ds_read2_b32 v[132:133], v34 offset0:20 offset1:21
	ds_read2_b32 v[134:135], v34 offset0:22 offset1:23
	;; [unrolled: 1-line block ×3, first 2 shown]
	s_waitcnt lgkmcnt(3)
	v_dot4_i32_i8 v1, v1, v125, v138
	v_dot4_i32_i8 v1, v2, v129, v1
	s_waitcnt lgkmcnt(2)
	v_dot4_i32_i8 v1, v132, v126, v1
	v_dot4_i32_i8 v1, v133, v130, v1
	;; [unrolled: 3-line block ×3, first 2 shown]
	v_cvt_f32_i32_e32 v148, v1
	v_dot4_i32_i8 v1, v142, v124, 0
	v_dot4_i32_i8 v142, v143, v128, v1
	v_add_u32_e32 v1, 0x20c8, v34
	ds_read2_b32 v[1:2], v1 offset1:1
	v_add_u32_e32 v132, 0x20d0, v34
	v_add_u32_e32 v134, 0x20d8, v34
	;; [unrolled: 1-line block ×3, first 2 shown]
	ds_read2_b32 v[132:133], v132 offset1:1
	ds_read2_b32 v[134:135], v134 offset1:1
	;; [unrolled: 1-line block ×3, first 2 shown]
	s_waitcnt lgkmcnt(3)
	v_dot4_i32_i8 v1, v1, v125, v142
	v_dot4_i32_i8 v1, v2, v129, v1
	s_waitcnt lgkmcnt(2)
	v_dot4_i32_i8 v1, v132, v126, v1
	v_dot4_i32_i8 v1, v133, v130, v1
	;; [unrolled: 3-line block ×3, first 2 shown]
	v_cvt_f32_i32_e32 v1, v1
	v_mul_f32_e32 v2, v3, v160
	v_fmac_f32_e32 v11, v2, v148
	v_mul_f32_e32 v2, v3, v158
	v_fmac_f32_e32 v112, v2, v1
	s_waitcnt lgkmcnt(0)
	v_dot4_i32_i8 v1, v138, v124, 0
	v_dot4_i32_i8 v142, v139, v128, v1
	v_add_u32_e32 v1, 0x4148, v34
	ds_read2_b32 v[1:2], v1 offset1:1
	v_add_u32_e32 v132, 0x4150, v34
	v_add_u32_e32 v134, 0x4158, v34
	;; [unrolled: 1-line block ×3, first 2 shown]
	ds_read2_b32 v[132:133], v132 offset1:1
	ds_read2_b32 v[134:135], v134 offset1:1
	;; [unrolled: 1-line block ×3, first 2 shown]
	s_waitcnt lgkmcnt(3)
	v_dot4_i32_i8 v1, v1, v125, v142
	v_dot4_i32_i8 v1, v2, v129, v1
	s_waitcnt lgkmcnt(2)
	v_dot4_i32_i8 v1, v132, v126, v1
	v_dot4_i32_i8 v1, v133, v130, v1
	;; [unrolled: 3-line block ×3, first 2 shown]
	v_cvt_f32_i32_e32 v143, v1
	s_waitcnt lgkmcnt(0)
	v_dot4_i32_i8 v1, v138, v124, 0
	v_dot4_i32_i8 v124, v139, v128, v1
	v_add_u32_e32 v1, 0x61c8, v34
	ds_read2_b32 v[1:2], v1 offset1:1
	v_add_u32_e32 v128, 0x61d0, v34
	v_add_u32_e32 v134, 0x61d8, v34
	;; [unrolled: 1-line block ×3, first 2 shown]
	ds_read2_b32 v[132:133], v128 offset1:1
	ds_read2_b32 v[134:135], v134 offset1:1
	;; [unrolled: 1-line block ×3, first 2 shown]
	s_waitcnt lgkmcnt(3)
	v_dot4_i32_i8 v1, v1, v125, v124
	v_dot4_i32_i8 v1, v2, v129, v1
	s_waitcnt lgkmcnt(2)
	v_dot4_i32_i8 v1, v132, v126, v1
	v_dot4_i32_i8 v1, v133, v130, v1
	s_waitcnt lgkmcnt(1)
	v_dot4_i32_i8 v1, v134, v127, v1
	v_dot4_i32_i8 v1, v135, v131, v1
	v_cvt_f32_i32_e32 v1, v1
	ds_read_b128 v[124:127], v30 offset:96
	ds_read_b128 v[128:131], v30 offset:112
	v_mul_f32_e32 v2, v3, v156
	v_mul_f32_e32 v142, v3, v162
	v_fmac_f32_e32 v9, v2, v1
	s_waitcnt lgkmcnt(1)
	v_dot4_i32_i8 v1, v136, v124, 0
	s_waitcnt lgkmcnt(0)
	v_dot4_i32_i8 v1, v137, v128, v1
	v_dot4_i32_i8 v1, v140, v125, v1
	;; [unrolled: 1-line block ×7, first 2 shown]
	v_cvt_f32_i32_e32 v3, v1
	v_dot4_i32_i8 v1, v138, v124, 0
	v_dot4_i32_i8 v138, v139, v128, v1
	v_add_u32_e32 v1, 0x20e8, v34
	ds_read2_b32 v[1:2], v1 offset1:1
	v_add_u32_e32 v132, 0x20f0, v34
	v_add_u32_e32 v134, 0x20f8, v34
	v_add_u32_e32 v136, 0x4160, v34
	ds_read2_b32 v[132:133], v132 offset1:1
	ds_read2_b32 v[134:135], v134 offset1:1
	;; [unrolled: 1-line block ×3, first 2 shown]
	s_waitcnt lgkmcnt(3)
	v_dot4_i32_i8 v1, v1, v125, v138
	v_dot4_i32_i8 v1, v2, v129, v1
	s_waitcnt lgkmcnt(2)
	v_dot4_i32_i8 v1, v132, v126, v1
	v_dot4_i32_i8 v1, v133, v130, v1
	;; [unrolled: 3-line block ×3, first 2 shown]
	v_cvt_f32_i32_e32 v1, v1
	v_mul_f32_e32 v2, v4, v161
	v_fmac_f32_e32 v11, v2, v3
	v_mul_f32_e32 v2, v4, v159
	v_fmac_f32_e32 v112, v2, v1
	s_waitcnt lgkmcnt(0)
	v_dot4_i32_i8 v1, v136, v124, 0
	v_dot4_i32_i8 v3, v137, v128, v1
	v_add_u32_e32 v1, 0x4168, v34
	ds_read2_b32 v[1:2], v1 offset1:1
	v_add_u32_e32 v132, 0x4170, v34
	v_add_u32_e32 v134, 0x4178, v34
	v_add_u32_e32 v136, 0x61e0, v34
	ds_read2_b32 v[132:133], v132 offset1:1
	ds_read2_b32 v[134:135], v134 offset1:1
	;; [unrolled: 1-line block ×3, first 2 shown]
	s_waitcnt lgkmcnt(3)
	v_dot4_i32_i8 v1, v1, v125, v3
	v_dot4_i32_i8 v1, v2, v129, v1
	s_waitcnt lgkmcnt(2)
	v_dot4_i32_i8 v1, v132, v126, v1
	v_dot4_i32_i8 v1, v133, v130, v1
	;; [unrolled: 3-line block ×3, first 2 shown]
	v_cvt_f32_i32_e32 v3, v1
	s_waitcnt lgkmcnt(0)
	v_dot4_i32_i8 v1, v136, v124, 0
	v_dot4_i32_i8 v124, v137, v128, v1
	v_add_u32_e32 v1, 0x61e8, v34
	ds_read2_b32 v[1:2], v1 offset1:1
	v_add_u32_e32 v128, 0x61f0, v34
	ds_read2_b32 v[132:133], v128 offset1:1
	;; [unrolled: 2-line block ×3, first 2 shown]
	s_waitcnt lgkmcnt(2)
	v_dot4_i32_i8 v1, v1, v125, v124
	v_dot4_i32_i8 v1, v2, v129, v1
	s_waitcnt lgkmcnt(1)
	v_dot4_i32_i8 v1, v132, v126, v1
	v_dot4_i32_i8 v1, v133, v130, v1
	;; [unrolled: 3-line block ×3, first 2 shown]
	v_cvt_f32_i32_e32 v1, v1
	v_fmac_f32_e32 v107, v142, v143
	v_mul_f32_e32 v2, v4, v163
	v_fmac_f32_e32 v107, v2, v3
	v_mul_f32_e32 v2, v4, v157
	v_fmac_f32_e32 v9, v2, v1
	s_barrier
	s_cbranch_scc1 .LBB221_5
; %bb.12:                               ;   in Loop: Header=BB221_6 Depth=1
	v_add_u32_e32 v1, s22, v39
	v_cmp_gt_i32_e32 vcc, s9, v1
	s_and_b64 s[24:25], s[2:3], vcc
	s_and_saveexec_b64 s[4:5], s[24:25]
	s_cbranch_execz .LBB221_14
; %bb.13:                               ;   in Loop: Header=BB221_6 Depth=1
	v_add_u32_e32 v1, s22, v40
	v_mad_i64_i32 v[1:2], s[24:25], v1, 36, v[5:6]
	global_load_dword v1, v[1:2], off offset:4
	s_waitcnt vmcnt(0)
	ds_write_b32 v31, v1
.LBB221_14:                             ;   in Loop: Header=BB221_6 Depth=1
	s_or_b64 exec, exec, s[4:5]
	s_and_saveexec_b64 s[4:5], s[0:1]
	s_cbranch_execz .LBB221_4
; %bb.15:                               ;   in Loop: Header=BB221_6 Depth=1
	v_add_u32_e32 v1, 4, v123
	v_cmp_gt_i32_e32 vcc, s9, v1
	s_and_b64 s[24:25], s[2:3], vcc
	s_and_b64 exec, exec, s[24:25]
	s_cbranch_execz .LBB221_4
; %bb.16:                               ;   in Loop: Header=BB221_6 Depth=1
	global_load_dword v1, v[7:8], off
	s_waitcnt vmcnt(0)
	v_cvt_f32_f16_e32 v1, v1
	ds_write_b32 v33, v1
	s_branch .LBB221_4
.LBB221_17:
	s_mul_i32 s0, s11, s8
	s_waitcnt vmcnt(0)
	v_cmp_gt_i32_e32 vcc, s0, v10
	s_and_saveexec_b64 s[0:1], vcc
	s_cbranch_execz .LBB221_26
; %bb.18:
	v_mul_lo_u32 v1, v10, s10
	v_add_u32_e32 v0, s20, v0
	v_cmp_gt_u32_e32 vcc, s10, v0
	s_and_saveexec_b64 s[0:1], vcc
	s_cbranch_execz .LBB221_20
; %bb.19:
	v_bfe_u32 v2, v11, 16, 1
	s_movk_i32 s2, 0x7fff
	v_add3_u32 v2, v11, v2, s2
	v_cmp_o_f32_e32 vcc, v11, v11
	v_mov_b32_e32 v3, 0x7fc0
	v_cndmask_b32_sdwa v4, v3, v2, vcc dst_sel:DWORD dst_unused:UNUSED_PAD src0_sel:DWORD src1_sel:WORD_1
	v_add_u32_e32 v2, v1, v0
	v_mov_b32_e32 v3, 0
	v_lshlrev_b64 v[2:3], 1, v[2:3]
	v_mov_b32_e32 v5, s13
	v_add_co_u32_e32 v2, vcc, s12, v2
	v_addc_co_u32_e32 v3, vcc, v5, v3, vcc
	global_store_short v[2:3], v4, off
.LBB221_20:
	s_or_b64 exec, exec, s[0:1]
	v_add_u32_e32 v2, 32, v0
	v_cmp_gt_u32_e32 vcc, s10, v2
	s_and_saveexec_b64 s[0:1], vcc
	s_cbranch_execz .LBB221_22
; %bb.21:
	v_bfe_u32 v3, v112, 16, 1
	s_movk_i32 s2, 0x7fff
	v_add3_u32 v3, v112, v3, s2
	v_cmp_o_f32_e32 vcc, v112, v112
	v_mov_b32_e32 v4, 0x7fc0
	v_cndmask_b32_sdwa v4, v4, v3, vcc dst_sel:DWORD dst_unused:UNUSED_PAD src0_sel:DWORD src1_sel:WORD_1
	v_add_u32_e32 v2, v1, v2
	v_mov_b32_e32 v3, 0
	v_lshlrev_b64 v[2:3], 1, v[2:3]
	v_mov_b32_e32 v5, s13
	v_add_co_u32_e32 v2, vcc, s12, v2
	v_addc_co_u32_e32 v3, vcc, v5, v3, vcc
	global_store_short v[2:3], v4, off
.LBB221_22:
	s_or_b64 exec, exec, s[0:1]
	;; [unrolled: 20-line block ×3, first 2 shown]
	v_add_u32_e32 v0, 0x60, v0
	v_cmp_gt_u32_e32 vcc, s10, v0
	s_and_b64 exec, exec, vcc
	s_cbranch_execz .LBB221_26
; %bb.25:
	v_add_u32_e32 v0, v1, v0
	v_mov_b32_e32 v1, 0
	v_bfe_u32 v2, v9, 16, 1
	s_movk_i32 s0, 0x7fff
	v_lshlrev_b64 v[0:1], 1, v[0:1]
	v_add3_u32 v2, v9, v2, s0
	v_cmp_o_f32_e32 vcc, v9, v9
	v_mov_b32_e32 v3, 0x7fc0
	v_cndmask_b32_sdwa v2, v3, v2, vcc dst_sel:DWORD dst_unused:UNUSED_PAD src0_sel:DWORD src1_sel:WORD_1
	v_mov_b32_e32 v3, s13
	v_add_co_u32_e32 v0, vcc, s12, v0
	v_addc_co_u32_e32 v1, vcc, v3, v1, vcc
	global_store_short v[0:1], v2, off
.LBB221_26:
	s_endpgm
	.section	.rodata,"a",@progbits
	.p2align	6, 0x0
	.amdhsa_kernel _ZL8moe_q5_0IN3c108BFloat16ELb0EEvPKvS3_PT_PKiS7_S7_iiiiiii
		.amdhsa_group_segment_fixed_size 38656
		.amdhsa_private_segment_fixed_size 0
		.amdhsa_kernarg_size 76
		.amdhsa_user_sgpr_count 6
		.amdhsa_user_sgpr_private_segment_buffer 1
		.amdhsa_user_sgpr_dispatch_ptr 0
		.amdhsa_user_sgpr_queue_ptr 0
		.amdhsa_user_sgpr_kernarg_segment_ptr 1
		.amdhsa_user_sgpr_dispatch_id 0
		.amdhsa_user_sgpr_flat_scratch_init 0
		.amdhsa_user_sgpr_private_segment_size 0
		.amdhsa_uses_dynamic_stack 0
		.amdhsa_system_sgpr_private_segment_wavefront_offset 0
		.amdhsa_system_sgpr_workgroup_id_x 1
		.amdhsa_system_sgpr_workgroup_id_y 1
		.amdhsa_system_sgpr_workgroup_id_z 0
		.amdhsa_system_sgpr_workgroup_info 0
		.amdhsa_system_vgpr_workitem_id 1
		.amdhsa_next_free_vgpr 170
		.amdhsa_next_free_sgpr 98
		.amdhsa_reserve_vcc 1
		.amdhsa_reserve_flat_scratch 0
		.amdhsa_float_round_mode_32 0
		.amdhsa_float_round_mode_16_64 0
		.amdhsa_float_denorm_mode_32 3
		.amdhsa_float_denorm_mode_16_64 3
		.amdhsa_dx10_clamp 1
		.amdhsa_ieee_mode 1
		.amdhsa_fp16_overflow 0
		.amdhsa_exception_fp_ieee_invalid_op 0
		.amdhsa_exception_fp_denorm_src 0
		.amdhsa_exception_fp_ieee_div_zero 0
		.amdhsa_exception_fp_ieee_overflow 0
		.amdhsa_exception_fp_ieee_underflow 0
		.amdhsa_exception_fp_ieee_inexact 0
		.amdhsa_exception_int_div_zero 0
	.end_amdhsa_kernel
	.section	.text._ZL8moe_q5_0IN3c108BFloat16ELb0EEvPKvS3_PT_PKiS7_S7_iiiiiii,"axG",@progbits,_ZL8moe_q5_0IN3c108BFloat16ELb0EEvPKvS3_PT_PKiS7_S7_iiiiiii,comdat
.Lfunc_end221:
	.size	_ZL8moe_q5_0IN3c108BFloat16ELb0EEvPKvS3_PT_PKiS7_S7_iiiiiii, .Lfunc_end221-_ZL8moe_q5_0IN3c108BFloat16ELb0EEvPKvS3_PT_PKiS7_S7_iiiiiii
                                        ; -- End function
	.set _ZL8moe_q5_0IN3c108BFloat16ELb0EEvPKvS3_PT_PKiS7_S7_iiiiiii.num_vgpr, 170
	.set _ZL8moe_q5_0IN3c108BFloat16ELb0EEvPKvS3_PT_PKiS7_S7_iiiiiii.num_agpr, 0
	.set _ZL8moe_q5_0IN3c108BFloat16ELb0EEvPKvS3_PT_PKiS7_S7_iiiiiii.numbered_sgpr, 28
	.set _ZL8moe_q5_0IN3c108BFloat16ELb0EEvPKvS3_PT_PKiS7_S7_iiiiiii.num_named_barrier, 0
	.set _ZL8moe_q5_0IN3c108BFloat16ELb0EEvPKvS3_PT_PKiS7_S7_iiiiiii.private_seg_size, 0
	.set _ZL8moe_q5_0IN3c108BFloat16ELb0EEvPKvS3_PT_PKiS7_S7_iiiiiii.uses_vcc, 1
	.set _ZL8moe_q5_0IN3c108BFloat16ELb0EEvPKvS3_PT_PKiS7_S7_iiiiiii.uses_flat_scratch, 0
	.set _ZL8moe_q5_0IN3c108BFloat16ELb0EEvPKvS3_PT_PKiS7_S7_iiiiiii.has_dyn_sized_stack, 0
	.set _ZL8moe_q5_0IN3c108BFloat16ELb0EEvPKvS3_PT_PKiS7_S7_iiiiiii.has_recursion, 0
	.set _ZL8moe_q5_0IN3c108BFloat16ELb0EEvPKvS3_PT_PKiS7_S7_iiiiiii.has_indirect_call, 0
	.section	.AMDGPU.csdata,"",@progbits
; Kernel info:
; codeLenInByte = 14120
; TotalNumSgprs: 32
; NumVgprs: 170
; ScratchSize: 0
; MemoryBound: 0
; FloatMode: 240
; IeeeMode: 1
; LDSByteSize: 38656 bytes/workgroup (compile time only)
; SGPRBlocks: 12
; VGPRBlocks: 42
; NumSGPRsForWavesPerEU: 102
; NumVGPRsForWavesPerEU: 170
; Occupancy: 1
; WaveLimiterHint : 1
; COMPUTE_PGM_RSRC2:SCRATCH_EN: 0
; COMPUTE_PGM_RSRC2:USER_SGPR: 6
; COMPUTE_PGM_RSRC2:TRAP_HANDLER: 0
; COMPUTE_PGM_RSRC2:TGID_X_EN: 1
; COMPUTE_PGM_RSRC2:TGID_Y_EN: 1
; COMPUTE_PGM_RSRC2:TGID_Z_EN: 0
; COMPUTE_PGM_RSRC2:TIDIG_COMP_CNT: 1
	.section	.text._ZL8moe_q5_0IN3c108BFloat16ELb1EEvPKvS3_PT_PKiS7_S7_iiiiiii,"axG",@progbits,_ZL8moe_q5_0IN3c108BFloat16ELb1EEvPKvS3_PT_PKiS7_S7_iiiiiii,comdat
	.globl	_ZL8moe_q5_0IN3c108BFloat16ELb1EEvPKvS3_PT_PKiS7_S7_iiiiiii ; -- Begin function _ZL8moe_q5_0IN3c108BFloat16ELb1EEvPKvS3_PT_PKiS7_S7_iiiiiii
	.p2align	8
	.type	_ZL8moe_q5_0IN3c108BFloat16ELb1EEvPKvS3_PT_PKiS7_S7_iiiiiii,@function
_ZL8moe_q5_0IN3c108BFloat16ELb1EEvPKvS3_PT_PKiS7_S7_iiiiiii: ; @_ZL8moe_q5_0IN3c108BFloat16ELb1EEvPKvS3_PT_PKiS7_S7_iiiiiii
; %bb.0:
	s_load_dwordx4 s[0:3], s[4:5], 0x18
	s_mov_b32 s8, s7
	s_mov_b32 s9, 0
	s_lshl_b64 s[10:11], s[8:9], 2
	s_waitcnt lgkmcnt(0)
	s_add_u32 s2, s2, s10
	s_addc_u32 s3, s3, s11
	s_load_dword s2, s[2:3], 0x0
	s_waitcnt lgkmcnt(0)
	s_cmpk_gt_u32 s2, 0xff
	s_cbranch_scc1 .LBB222_26
; %bb.1:
	s_load_dwordx2 s[10:11], s[4:5], 0x28
	s_lshl_b32 s3, s8, 3
	s_waitcnt lgkmcnt(0)
	s_load_dword s7, s[10:11], 0x0
	s_waitcnt lgkmcnt(0)
	s_cmp_gt_u32 s3, s7
	s_cbranch_scc1 .LBB222_26
; %bb.2:
	v_add_u32_e32 v24, s3, v1
	v_mov_b32_e32 v25, 0
	v_lshlrev_b64 v[2:3], 2, v[24:25]
	v_mov_b32_e32 v4, s1
	v_add_co_u32_e32 v2, vcc, s0, v2
	v_addc_co_u32_e32 v3, vcc, v4, v3, vcc
	global_load_dword v26, v[2:3], off
	s_load_dwordx8 s[8:15], s[4:5], 0x30
	s_load_dwordx2 s[16:17], s[4:5], 0x10
	s_waitcnt lgkmcnt(0)
	s_lshl_b32 s15, s6, 7
	v_mov_b32_e32 v107, v25
	v_mov_b32_e32 v112, v25
	s_cmp_lt_i32 s9, 32
	v_mov_b32_e32 v27, v25
	s_cbranch_scc1 .LBB222_17
; %bb.3:
	s_ashr_i32 s0, s9, 31
	s_lshr_b32 s0, s0, 27
	s_add_i32 s0, s9, s0
	s_ashr_i32 s22, s0, 5
	s_ashr_i32 s0, s12, 31
	s_lshr_b32 s0, s0, 27
	s_add_i32 s0, s12, s0
	s_ashr_i32 s12, s0, 5
	s_not_b32 s0, s15
	s_mul_i32 s8, s2, s8
	s_add_i32 s2, s10, s0
	v_min_i32_e32 v3, s2, v1
	v_lshlrev_b32_e32 v2, 3, v0
	s_movk_i32 s3, 0x104
	v_mul_lo_u32 v43, v3, s22
	v_mad_u64_u32 v[5:6], s[0:1], v3, s3, v[2:3]
	v_add_u32_e32 v3, 8, v1
	v_min_i32_e32 v3, s2, v3
	v_mul_lo_u32 v47, v3, s22
	v_mad_u64_u32 v[6:7], s[0:1], v3, s3, v[2:3]
	v_add_u32_e32 v3, 16, v1
	v_min_i32_e32 v3, s2, v3
	v_mul_lo_u32 v51, v3, s22
	v_mad_u64_u32 v[7:8], s[0:1], v3, s3, v[2:3]
	v_add_u32_e32 v3, 24, v1
	v_min_i32_e32 v3, s2, v3
	v_mul_lo_u32 v55, v3, s22
	v_mad_u64_u32 v[8:9], s[0:1], v3, s3, v[2:3]
	v_add_u32_e32 v3, 32, v1
	v_min_i32_e32 v3, s2, v3
	v_mul_lo_u32 v59, v3, s22
	v_mad_u64_u32 v[9:10], s[0:1], v3, s3, v[2:3]
	v_add_u32_e32 v3, 40, v1
	v_min_i32_e32 v3, s2, v3
	v_mul_lo_u32 v63, v3, s22
	v_mad_u64_u32 v[10:11], s[0:1], v3, s3, v[2:3]
	v_add_u32_e32 v3, 48, v1
	v_min_i32_e32 v3, s2, v3
	v_mul_lo_u32 v67, v3, s22
	v_mad_u64_u32 v[11:12], s[0:1], v3, s3, v[2:3]
	v_add_u32_e32 v3, 56, v1
	v_min_i32_e32 v3, s2, v3
	v_mul_lo_u32 v71, v3, s22
	v_mad_u64_u32 v[12:13], s[0:1], v3, s3, v[2:3]
	v_add_u32_e32 v3, 64, v1
	v_min_i32_e32 v3, s2, v3
	v_mul_lo_u32 v75, v3, s22
	v_mad_u64_u32 v[13:14], s[0:1], v3, s3, v[2:3]
	v_add_u32_e32 v3, 0x48, v1
	v_min_i32_e32 v3, s2, v3
	v_mul_lo_u32 v79, v3, s22
	v_mad_u64_u32 v[14:15], s[0:1], v3, s3, v[2:3]
	v_add_u32_e32 v3, 0x50, v1
	v_min_i32_e32 v3, s2, v3
	v_mul_lo_u32 v83, v3, s22
	v_mad_u64_u32 v[15:16], s[0:1], v3, s3, v[2:3]
	v_add_u32_e32 v3, 0x58, v1
	v_min_i32_e32 v3, s2, v3
	v_mul_lo_u32 v87, v3, s22
	v_mad_u64_u32 v[16:17], s[0:1], v3, s3, v[2:3]
	v_add_u32_e32 v3, 0x60, v1
	v_min_i32_e32 v3, s2, v3
	v_mul_lo_u32 v91, v3, s22
	v_mad_u64_u32 v[17:18], s[0:1], v3, s3, v[2:3]
	v_add_u32_e32 v3, 0x68, v1
	v_min_i32_e32 v3, s2, v3
	v_mul_lo_u32 v95, v3, s22
	v_mad_u64_u32 v[18:19], s[0:1], v3, s3, v[2:3]
	v_add_u32_e32 v3, 0x70, v1
	v_min_i32_e32 v3, s2, v3
	v_mul_lo_u32 v99, v3, s22
	v_mad_u64_u32 v[19:20], s[0:1], v3, s3, v[2:3]
	v_add_u32_e32 v3, 0x78, v1
	v_min_i32_e32 v3, s2, v3
	v_mad_u64_u32 v[20:21], s[0:1], v3, s3, v[2:3]
	v_lshrrev_b32_e32 v29, 3, v0
	v_lshl_add_u32 v21, v1, 2, v29
	v_add_u32_e32 v4, 32, v21
	v_min_i32_e32 v24, s2, v4
	v_ashrrev_i32_e32 v4, 31, v24
	v_lshrrev_b32_e32 v4, 30, v4
	v_mul_lo_u32 v111, v24, s22
	v_add_u32_e32 v4, v24, v4
	v_lshlrev_b32_e32 v25, 5, v24
	v_add_u32_e32 v24, 64, v21
	v_min_i32_e32 v24, s2, v24
	v_mul_lo_u32 v105, v3, s22
	v_min_i32_e32 v3, s2, v21
	v_ashrrev_i32_e32 v30, 31, v24
	v_add_u32_e32 v21, 0x60, v21
	v_lshrrev_b32_e32 v30, 30, v30
	v_min_i32_e32 v21, s2, v21
	v_mul_lo_u32 v113, v24, s22
	v_add_u32_e32 v30, v24, v30
	v_lshlrev_b32_e32 v112, 5, v24
	v_ashrrev_i32_e32 v24, 31, v21
	v_lshrrev_b32_e32 v24, 30, v24
	v_and_b32_e32 v110, 7, v0
	v_add_u32_e32 v24, v21, v24
	v_lshlrev_b32_e32 v23, 2, v110
	s_mov_b32 s3, 0x8200
	v_and_b32_e32 v24, -4, v24
	v_and_b32_e32 v30, -4, v30
	v_add3_u32 v120, v24, v23, s3
	v_mov_b32_e32 v24, 0x9280
	v_add3_u32 v107, v30, v23, s3
	v_mul_lo_u32 v115, v21, s22
	v_lshlrev_b32_e32 v121, 5, v21
	v_and_b32_e32 v21, 31, v0
	v_lshl_add_u32 v30, v1, 7, v24
	v_lshl_or_b32 v31, v21, 2, v30
	v_mov_b32_e32 v21, 0x9680
	s_abs_i32 s2, s14
	v_lshl_add_u32 v32, v1, 4, v21
	v_cvt_f32_u32_e32 v21, s2
	v_ashrrev_i32_e32 v2, 31, v3
	v_lshrrev_b32_e32 v2, 30, v2
	v_add_u32_e32 v2, v3, v2
	v_rcp_iflag_f32_e32 v21, v21
	v_lshlrev_b32_e32 v22, 2, v0
	v_and_b32_e32 v2, -4, v2
	v_and_b32_e32 v4, -4, v4
	v_mul_f32_e32 v21, 0x4f7ffffe, v21
	v_cvt_u32_f32_e32 v21, v21
	v_and_b32_e32 v28, 12, v22
	v_add3_u32 v2, v2, v23, s3
	v_add3_u32 v4, v4, v23, s3
	v_and_b32_e32 v23, 28, v22
	v_add_u32_e32 v33, v32, v22
	v_and_b32_e32 v1, 0xfc, v0
	v_lshlrev_b32_e32 v22, 5, v0
	s_sub_i32 s10, 0, s2
	v_add3_u32 v35, v22, v1, s3
	v_add_u32_e32 v1, 32, v0
	v_mul_lo_u32 v38, s10, v21
	v_and_b32_e32 v22, 0x1fc, v1
	v_lshlrev_b32_e32 v24, 5, v1
	v_add3_u32 v36, v24, v22, s3
	v_add_u32_e32 v22, 64, v0
	v_and_b32_e32 v24, 0x1fc, v22
	v_lshlrev_b32_e32 v22, 5, v22
	v_add3_u32 v37, v22, v24, s3
	v_mul_hi_u32 v24, v21, v38
	s_waitcnt vmcnt(0)
	v_sub_u32_e32 v39, 0, v26
	v_max_i32_e32 v40, v26, v39
	v_lshrrev_b32_e32 v39, 3, v1
	v_add_u32_e32 v21, v21, v24
	v_mul_hi_u32 v21, v40, v21
	v_add_u32_e32 v22, 0x60, v0
	v_and_b32_e32 v38, 0x1fc, v22
	v_lshlrev_b32_e32 v22, 5, v22
	v_mul_lo_u32 v1, v21, s2
	v_add_u32_e32 v24, 1, v21
	v_add3_u32 v38, v22, v38, s3
	v_xor_b32_e32 v22, s14, v26
	v_sub_u32_e32 v1, v40, v1
	v_cmp_le_u32_e32 vcc, s2, v1
	v_cndmask_b32_e32 v21, v21, v24, vcc
	v_subrev_u32_e32 v24, s2, v1
	v_cndmask_b32_e32 v1, v1, v24, vcc
	v_add_u32_e32 v24, 1, v21
	v_cmp_le_u32_e32 vcc, s2, v1
	s_load_dwordx4 s[4:7], s[4:5], 0x0
	v_ashrrev_i32_e32 v22, 31, v22
	v_cndmask_b32_e32 v1, v21, v24, vcc
	v_xor_b32_e32 v1, v1, v22
	v_sub_u32_e32 v1, v1, v22
	v_cmp_gt_i32_e64 s[2:3], s11, v1
	v_mul_lo_u32 v1, v1, s12
	s_mul_i32 s20, s22, s15
	v_lshrrev_b32_e32 v42, 2, v0
	s_waitcnt lgkmcnt(0)
	v_mov_b32_e32 v22, s7
	v_add_co_u32_e32 v21, vcc, s6, v23
	s_mul_hi_i32 s21, s20, 22
	s_mul_i32 s20, s20, 22
	v_addc_co_u32_e32 v22, vcc, 0, v22, vcc
	v_mad_u64_u32 v[101:102], s[24:25], v42, 22, s[20:21]
	v_ashrrev_i32_e32 v23, 31, v1
	v_add_co_u32_e32 v24, vcc, v1, v0
	v_addc_co_u32_e32 v44, vcc, 0, v23, vcc
	v_mad_u64_u32 v[23:24], s[24:25], v24, 36, s[6:7]
	v_mad_i64_i32 v[45:46], s[24:25], v43, 22, v[101:102]
	s_movk_i32 s26, 0x90
	v_mad_i32_i24 v24, v44, 36, v24
	v_add_co_u32_e32 v23, vcc, s26, v23
	v_addc_co_u32_e32 v24, vcc, 0, v24, vcc
	v_add_u32_e32 v40, v39, v1
	v_add_u32_e32 v41, v29, v1
	;; [unrolled: 1-line block ×3, first 2 shown]
	v_add_co_u32_e32 v1, vcc, v45, v28
	v_addc_co_u32_e32 v43, vcc, 0, v46, vcc
	v_mov_b32_e32 v44, s5
	v_add_co_u32_e32 v1, vcc, s4, v1
	v_addc_co_u32_e32 v44, vcc, v44, v43, vcc
	v_add_co_u32_e32 v43, vcc, 6, v1
	v_mad_i64_i32 v[49:50], s[24:25], v47, 22, v[101:102]
	v_addc_co_u32_e32 v44, vcc, 0, v44, vcc
	v_mov_b32_e32 v1, s5
	v_add_co_u32_e32 v45, vcc, s4, v45
	v_addc_co_u32_e32 v46, vcc, v1, v46, vcc
	v_add_co_u32_e32 v1, vcc, v49, v28
	v_addc_co_u32_e32 v47, vcc, 0, v50, vcc
	v_mov_b32_e32 v48, s5
	v_add_co_u32_e32 v1, vcc, s4, v1
	v_addc_co_u32_e32 v48, vcc, v48, v47, vcc
	v_add_co_u32_e32 v47, vcc, 6, v1
	v_addc_co_u32_e32 v48, vcc, 0, v48, vcc
	v_mov_b32_e32 v1, s5
	v_add_co_u32_e32 v49, vcc, s4, v49
	v_mad_i64_i32 v[53:54], s[24:25], v51, 22, v[101:102]
	v_addc_co_u32_e32 v1, vcc, v1, v50, vcc
	v_add_co_u32_e32 v49, vcc, 2, v49
	v_addc_co_u32_e32 v50, vcc, 0, v1, vcc
	v_add_co_u32_e32 v1, vcc, v53, v28
	v_addc_co_u32_e32 v51, vcc, 0, v54, vcc
	v_mov_b32_e32 v52, s5
	v_add_co_u32_e32 v1, vcc, s4, v1
	v_addc_co_u32_e32 v52, vcc, v52, v51, vcc
	v_add_co_u32_e32 v51, vcc, 6, v1
	v_addc_co_u32_e32 v52, vcc, 0, v52, vcc
	v_mov_b32_e32 v1, s5
	v_add_co_u32_e32 v53, vcc, s4, v53
	v_mad_i64_i32 v[57:58], s[24:25], v55, 22, v[101:102]
	v_addc_co_u32_e32 v1, vcc, v1, v54, vcc
	;; [unrolled: 13-line block ×14, first 2 shown]
	v_add_co_u32_e32 v101, vcc, 2, v103
	v_addc_co_u32_e32 v102, vcc, 0, v1, vcc
	v_add_co_u32_e32 v1, vcc, v105, v28
	v_addc_co_u32_e32 v103, vcc, 0, v106, vcc
	v_mul_lo_u32 v108, v3, s22
	v_mov_b32_e32 v104, s5
	v_add_co_u32_e32 v1, vcc, s4, v1
	v_addc_co_u32_e32 v104, vcc, v104, v103, vcc
	v_add_co_u32_e32 v103, vcc, 6, v1
	v_addc_co_u32_e32 v104, vcc, 0, v104, vcc
	v_mov_b32_e32 v1, s5
	v_add_co_u32_e32 v105, vcc, s4, v105
	v_mad_i64_i32 v[108:109], s[24:25], v108, 22, 0
	v_addc_co_u32_e32 v1, vcc, v1, v106, vcc
	v_add_co_u32_e32 v105, vcc, 2, v105
	v_addc_co_u32_e32 v106, vcc, 0, v1, vcc
	v_mov_b32_e32 v1, s21
	v_add_co_u32_e32 v108, vcc, s20, v108
	v_addc_co_u32_e32 v1, vcc, v1, v109, vcc
	v_mul_u32_u24_e32 v118, 22, v110
	v_mul_hi_u32_u24_e32 v117, 22, v110
	v_add_co_u32_e32 v108, vcc, v108, v118
	v_mad_i64_i32 v[110:111], s[24:25], v111, 22, 0
	v_addc_co_u32_e32 v1, vcc, v1, v117, vcc
	v_mov_b32_e32 v109, s5
	v_add_co_u32_e32 v108, vcc, s4, v108
	v_addc_co_u32_e32 v109, vcc, v109, v1, vcc
	v_mov_b32_e32 v1, s21
	v_add_co_u32_e32 v110, vcc, s20, v110
	v_addc_co_u32_e32 v1, vcc, v1, v111, vcc
	v_add_co_u32_e32 v110, vcc, v110, v118
	v_mad_i64_i32 v[113:114], s[24:25], v113, 22, 0
	v_addc_co_u32_e32 v1, vcc, v1, v117, vcc
	v_mov_b32_e32 v111, s5
	v_add_co_u32_e32 v110, vcc, s4, v110
	v_addc_co_u32_e32 v111, vcc, v111, v1, vcc
	v_mov_b32_e32 v1, s21
	v_add_co_u32_e32 v113, vcc, s20, v113
	v_addc_co_u32_e32 v1, vcc, v1, v114, vcc
	;; [unrolled: 9-line block ×3, first 2 shown]
	v_add_co_u32_e32 v115, vcc, v115, v118
	v_addc_co_u32_e32 v1, vcc, v1, v117, vcc
	v_lshlrev_b32_e32 v3, 5, v3
	v_cmp_gt_u32_e64 s[0:1], 4, v0
	v_mov_b32_e32 v116, s5
	v_add_co_u32_e32 v115, vcc, s4, v115
	s_ashr_i32 s23, s8, 31
	v_mov_b32_e32 v27, 0
	v_mul_u32_u24_e32 v34, 0x104, v0
	s_mov_b32 s10, 0
	s_and_b64 s[18:19], s[0:1], s[2:3]
	v_addc_co_u32_e32 v116, vcc, v116, v1, vcc
	s_movk_i32 s20, 0x80
	s_movk_i32 s21, 0x1f00
	s_mov_b32 s24, 0xc0c0105
	v_add_u32_e32 v117, v2, v3
	v_add_u32_e32 v118, v4, v25
	;; [unrolled: 1-line block ×4, first 2 shown]
	v_mov_b32_e32 v121, 8
	v_mov_b32_e32 v112, 0
	;; [unrolled: 1-line block ×4, first 2 shown]
	s_branch .LBB222_6
.LBB222_4:                              ;   in Loop: Header=BB222_6 Depth=1
	s_or_b64 exec, exec, s[4:5]
	s_waitcnt lgkmcnt(0)
	s_barrier
	ds_read_b128 v[1:4], v32
	ds_read2_b32 v[138:139], v34 offset0:32 offset1:33
	ds_read_b128 v[122:125], v30
	ds_read_b128 v[126:129], v30 offset:16
	ds_read_b128 v[130:133], v30 offset:32
	;; [unrolled: 1-line block ×3, first 2 shown]
	ds_read2_b32 v[140:141], v35 offset0:4 offset1:5
	ds_read2_b32 v[142:143], v34 offset0:34 offset1:35
	s_waitcnt lgkmcnt(5)
	v_dot4_i32_i8 v138, v138, v122, 0
	s_waitcnt lgkmcnt(4)
	v_dot4_i32_i8 v148, v139, v126, v138
	ds_read2_b32 v[138:139], v34 offset0:36 offset1:37
	ds_read2_b32 v[144:145], v34 offset0:38 offset1:39
	;; [unrolled: 1-line block ×3, first 2 shown]
	s_waitcnt lgkmcnt(4)
	v_mul_f32_e32 v140, v1, v140
	s_waitcnt lgkmcnt(3)
	v_dot4_i32_i8 v142, v142, v123, v148
	v_dot4_i32_i8 v142, v143, v127, v142
	s_waitcnt lgkmcnt(2)
	v_dot4_i32_i8 v138, v138, v124, v142
	v_dot4_i32_i8 v138, v139, v128, v138
	;; [unrolled: 3-line block ×3, first 2 shown]
	v_add_u32_e32 v148, 0x2100, v34
	v_cvt_f32_i32_e32 v150, v138
	ds_read2_b32 v[138:139], v34 offset0:58 offset1:59
	ds_read2_b32 v[142:143], v34 offset0:60 offset1:61
	;; [unrolled: 1-line block ×3, first 2 shown]
	ds_read2_b32 v[148:149], v148 offset1:1
	v_add_u32_e32 v156, 0x2110, v34
	v_fmac_f32_e32 v27, v140, v150
	ds_read2_b32 v[150:151], v36 offset0:4 offset1:5
	ds_read2_b32 v[152:153], v38 offset0:4 offset1:5
	;; [unrolled: 1-line block ×3, first 2 shown]
	v_add_u32_e32 v158, 0x2118, v34
	s_waitcnt lgkmcnt(3)
	v_dot4_i32_i8 v140, v148, v122, 0
	v_add_u32_e32 v148, 0x2108, v34
	v_dot4_i32_i8 v140, v149, v126, v140
	ds_read2_b32 v[148:149], v148 offset1:1
	v_add_u32_e32 v160, 0x4180, v34
	ds_read2_b32 v[156:157], v156 offset1:1
	ds_read2_b32 v[158:159], v158 offset1:1
	;; [unrolled: 1-line block ×3, first 2 shown]
	s_waitcnt lgkmcnt(6)
	v_mul_f32_e32 v150, v1, v150
	v_add_u32_e32 v164, 0x4198, v34
	s_waitcnt lgkmcnt(3)
	v_dot4_i32_i8 v140, v148, v123, v140
	v_dot4_i32_i8 v140, v149, v127, v140
	s_waitcnt lgkmcnt(2)
	v_dot4_i32_i8 v140, v156, v124, v140
	v_dot4_i32_i8 v140, v157, v128, v140
	;; [unrolled: 3-line block ×3, first 2 shown]
	v_cvt_f32_i32_e32 v140, v140
	ds_read2_b32 v[148:149], v37 offset0:4 offset1:5
	ds_read2_b32 v[156:157], v36 offset0:6 offset1:7
	;; [unrolled: 1-line block ×3, first 2 shown]
	v_add_u32_e32 v166, 0x6200, v34
	v_fmac_f32_e32 v112, v150, v140
	s_waitcnt lgkmcnt(3)
	v_dot4_i32_i8 v140, v160, v122, 0
	v_add_u32_e32 v150, 0x4188, v34
	v_dot4_i32_i8 v140, v161, v126, v140
	ds_read2_b32 v[160:161], v150 offset1:1
	v_add_u32_e32 v150, 0x4190, v34
	ds_read2_b32 v[162:163], v150 offset1:1
	ds_read2_b32 v[164:165], v164 offset1:1
	;; [unrolled: 1-line block ×3, first 2 shown]
	v_add_u32_e32 v150, 0x6218, v34
	s_waitcnt lgkmcnt(6)
	v_mul_f32_e32 v148, v1, v148
	s_waitcnt lgkmcnt(3)
	v_dot4_i32_i8 v140, v160, v123, v140
	v_dot4_i32_i8 v140, v161, v127, v140
	s_waitcnt lgkmcnt(0)
	v_dot4_i32_i8 v122, v166, v122, 0
	v_dot4_i32_i8 v122, v167, v126, v122
	v_add_u32_e32 v126, 0x6208, v34
	ds_read2_b32 v[160:161], v126 offset1:1
	v_dot4_i32_i8 v140, v162, v124, v140
	v_dot4_i32_i8 v140, v163, v128, v140
	v_dot4_i32_i8 v140, v164, v125, v140
	v_add_u32_e32 v126, 0x6210, v34
	v_add_u32_e32 v166, 0x2120, v34
	v_dot4_i32_i8 v140, v165, v129, v140
	ds_read2_b32 v[162:163], v126 offset1:1
	ds_read2_b32 v[164:165], v150 offset1:1
	;; [unrolled: 1-line block ×3, first 2 shown]
	s_waitcnt lgkmcnt(3)
	v_dot4_i32_i8 v122, v160, v123, v122
	v_dot4_i32_i8 v122, v161, v127, v122
	s_waitcnt lgkmcnt(2)
	v_dot4_i32_i8 v122, v162, v124, v122
	v_dot4_i32_i8 v122, v163, v128, v122
	;; [unrolled: 3-line block ×3, first 2 shown]
	v_cvt_f32_i32_e32 v122, v122
	v_mul_f32_e32 v1, v1, v152
	ds_read2_b32 v[160:161], v37 offset0:6 offset1:7
	v_cvt_f32_i32_e32 v140, v140
	v_fmac_f32_e32 v25, v1, v122
	ds_read2_b32 v[122:123], v34 offset0:42 offset1:43
	v_dot4_i32_i8 v1, v146, v130, 0
	v_dot4_i32_i8 v1, v147, v134, v1
	ds_read2_b32 v[124:125], v34 offset0:44 offset1:45
	ds_read2_b32 v[126:127], v34 offset0:46 offset1:47
	;; [unrolled: 1-line block ×3, first 2 shown]
	v_fmac_f32_e32 v107, v148, v140
	s_waitcnt lgkmcnt(3)
	v_dot4_i32_i8 v1, v122, v131, v1
	v_dot4_i32_i8 v122, v166, v130, 0
	;; [unrolled: 1-line block ×3, first 2 shown]
	v_add_u32_e32 v122, 0x2128, v34
	v_dot4_i32_i8 v1, v123, v135, v1
	ds_read2_b32 v[122:123], v122 offset1:1
	s_waitcnt lgkmcnt(3)
	v_dot4_i32_i8 v1, v124, v132, v1
	v_dot4_i32_i8 v1, v125, v136, v1
	s_waitcnt lgkmcnt(2)
	v_dot4_i32_i8 v1, v126, v133, v1
	v_add_u32_e32 v124, 0x2130, v34
	v_add_u32_e32 v126, 0x2138, v34
	;; [unrolled: 1-line block ×3, first 2 shown]
	v_dot4_i32_i8 v1, v127, v137, v1
	ds_read2_b32 v[124:125], v124 offset1:1
	ds_read2_b32 v[126:127], v126 offset1:1
	;; [unrolled: 1-line block ×3, first 2 shown]
	s_waitcnt lgkmcnt(3)
	v_dot4_i32_i8 v122, v122, v131, v140
	v_dot4_i32_i8 v122, v123, v135, v122
	s_waitcnt lgkmcnt(2)
	v_dot4_i32_i8 v122, v124, v132, v122
	v_dot4_i32_i8 v122, v125, v136, v122
	s_waitcnt lgkmcnt(1)
	v_dot4_i32_i8 v122, v126, v133, v122
	v_cvt_f32_i32_e32 v1, v1
	v_dot4_i32_i8 v122, v127, v137, v122
	v_cvt_f32_i32_e32 v122, v122
	v_mul_f32_e32 v123, v2, v141
	v_fmac_f32_e32 v27, v123, v1
	v_mul_f32_e32 v1, v2, v151
	v_fmac_f32_e32 v112, v1, v122
	s_waitcnt lgkmcnt(0)
	v_dot4_i32_i8 v1, v128, v130, 0
	v_add_u32_e32 v122, 0x41a8, v34
	v_add_u32_e32 v124, 0x41b0, v34
	v_add_u32_e32 v126, 0x41b8, v34
	v_add_u32_e32 v128, 0x6220, v34
	v_dot4_i32_i8 v1, v129, v134, v1
	ds_read2_b32 v[122:123], v122 offset1:1
	ds_read2_b32 v[124:125], v124 offset1:1
	ds_read2_b32 v[126:127], v126 offset1:1
	ds_read2_b32 v[128:129], v128 offset1:1
	v_mul_f32_e32 v148, v2, v149
	s_waitcnt lgkmcnt(3)
	v_dot4_i32_i8 v1, v122, v131, v1
	s_waitcnt lgkmcnt(0)
	v_dot4_i32_i8 v122, v128, v130, 0
	v_dot4_i32_i8 v128, v129, v134, v122
	v_add_u32_e32 v122, 0x6228, v34
	v_dot4_i32_i8 v1, v123, v135, v1
	ds_read2_b32 v[122:123], v122 offset1:1
	v_dot4_i32_i8 v1, v124, v132, v1
	v_dot4_i32_i8 v1, v125, v136, v1
	;; [unrolled: 1-line block ×3, first 2 shown]
	v_add_u32_e32 v124, 0x6230, v34
	v_add_u32_e32 v126, 0x6238, v34
	v_dot4_i32_i8 v1, v127, v137, v1
	v_add_u32_e32 v129, 0x2140, v34
	ds_read2_b32 v[124:125], v124 offset1:1
	ds_read2_b32 v[126:127], v126 offset1:1
	;; [unrolled: 1-line block ×3, first 2 shown]
	s_waitcnt lgkmcnt(3)
	v_dot4_i32_i8 v122, v122, v131, v128
	v_dot4_i32_i8 v122, v123, v135, v122
	s_waitcnt lgkmcnt(2)
	v_dot4_i32_i8 v122, v124, v132, v122
	v_dot4_i32_i8 v122, v125, v136, v122
	s_waitcnt lgkmcnt(1)
	v_dot4_i32_i8 v122, v126, v133, v122
	v_cvt_f32_i32_e32 v1, v1
	v_dot4_i32_i8 v122, v127, v137, v122
	v_cvt_f32_i32_e32 v130, v122
	ds_read_b128 v[122:125], v30 offset:64
	ds_read_b128 v[126:129], v30 offset:80
	v_fmac_f32_e32 v107, v148, v1
	v_mul_f32_e32 v1, v2, v153
	v_fmac_f32_e32 v25, v1, v130
	ds_read2_b32 v[1:2], v34 offset0:50 offset1:51
	s_waitcnt lgkmcnt(2)
	v_dot4_i32_i8 v130, v146, v122, 0
	s_waitcnt lgkmcnt(1)
	v_dot4_i32_i8 v136, v147, v126, v130
	ds_read2_b32 v[130:131], v34 offset0:52 offset1:53
	ds_read2_b32 v[132:133], v34 offset0:54 offset1:55
	;; [unrolled: 1-line block ×3, first 2 shown]
	s_waitcnt lgkmcnt(3)
	v_dot4_i32_i8 v1, v1, v123, v136
	v_dot4_i32_i8 v1, v2, v127, v1
	s_waitcnt lgkmcnt(2)
	v_dot4_i32_i8 v1, v130, v124, v1
	v_dot4_i32_i8 v1, v131, v128, v1
	;; [unrolled: 3-line block ×3, first 2 shown]
	v_cvt_f32_i32_e32 v146, v1
	v_dot4_i32_i8 v1, v140, v122, 0
	v_dot4_i32_i8 v140, v141, v126, v1
	v_add_u32_e32 v1, 0x2148, v34
	ds_read2_b32 v[1:2], v1 offset1:1
	v_add_u32_e32 v130, 0x2150, v34
	v_add_u32_e32 v132, 0x2158, v34
	;; [unrolled: 1-line block ×3, first 2 shown]
	ds_read2_b32 v[130:131], v130 offset1:1
	ds_read2_b32 v[132:133], v132 offset1:1
	;; [unrolled: 1-line block ×3, first 2 shown]
	s_waitcnt lgkmcnt(3)
	v_dot4_i32_i8 v1, v1, v123, v140
	v_dot4_i32_i8 v1, v2, v127, v1
	s_waitcnt lgkmcnt(2)
	v_dot4_i32_i8 v1, v130, v124, v1
	v_dot4_i32_i8 v1, v131, v128, v1
	;; [unrolled: 3-line block ×3, first 2 shown]
	v_cvt_f32_i32_e32 v1, v1
	v_mul_f32_e32 v2, v3, v158
	v_fmac_f32_e32 v27, v2, v146
	v_mul_f32_e32 v2, v3, v156
	v_fmac_f32_e32 v112, v2, v1
	s_waitcnt lgkmcnt(0)
	v_dot4_i32_i8 v1, v136, v122, 0
	v_dot4_i32_i8 v140, v137, v126, v1
	v_add_u32_e32 v1, 0x41c8, v34
	ds_read2_b32 v[1:2], v1 offset1:1
	v_add_u32_e32 v130, 0x41d0, v34
	v_add_u32_e32 v132, 0x41d8, v34
	;; [unrolled: 1-line block ×3, first 2 shown]
	ds_read2_b32 v[130:131], v130 offset1:1
	ds_read2_b32 v[132:133], v132 offset1:1
	ds_read2_b32 v[136:137], v136 offset1:1
	s_waitcnt lgkmcnt(3)
	v_dot4_i32_i8 v1, v1, v123, v140
	v_dot4_i32_i8 v1, v2, v127, v1
	s_waitcnt lgkmcnt(2)
	v_dot4_i32_i8 v1, v130, v124, v1
	v_dot4_i32_i8 v1, v131, v128, v1
	;; [unrolled: 3-line block ×3, first 2 shown]
	v_cvt_f32_i32_e32 v141, v1
	s_waitcnt lgkmcnt(0)
	v_dot4_i32_i8 v1, v136, v122, 0
	v_dot4_i32_i8 v122, v137, v126, v1
	v_add_u32_e32 v1, 0x6248, v34
	ds_read2_b32 v[1:2], v1 offset1:1
	v_add_u32_e32 v126, 0x6250, v34
	v_add_u32_e32 v132, 0x6258, v34
	;; [unrolled: 1-line block ×3, first 2 shown]
	ds_read2_b32 v[130:131], v126 offset1:1
	ds_read2_b32 v[132:133], v132 offset1:1
	;; [unrolled: 1-line block ×3, first 2 shown]
	s_waitcnt lgkmcnt(3)
	v_dot4_i32_i8 v1, v1, v123, v122
	v_dot4_i32_i8 v1, v2, v127, v1
	s_waitcnt lgkmcnt(2)
	v_dot4_i32_i8 v1, v130, v124, v1
	v_dot4_i32_i8 v1, v131, v128, v1
	;; [unrolled: 3-line block ×3, first 2 shown]
	v_cvt_f32_i32_e32 v1, v1
	ds_read_b128 v[122:125], v30 offset:96
	ds_read_b128 v[126:129], v30 offset:112
	v_mul_f32_e32 v2, v3, v154
	v_mul_f32_e32 v140, v3, v160
	v_fmac_f32_e32 v25, v2, v1
	s_waitcnt lgkmcnt(1)
	v_dot4_i32_i8 v1, v134, v122, 0
	s_waitcnt lgkmcnt(0)
	v_dot4_i32_i8 v1, v135, v126, v1
	v_dot4_i32_i8 v1, v138, v123, v1
	;; [unrolled: 1-line block ×7, first 2 shown]
	v_cvt_f32_i32_e32 v3, v1
	v_dot4_i32_i8 v1, v136, v122, 0
	v_dot4_i32_i8 v136, v137, v126, v1
	v_add_u32_e32 v1, 0x2168, v34
	ds_read2_b32 v[1:2], v1 offset1:1
	v_add_u32_e32 v130, 0x2170, v34
	v_add_u32_e32 v132, 0x2178, v34
	;; [unrolled: 1-line block ×3, first 2 shown]
	ds_read2_b32 v[130:131], v130 offset1:1
	ds_read2_b32 v[132:133], v132 offset1:1
	;; [unrolled: 1-line block ×3, first 2 shown]
	s_waitcnt lgkmcnt(3)
	v_dot4_i32_i8 v1, v1, v123, v136
	v_dot4_i32_i8 v1, v2, v127, v1
	s_waitcnt lgkmcnt(2)
	v_dot4_i32_i8 v1, v130, v124, v1
	v_dot4_i32_i8 v1, v131, v128, v1
	;; [unrolled: 3-line block ×3, first 2 shown]
	v_cvt_f32_i32_e32 v1, v1
	v_mul_f32_e32 v2, v4, v159
	v_fmac_f32_e32 v27, v2, v3
	v_mul_f32_e32 v2, v4, v157
	v_fmac_f32_e32 v112, v2, v1
	s_waitcnt lgkmcnt(0)
	v_dot4_i32_i8 v1, v134, v122, 0
	v_dot4_i32_i8 v3, v135, v126, v1
	v_add_u32_e32 v1, 0x41e8, v34
	ds_read2_b32 v[1:2], v1 offset1:1
	v_add_u32_e32 v130, 0x41f0, v34
	v_add_u32_e32 v132, 0x41f8, v34
	;; [unrolled: 1-line block ×3, first 2 shown]
	ds_read2_b32 v[130:131], v130 offset1:1
	ds_read2_b32 v[132:133], v132 offset1:1
	;; [unrolled: 1-line block ×3, first 2 shown]
	s_waitcnt lgkmcnt(3)
	v_dot4_i32_i8 v1, v1, v123, v3
	v_dot4_i32_i8 v1, v2, v127, v1
	s_waitcnt lgkmcnt(2)
	v_dot4_i32_i8 v1, v130, v124, v1
	v_dot4_i32_i8 v1, v131, v128, v1
	;; [unrolled: 3-line block ×3, first 2 shown]
	v_cvt_f32_i32_e32 v3, v1
	s_waitcnt lgkmcnt(0)
	v_dot4_i32_i8 v1, v134, v122, 0
	v_dot4_i32_i8 v122, v135, v126, v1
	v_add_u32_e32 v1, 0x6268, v34
	ds_read2_b32 v[1:2], v1 offset1:1
	v_add_u32_e32 v126, 0x6270, v34
	ds_read2_b32 v[130:131], v126 offset1:1
	v_add_u32_e32 v126, 0x6278, v34
	ds_read2_b32 v[132:133], v126 offset1:1
	s_waitcnt lgkmcnt(2)
	v_dot4_i32_i8 v1, v1, v123, v122
	v_dot4_i32_i8 v1, v2, v127, v1
	s_waitcnt lgkmcnt(1)
	v_dot4_i32_i8 v1, v130, v124, v1
	v_dot4_i32_i8 v1, v131, v128, v1
	;; [unrolled: 3-line block ×3, first 2 shown]
	v_cvt_f32_i32_e32 v1, v1
	v_fmac_f32_e32 v107, v140, v141
	v_mul_f32_e32 v2, v4, v161
	v_fmac_f32_e32 v107, v2, v3
	v_mul_f32_e32 v2, v4, v155
	v_fmac_f32_e32 v25, v2, v1
	s_barrier
.LBB222_5:                              ;   in Loop: Header=BB222_6 Depth=1
	v_add_co_u32_e32 v23, vcc, 0x120, v23
	v_addc_co_u32_e32 v24, vcc, 0, v24, vcc
	v_add_co_u32_e32 v43, vcc, 0xb0, v43
	v_addc_co_u32_e32 v44, vcc, 0, v44, vcc
	;; [unrolled: 2-line block ×36, first 2 shown]
	s_add_i32 s10, s10, 8
	s_addk_i32 s20, 0x100
	v_add_co_u32_e32 v115, vcc, 0xb0, v115
	s_cmp_ge_i32 s10, s22
	v_addc_co_u32_e32 v116, vcc, 0, v116, vcc
	s_cbranch_scc1 .LBB222_17
.LBB222_6:                              ; =>This Inner Loop Header: Depth=1
	v_mov_b32_e32 v1, s23
	v_add_co_u32_e32 v2, vcc, s8, v43
	v_addc_co_u32_e32 v3, vcc, v44, v1, vcc
	global_load_dword v4, v[2:3], off
	v_add_co_u32_e32 v2, vcc, s8, v45
	v_addc_co_u32_e32 v3, vcc, v46, v1, vcc
	global_load_dword v124, v[2:3], off offset:2
	v_add_co_u32_e32 v2, vcc, s8, v47
	v_addc_co_u32_e32 v3, vcc, v48, v1, vcc
	v_add_co_u32_e32 v122, vcc, s8, v49
	v_addc_co_u32_e32 v123, vcc, v50, v1, vcc
	global_load_dword v125, v[122:123], off
	global_load_dword v126, v[2:3], off
	v_add_co_u32_e32 v2, vcc, s8, v51
	v_addc_co_u32_e32 v3, vcc, v52, v1, vcc
	v_add_co_u32_e32 v122, vcc, s8, v53
	v_addc_co_u32_e32 v123, vcc, v54, v1, vcc
	global_load_dword v127, v[2:3], off
	global_load_dword v128, v[122:123], off
	s_add_i32 s4, s20, 0xffffff80
	s_cmp_lt_i32 s4, s9
	s_waitcnt vmcnt(5)
	v_and_b32_e32 v3, 0xf0f0f0f, v4
	v_lshrrev_b32_e32 v4, 4, v4
	v_and_b32_e32 v4, 0xf0f0f0f, v4
	s_waitcnt vmcnt(4)
	v_ashrrev_i32_e32 v2, v28, v124
	v_lshlrev_b32_e32 v123, 4, v2
	v_lshlrev_b32_e32 v129, 18, v2
	;; [unrolled: 1-line block ×3, first 2 shown]
	v_lshrrev_b32_e32 v131, 12, v2
	v_lshrrev_b32_e32 v132, 5, v2
	v_lshlrev_b32_e32 v133, 2, v2
	v_and_b32_e32 v123, 16, v123
	s_waitcnt vmcnt(3)
	v_ashrrev_i32_e32 v124, v28, v125
	v_lshlrev_b32_e32 v125, 11, v2
	v_lshlrev_b32_e32 v2, 9, v2
	v_and_b32_e32 v125, 0x1000, v125
	v_and_b32_e32 v129, 0x100000, v129
	;; [unrolled: 1-line block ×7, first 2 shown]
	v_or3_b32 v123, v123, v3, v125
	v_or3_b32 v3, v3, v129, v130
	;; [unrolled: 1-line block ×4, first 2 shown]
	v_and_b32_e32 v129, 0x1f00, v123
	v_lshlrev_b16_e32 v123, 8, v123
	v_and_b32_sdwa v130, v3, s21 dst_sel:DWORD dst_unused:UNUSED_PAD src0_sel:WORD_1 src1_sel:DWORD
	v_lshlrev_b16_sdwa v3, v121, v3 dst_sel:DWORD dst_unused:UNUSED_PAD src0_sel:DWORD src1_sel:WORD_1
	v_and_b32_e32 v132, 0x1f00, v125
	v_lshlrev_b16_e32 v125, 8, v125
	v_and_b32_sdwa v131, v2, s21 dst_sel:DWORD dst_unused:UNUSED_PAD src0_sel:WORD_1 src1_sel:DWORD
	v_lshlrev_b16_sdwa v2, v121, v2 dst_sel:DWORD dst_unused:UNUSED_PAD src0_sel:DWORD src1_sel:WORD_1
	v_add_u16_e32 v129, 0xf000, v129
	v_add_u16_e32 v123, 0xf000, v123
	;; [unrolled: 1-line block ×5, first 2 shown]
	v_lshlrev_b32_e32 v134, 4, v124
	v_lshlrev_b32_e32 v135, 11, v124
	;; [unrolled: 1-line block ×4, first 2 shown]
	v_add_u16_e32 v131, 0xf000, v131
	v_add_u16_e32 v2, 0xf000, v2
	v_perm_b32 v123, v123, v129, s24
	v_perm_b32 v3, v3, v130, s24
	v_or_b32_sdwa v125, v132, v125 dst_sel:DWORD dst_unused:UNUSED_PAD src0_sel:DWORD src1_sel:BYTE_1
	s_waitcnt vmcnt(2)
	v_and_b32_e32 v122, 0xf0f0f0f, v126
	v_and_b32_e32 v134, 16, v134
	;; [unrolled: 1-line block ×5, first 2 shown]
	v_perm_b32 v2, v2, v131, s24
	v_lshl_or_b32 v3, v3, 16, v123
	v_add_u16_e32 v123, 0xf000, v125
	v_or3_b32 v4, v134, v122, v135
	v_or3_b32 v122, v122, v136, v137
	v_lshl_or_b32 v2, v2, 16, v123
	v_and_b32_e32 v133, 0x1f00, v4
	ds_write2_b32 v5, v3, v2 offset1:1
	v_lshlrev_b16_e32 v2, 8, v4
	v_and_b32_sdwa v3, v122, s21 dst_sel:DWORD dst_unused:UNUSED_PAD src0_sel:WORD_1 src1_sel:DWORD
	v_lshlrev_b16_sdwa v4, v121, v122 dst_sel:DWORD dst_unused:UNUSED_PAD src0_sel:DWORD src1_sel:WORD_1
	v_add_u16_e32 v133, 0xf000, v133
	v_add_u16_e32 v2, 0xf000, v2
	;; [unrolled: 1-line block ×4, first 2 shown]
	v_perm_b32 v2, v2, v133, s24
	v_perm_b32 v3, v4, v3, s24
	v_lshl_or_b32 v4, v3, 16, v2
	v_lshrrev_b32_e32 v2, 4, v126
	v_and_b32_e32 v125, 0xf0f0f0f, v2
	v_add_co_u32_e32 v2, vcc, s8, v55
	v_addc_co_u32_e32 v3, vcc, v56, v1, vcc
	v_add_co_u32_e32 v122, vcc, s8, v57
	v_addc_co_u32_e32 v123, vcc, v58, v1, vcc
	v_lshrrev_b32_e32 v126, 12, v124
	global_load_dword v129, v[122:123], off
	global_load_dword v130, v[2:3], off
	v_lshrrev_b32_e32 v3, 5, v124
	v_and_b32_e32 v2, 16, v126
	v_and_b32_e32 v3, 0x1000, v3
	v_or3_b32 v2, v2, v125, v3
	v_lshlrev_b32_e32 v3, 2, v124
	v_lshlrev_b32_e32 v122, 9, v124
	v_and_b32_e32 v3, 0x100000, v3
	v_and_b32_e32 v122, 0x10000000, v122
	v_or3_b32 v3, v125, v3, v122
	v_and_b32_sdwa v122, v3, s21 dst_sel:DWORD dst_unused:UNUSED_PAD src0_sel:WORD_1 src1_sel:DWORD
	v_lshlrev_b16_sdwa v3, v121, v3 dst_sel:DWORD dst_unused:UNUSED_PAD src0_sel:DWORD src1_sel:WORD_1
	v_add_u16_e32 v122, 0xf000, v122
	v_add_u16_e32 v3, 0xf000, v3
	v_perm_b32 v3, v3, v122, s24
	v_and_b32_e32 v122, 0x1f00, v2
	v_lshlrev_b16_e32 v2, 8, v2
	v_add_u16_e32 v2, 0xf000, v2
	v_or_b32_sdwa v2, v122, v2 dst_sel:DWORD dst_unused:UNUSED_PAD src0_sel:DWORD src1_sel:BYTE_1
	v_add_u16_e32 v2, 0xf000, v2
	v_lshl_or_b32 v2, v3, 16, v2
	ds_write2_b32 v6, v4, v2 offset1:1
	s_waitcnt vmcnt(2)
	v_ashrrev_i32_e32 v4, v28, v128
	v_lshlrev_b32_e32 v3, 4, v4
	v_lshlrev_b32_e32 v122, 11, v4
	v_and_b32_e32 v2, 0xf0f0f0f, v127
	v_and_b32_e32 v3, 16, v3
	;; [unrolled: 1-line block ×3, first 2 shown]
	v_or3_b32 v3, v3, v2, v122
	v_lshlrev_b32_e32 v122, 18, v4
	v_lshlrev_b32_e32 v123, 25, v4
	v_and_b32_e32 v122, 0x100000, v122
	v_and_b32_e32 v123, 0x10000000, v123
	v_or3_b32 v2, v2, v122, v123
	v_and_b32_e32 v122, 0x1f00, v3
	v_lshlrev_b16_e32 v3, 8, v3
	v_add_u16_e32 v122, 0xf000, v122
	v_add_u16_e32 v3, 0xf000, v3
	v_perm_b32 v3, v3, v122, s24
	v_and_b32_sdwa v122, v2, s21 dst_sel:DWORD dst_unused:UNUSED_PAD src0_sel:WORD_1 src1_sel:DWORD
	v_lshlrev_b16_sdwa v2, v121, v2 dst_sel:DWORD dst_unused:UNUSED_PAD src0_sel:DWORD src1_sel:WORD_1
	v_add_u16_e32 v122, 0xf000, v122
	v_add_u16_e32 v2, 0xf000, v2
	v_perm_b32 v2, v2, v122, s24
	v_lshl_or_b32 v124, v2, 16, v3
	v_lshrrev_b32_e32 v2, 4, v127
	v_and_b32_e32 v125, 0xf0f0f0f, v2
	v_add_co_u32_e32 v2, vcc, s8, v59
	v_addc_co_u32_e32 v3, vcc, v60, v1, vcc
	v_add_co_u32_e32 v122, vcc, s8, v61
	v_addc_co_u32_e32 v123, vcc, v62, v1, vcc
	global_load_dword v127, v[122:123], off
	global_load_dword v128, v[2:3], off
	v_lshrrev_b32_e32 v126, 12, v4
	v_lshrrev_b32_e32 v3, 5, v4
	v_and_b32_e32 v2, 16, v126
	v_and_b32_e32 v3, 0x1000, v3
	v_or3_b32 v2, v2, v125, v3
	v_lshlrev_b32_e32 v3, 2, v4
	v_lshlrev_b32_e32 v4, 9, v4
	v_and_b32_e32 v3, 0x100000, v3
	v_and_b32_e32 v4, 0x10000000, v4
	v_or3_b32 v3, v125, v3, v4
	v_and_b32_sdwa v4, v3, s21 dst_sel:DWORD dst_unused:UNUSED_PAD src0_sel:WORD_1 src1_sel:DWORD
	v_lshlrev_b16_sdwa v3, v121, v3 dst_sel:DWORD dst_unused:UNUSED_PAD src0_sel:DWORD src1_sel:WORD_1
	v_add_u16_e32 v4, 0xf000, v4
	v_add_u16_e32 v3, 0xf000, v3
	v_perm_b32 v3, v3, v4, s24
	v_and_b32_e32 v4, 0x1f00, v2
	v_lshlrev_b16_e32 v2, 8, v2
	v_add_u16_e32 v2, 0xf000, v2
	v_or_b32_sdwa v2, v4, v2 dst_sel:DWORD dst_unused:UNUSED_PAD src0_sel:DWORD src1_sel:BYTE_1
	v_add_u16_e32 v2, 0xf000, v2
	v_lshl_or_b32 v2, v3, 16, v2
	ds_write2_b32 v7, v124, v2 offset1:1
	s_waitcnt vmcnt(3)
	v_ashrrev_i32_e32 v4, v28, v129
	v_lshlrev_b32_e32 v3, 4, v4
	v_lshlrev_b32_e32 v122, 11, v4
	s_waitcnt vmcnt(2)
	v_and_b32_e32 v2, 0xf0f0f0f, v130
	v_and_b32_e32 v3, 16, v3
	;; [unrolled: 1-line block ×3, first 2 shown]
	v_or3_b32 v3, v3, v2, v122
	v_lshlrev_b32_e32 v122, 18, v4
	v_lshlrev_b32_e32 v123, 25, v4
	v_and_b32_e32 v122, 0x100000, v122
	v_and_b32_e32 v123, 0x10000000, v123
	v_or3_b32 v2, v2, v122, v123
	v_and_b32_e32 v122, 0x1f00, v3
	v_lshlrev_b16_e32 v3, 8, v3
	v_add_u16_e32 v122, 0xf000, v122
	v_add_u16_e32 v3, 0xf000, v3
	v_perm_b32 v3, v3, v122, s24
	v_and_b32_sdwa v122, v2, s21 dst_sel:DWORD dst_unused:UNUSED_PAD src0_sel:WORD_1 src1_sel:DWORD
	v_lshlrev_b16_sdwa v2, v121, v2 dst_sel:DWORD dst_unused:UNUSED_PAD src0_sel:DWORD src1_sel:WORD_1
	v_add_u16_e32 v122, 0xf000, v122
	v_add_u16_e32 v2, 0xf000, v2
	v_perm_b32 v2, v2, v122, s24
	v_lshl_or_b32 v124, v2, 16, v3
	v_lshrrev_b32_e32 v2, 4, v130
	v_and_b32_e32 v125, 0xf0f0f0f, v2
	v_add_co_u32_e32 v2, vcc, s8, v63
	v_addc_co_u32_e32 v3, vcc, v64, v1, vcc
	v_add_co_u32_e32 v122, vcc, s8, v65
	v_addc_co_u32_e32 v123, vcc, v66, v1, vcc
	v_lshrrev_b32_e32 v126, 12, v4
	global_load_dword v129, v[122:123], off
	global_load_dword v130, v[2:3], off
	v_lshrrev_b32_e32 v3, 5, v4
	v_and_b32_e32 v2, 16, v126
	v_and_b32_e32 v3, 0x1000, v3
	v_or3_b32 v2, v2, v125, v3
	v_lshlrev_b32_e32 v3, 2, v4
	v_lshlrev_b32_e32 v4, 9, v4
	v_and_b32_e32 v3, 0x100000, v3
	v_and_b32_e32 v4, 0x10000000, v4
	v_or3_b32 v3, v125, v3, v4
	v_and_b32_sdwa v4, v3, s21 dst_sel:DWORD dst_unused:UNUSED_PAD src0_sel:WORD_1 src1_sel:DWORD
	v_lshlrev_b16_sdwa v3, v121, v3 dst_sel:DWORD dst_unused:UNUSED_PAD src0_sel:DWORD src1_sel:WORD_1
	v_add_u16_e32 v4, 0xf000, v4
	v_add_u16_e32 v3, 0xf000, v3
	v_perm_b32 v3, v3, v4, s24
	v_and_b32_e32 v4, 0x1f00, v2
	v_lshlrev_b16_e32 v2, 8, v2
	v_add_u16_e32 v2, 0xf000, v2
	v_or_b32_sdwa v2, v4, v2 dst_sel:DWORD dst_unused:UNUSED_PAD src0_sel:DWORD src1_sel:BYTE_1
	v_add_u16_e32 v2, 0xf000, v2
	v_lshl_or_b32 v2, v3, 16, v2
	s_waitcnt vmcnt(3)
	v_ashrrev_i32_e32 v4, v28, v127
	v_lshlrev_b32_e32 v3, 4, v4
	v_lshlrev_b32_e32 v122, 11, v4
	ds_write2_b32 v8, v124, v2 offset1:1
	s_waitcnt vmcnt(2)
	v_and_b32_e32 v2, 0xf0f0f0f, v128
	v_and_b32_e32 v3, 16, v3
	v_and_b32_e32 v122, 0x1000, v122
	v_or3_b32 v3, v3, v2, v122
	v_lshlrev_b32_e32 v122, 18, v4
	v_lshlrev_b32_e32 v123, 25, v4
	v_and_b32_e32 v122, 0x100000, v122
	v_and_b32_e32 v123, 0x10000000, v123
	v_or3_b32 v2, v2, v122, v123
	v_and_b32_e32 v122, 0x1f00, v3
	v_lshlrev_b16_e32 v3, 8, v3
	v_add_u16_e32 v122, 0xf000, v122
	v_add_u16_e32 v3, 0xf000, v3
	v_perm_b32 v3, v3, v122, s24
	v_and_b32_sdwa v122, v2, s21 dst_sel:DWORD dst_unused:UNUSED_PAD src0_sel:WORD_1 src1_sel:DWORD
	v_lshlrev_b16_sdwa v2, v121, v2 dst_sel:DWORD dst_unused:UNUSED_PAD src0_sel:DWORD src1_sel:WORD_1
	v_add_u16_e32 v122, 0xf000, v122
	v_add_u16_e32 v2, 0xf000, v2
	v_perm_b32 v2, v2, v122, s24
	v_lshl_or_b32 v124, v2, 16, v3
	v_lshrrev_b32_e32 v2, 4, v128
	v_and_b32_e32 v125, 0xf0f0f0f, v2
	v_add_co_u32_e32 v2, vcc, s8, v67
	v_addc_co_u32_e32 v3, vcc, v68, v1, vcc
	v_add_co_u32_e32 v122, vcc, s8, v69
	v_addc_co_u32_e32 v123, vcc, v70, v1, vcc
	global_load_dword v127, v[122:123], off
	global_load_dword v128, v[2:3], off
	v_lshrrev_b32_e32 v126, 12, v4
	v_lshrrev_b32_e32 v3, 5, v4
	v_and_b32_e32 v2, 16, v126
	v_and_b32_e32 v3, 0x1000, v3
	v_or3_b32 v2, v2, v125, v3
	v_lshlrev_b32_e32 v3, 2, v4
	v_lshlrev_b32_e32 v4, 9, v4
	v_and_b32_e32 v3, 0x100000, v3
	v_and_b32_e32 v4, 0x10000000, v4
	v_or3_b32 v3, v125, v3, v4
	v_and_b32_sdwa v4, v3, s21 dst_sel:DWORD dst_unused:UNUSED_PAD src0_sel:WORD_1 src1_sel:DWORD
	v_lshlrev_b16_sdwa v3, v121, v3 dst_sel:DWORD dst_unused:UNUSED_PAD src0_sel:DWORD src1_sel:WORD_1
	v_add_u16_e32 v4, 0xf000, v4
	v_add_u16_e32 v3, 0xf000, v3
	v_perm_b32 v3, v3, v4, s24
	v_and_b32_e32 v4, 0x1f00, v2
	v_lshlrev_b16_e32 v2, 8, v2
	v_add_u16_e32 v2, 0xf000, v2
	v_or_b32_sdwa v2, v4, v2 dst_sel:DWORD dst_unused:UNUSED_PAD src0_sel:DWORD src1_sel:BYTE_1
	v_add_u16_e32 v2, 0xf000, v2
	v_lshl_or_b32 v2, v3, 16, v2
	ds_write2_b32 v9, v124, v2 offset1:1
	s_waitcnt vmcnt(3)
	v_ashrrev_i32_e32 v4, v28, v129
	v_lshlrev_b32_e32 v3, 4, v4
	v_lshlrev_b32_e32 v122, 11, v4
	s_waitcnt vmcnt(2)
	v_and_b32_e32 v2, 0xf0f0f0f, v130
	v_and_b32_e32 v3, 16, v3
	;; [unrolled: 1-line block ×3, first 2 shown]
	v_or3_b32 v3, v3, v2, v122
	v_lshlrev_b32_e32 v122, 18, v4
	v_lshlrev_b32_e32 v123, 25, v4
	v_and_b32_e32 v122, 0x100000, v122
	v_and_b32_e32 v123, 0x10000000, v123
	v_or3_b32 v2, v2, v122, v123
	v_and_b32_e32 v122, 0x1f00, v3
	v_lshlrev_b16_e32 v3, 8, v3
	v_add_u16_e32 v122, 0xf000, v122
	v_add_u16_e32 v3, 0xf000, v3
	v_perm_b32 v3, v3, v122, s24
	v_and_b32_sdwa v122, v2, s21 dst_sel:DWORD dst_unused:UNUSED_PAD src0_sel:WORD_1 src1_sel:DWORD
	v_lshlrev_b16_sdwa v2, v121, v2 dst_sel:DWORD dst_unused:UNUSED_PAD src0_sel:DWORD src1_sel:WORD_1
	v_add_u16_e32 v122, 0xf000, v122
	v_add_u16_e32 v2, 0xf000, v2
	v_perm_b32 v2, v2, v122, s24
	v_lshl_or_b32 v124, v2, 16, v3
	v_lshrrev_b32_e32 v2, 4, v130
	v_and_b32_e32 v125, 0xf0f0f0f, v2
	v_add_co_u32_e32 v2, vcc, s8, v71
	v_addc_co_u32_e32 v3, vcc, v72, v1, vcc
	v_add_co_u32_e32 v122, vcc, s8, v73
	v_addc_co_u32_e32 v123, vcc, v74, v1, vcc
	v_lshrrev_b32_e32 v126, 12, v4
	global_load_dword v129, v[122:123], off
	global_load_dword v130, v[2:3], off
	v_lshrrev_b32_e32 v3, 5, v4
	v_and_b32_e32 v2, 16, v126
	v_and_b32_e32 v3, 0x1000, v3
	v_or3_b32 v2, v2, v125, v3
	v_lshlrev_b32_e32 v3, 2, v4
	v_lshlrev_b32_e32 v4, 9, v4
	v_and_b32_e32 v3, 0x100000, v3
	v_and_b32_e32 v4, 0x10000000, v4
	v_or3_b32 v3, v125, v3, v4
	v_and_b32_sdwa v4, v3, s21 dst_sel:DWORD dst_unused:UNUSED_PAD src0_sel:WORD_1 src1_sel:DWORD
	v_lshlrev_b16_sdwa v3, v121, v3 dst_sel:DWORD dst_unused:UNUSED_PAD src0_sel:DWORD src1_sel:WORD_1
	v_add_u16_e32 v4, 0xf000, v4
	v_add_u16_e32 v3, 0xf000, v3
	v_perm_b32 v3, v3, v4, s24
	v_and_b32_e32 v4, 0x1f00, v2
	v_lshlrev_b16_e32 v2, 8, v2
	v_add_u16_e32 v2, 0xf000, v2
	v_or_b32_sdwa v2, v4, v2 dst_sel:DWORD dst_unused:UNUSED_PAD src0_sel:DWORD src1_sel:BYTE_1
	v_add_u16_e32 v2, 0xf000, v2
	v_lshl_or_b32 v2, v3, 16, v2
	s_waitcnt vmcnt(3)
	v_ashrrev_i32_e32 v4, v28, v127
	v_lshlrev_b32_e32 v3, 4, v4
	v_lshlrev_b32_e32 v122, 11, v4
	ds_write2_b32 v10, v124, v2 offset1:1
	s_waitcnt vmcnt(2)
	v_and_b32_e32 v2, 0xf0f0f0f, v128
	v_and_b32_e32 v3, 16, v3
	;; [unrolled: 1-line block ×3, first 2 shown]
	v_or3_b32 v3, v3, v2, v122
	v_lshlrev_b32_e32 v122, 18, v4
	v_lshlrev_b32_e32 v123, 25, v4
	v_and_b32_e32 v122, 0x100000, v122
	v_and_b32_e32 v123, 0x10000000, v123
	v_or3_b32 v2, v2, v122, v123
	v_and_b32_e32 v122, 0x1f00, v3
	v_lshlrev_b16_e32 v3, 8, v3
	v_add_u16_e32 v122, 0xf000, v122
	v_add_u16_e32 v3, 0xf000, v3
	v_perm_b32 v3, v3, v122, s24
	v_and_b32_sdwa v122, v2, s21 dst_sel:DWORD dst_unused:UNUSED_PAD src0_sel:WORD_1 src1_sel:DWORD
	v_lshlrev_b16_sdwa v2, v121, v2 dst_sel:DWORD dst_unused:UNUSED_PAD src0_sel:DWORD src1_sel:WORD_1
	v_add_u16_e32 v122, 0xf000, v122
	v_add_u16_e32 v2, 0xf000, v2
	v_perm_b32 v2, v2, v122, s24
	v_lshl_or_b32 v124, v2, 16, v3
	v_lshrrev_b32_e32 v2, 4, v128
	v_and_b32_e32 v125, 0xf0f0f0f, v2
	v_add_co_u32_e32 v2, vcc, s8, v75
	v_addc_co_u32_e32 v3, vcc, v76, v1, vcc
	v_add_co_u32_e32 v122, vcc, s8, v77
	v_addc_co_u32_e32 v123, vcc, v78, v1, vcc
	global_load_dword v127, v[122:123], off
	global_load_dword v128, v[2:3], off
	v_lshrrev_b32_e32 v126, 12, v4
	v_lshrrev_b32_e32 v3, 5, v4
	v_and_b32_e32 v2, 16, v126
	v_and_b32_e32 v3, 0x1000, v3
	v_or3_b32 v2, v2, v125, v3
	v_lshlrev_b32_e32 v3, 2, v4
	v_lshlrev_b32_e32 v4, 9, v4
	v_and_b32_e32 v3, 0x100000, v3
	v_and_b32_e32 v4, 0x10000000, v4
	v_or3_b32 v3, v125, v3, v4
	v_and_b32_sdwa v4, v3, s21 dst_sel:DWORD dst_unused:UNUSED_PAD src0_sel:WORD_1 src1_sel:DWORD
	v_lshlrev_b16_sdwa v3, v121, v3 dst_sel:DWORD dst_unused:UNUSED_PAD src0_sel:DWORD src1_sel:WORD_1
	v_add_u16_e32 v4, 0xf000, v4
	v_add_u16_e32 v3, 0xf000, v3
	v_perm_b32 v3, v3, v4, s24
	v_and_b32_e32 v4, 0x1f00, v2
	v_lshlrev_b16_e32 v2, 8, v2
	v_add_u16_e32 v2, 0xf000, v2
	v_or_b32_sdwa v2, v4, v2 dst_sel:DWORD dst_unused:UNUSED_PAD src0_sel:DWORD src1_sel:BYTE_1
	v_add_u16_e32 v2, 0xf000, v2
	v_lshl_or_b32 v2, v3, 16, v2
	ds_write2_b32 v11, v124, v2 offset1:1
	s_waitcnt vmcnt(3)
	v_ashrrev_i32_e32 v4, v28, v129
	v_lshlrev_b32_e32 v3, 4, v4
	v_lshlrev_b32_e32 v122, 11, v4
	s_waitcnt vmcnt(2)
	v_and_b32_e32 v2, 0xf0f0f0f, v130
	v_and_b32_e32 v3, 16, v3
	;; [unrolled: 1-line block ×3, first 2 shown]
	v_or3_b32 v3, v3, v2, v122
	v_lshlrev_b32_e32 v122, 18, v4
	v_lshlrev_b32_e32 v123, 25, v4
	v_and_b32_e32 v122, 0x100000, v122
	v_and_b32_e32 v123, 0x10000000, v123
	v_or3_b32 v2, v2, v122, v123
	v_and_b32_e32 v122, 0x1f00, v3
	v_lshlrev_b16_e32 v3, 8, v3
	v_add_u16_e32 v122, 0xf000, v122
	v_add_u16_e32 v3, 0xf000, v3
	v_perm_b32 v3, v3, v122, s24
	v_and_b32_sdwa v122, v2, s21 dst_sel:DWORD dst_unused:UNUSED_PAD src0_sel:WORD_1 src1_sel:DWORD
	v_lshlrev_b16_sdwa v2, v121, v2 dst_sel:DWORD dst_unused:UNUSED_PAD src0_sel:DWORD src1_sel:WORD_1
	v_add_u16_e32 v122, 0xf000, v122
	v_add_u16_e32 v2, 0xf000, v2
	v_perm_b32 v2, v2, v122, s24
	v_lshl_or_b32 v124, v2, 16, v3
	v_lshrrev_b32_e32 v2, 4, v130
	v_and_b32_e32 v125, 0xf0f0f0f, v2
	v_add_co_u32_e32 v2, vcc, s8, v79
	v_addc_co_u32_e32 v3, vcc, v80, v1, vcc
	v_add_co_u32_e32 v122, vcc, s8, v81
	v_addc_co_u32_e32 v123, vcc, v82, v1, vcc
	v_lshrrev_b32_e32 v126, 12, v4
	global_load_dword v129, v[122:123], off
	global_load_dword v130, v[2:3], off
	v_lshrrev_b32_e32 v3, 5, v4
	v_and_b32_e32 v2, 16, v126
	v_and_b32_e32 v3, 0x1000, v3
	v_or3_b32 v2, v2, v125, v3
	v_lshlrev_b32_e32 v3, 2, v4
	v_lshlrev_b32_e32 v4, 9, v4
	v_and_b32_e32 v3, 0x100000, v3
	v_and_b32_e32 v4, 0x10000000, v4
	v_or3_b32 v3, v125, v3, v4
	v_and_b32_sdwa v4, v3, s21 dst_sel:DWORD dst_unused:UNUSED_PAD src0_sel:WORD_1 src1_sel:DWORD
	v_lshlrev_b16_sdwa v3, v121, v3 dst_sel:DWORD dst_unused:UNUSED_PAD src0_sel:DWORD src1_sel:WORD_1
	v_add_u16_e32 v4, 0xf000, v4
	v_add_u16_e32 v3, 0xf000, v3
	v_perm_b32 v3, v3, v4, s24
	v_and_b32_e32 v4, 0x1f00, v2
	v_lshlrev_b16_e32 v2, 8, v2
	v_add_u16_e32 v2, 0xf000, v2
	v_or_b32_sdwa v2, v4, v2 dst_sel:DWORD dst_unused:UNUSED_PAD src0_sel:DWORD src1_sel:BYTE_1
	v_add_u16_e32 v2, 0xf000, v2
	v_lshl_or_b32 v2, v3, 16, v2
	s_waitcnt vmcnt(3)
	v_ashrrev_i32_e32 v4, v28, v127
	v_lshlrev_b32_e32 v3, 4, v4
	v_lshlrev_b32_e32 v122, 11, v4
	ds_write2_b32 v12, v124, v2 offset1:1
	s_waitcnt vmcnt(2)
	v_and_b32_e32 v2, 0xf0f0f0f, v128
	v_and_b32_e32 v3, 16, v3
	;; [unrolled: 1-line block ×3, first 2 shown]
	v_or3_b32 v3, v3, v2, v122
	v_lshlrev_b32_e32 v122, 18, v4
	v_lshlrev_b32_e32 v123, 25, v4
	v_and_b32_e32 v122, 0x100000, v122
	v_and_b32_e32 v123, 0x10000000, v123
	v_or3_b32 v2, v2, v122, v123
	v_and_b32_e32 v122, 0x1f00, v3
	v_lshlrev_b16_e32 v3, 8, v3
	v_add_u16_e32 v122, 0xf000, v122
	v_add_u16_e32 v3, 0xf000, v3
	v_perm_b32 v3, v3, v122, s24
	v_and_b32_sdwa v122, v2, s21 dst_sel:DWORD dst_unused:UNUSED_PAD src0_sel:WORD_1 src1_sel:DWORD
	v_lshlrev_b16_sdwa v2, v121, v2 dst_sel:DWORD dst_unused:UNUSED_PAD src0_sel:DWORD src1_sel:WORD_1
	v_add_u16_e32 v122, 0xf000, v122
	v_add_u16_e32 v2, 0xf000, v2
	v_perm_b32 v2, v2, v122, s24
	v_lshl_or_b32 v124, v2, 16, v3
	v_lshrrev_b32_e32 v2, 4, v128
	v_and_b32_e32 v125, 0xf0f0f0f, v2
	v_add_co_u32_e32 v2, vcc, s8, v83
	v_addc_co_u32_e32 v3, vcc, v84, v1, vcc
	v_add_co_u32_e32 v122, vcc, s8, v85
	v_addc_co_u32_e32 v123, vcc, v86, v1, vcc
	global_load_dword v127, v[122:123], off
	global_load_dword v128, v[2:3], off
	v_lshrrev_b32_e32 v126, 12, v4
	v_lshrrev_b32_e32 v3, 5, v4
	v_and_b32_e32 v2, 16, v126
	v_and_b32_e32 v3, 0x1000, v3
	v_or3_b32 v2, v2, v125, v3
	v_lshlrev_b32_e32 v3, 2, v4
	v_lshlrev_b32_e32 v4, 9, v4
	v_and_b32_e32 v3, 0x100000, v3
	v_and_b32_e32 v4, 0x10000000, v4
	v_or3_b32 v3, v125, v3, v4
	v_and_b32_sdwa v4, v3, s21 dst_sel:DWORD dst_unused:UNUSED_PAD src0_sel:WORD_1 src1_sel:DWORD
	v_lshlrev_b16_sdwa v3, v121, v3 dst_sel:DWORD dst_unused:UNUSED_PAD src0_sel:DWORD src1_sel:WORD_1
	v_add_u16_e32 v4, 0xf000, v4
	v_add_u16_e32 v3, 0xf000, v3
	v_perm_b32 v3, v3, v4, s24
	v_and_b32_e32 v4, 0x1f00, v2
	v_lshlrev_b16_e32 v2, 8, v2
	v_add_u16_e32 v2, 0xf000, v2
	v_or_b32_sdwa v2, v4, v2 dst_sel:DWORD dst_unused:UNUSED_PAD src0_sel:DWORD src1_sel:BYTE_1
	v_add_u16_e32 v2, 0xf000, v2
	v_lshl_or_b32 v2, v3, 16, v2
	ds_write2_b32 v13, v124, v2 offset1:1
	s_waitcnt vmcnt(3)
	v_ashrrev_i32_e32 v4, v28, v129
	v_lshlrev_b32_e32 v3, 4, v4
	v_lshlrev_b32_e32 v122, 11, v4
	s_waitcnt vmcnt(2)
	v_and_b32_e32 v2, 0xf0f0f0f, v130
	v_and_b32_e32 v3, 16, v3
	;; [unrolled: 1-line block ×3, first 2 shown]
	v_or3_b32 v3, v3, v2, v122
	v_lshlrev_b32_e32 v122, 18, v4
	v_lshlrev_b32_e32 v123, 25, v4
	v_and_b32_e32 v122, 0x100000, v122
	v_and_b32_e32 v123, 0x10000000, v123
	v_or3_b32 v2, v2, v122, v123
	v_and_b32_e32 v122, 0x1f00, v3
	v_lshlrev_b16_e32 v3, 8, v3
	v_add_u16_e32 v122, 0xf000, v122
	v_add_u16_e32 v3, 0xf000, v3
	v_perm_b32 v3, v3, v122, s24
	v_and_b32_sdwa v122, v2, s21 dst_sel:DWORD dst_unused:UNUSED_PAD src0_sel:WORD_1 src1_sel:DWORD
	v_lshlrev_b16_sdwa v2, v121, v2 dst_sel:DWORD dst_unused:UNUSED_PAD src0_sel:DWORD src1_sel:WORD_1
	v_add_u16_e32 v122, 0xf000, v122
	v_add_u16_e32 v2, 0xf000, v2
	v_perm_b32 v2, v2, v122, s24
	v_lshl_or_b32 v124, v2, 16, v3
	v_lshrrev_b32_e32 v2, 4, v130
	v_and_b32_e32 v125, 0xf0f0f0f, v2
	v_add_co_u32_e32 v2, vcc, s8, v87
	v_addc_co_u32_e32 v3, vcc, v88, v1, vcc
	v_add_co_u32_e32 v122, vcc, s8, v89
	v_addc_co_u32_e32 v123, vcc, v90, v1, vcc
	v_lshrrev_b32_e32 v126, 12, v4
	global_load_dword v129, v[122:123], off
	global_load_dword v130, v[2:3], off
	v_lshrrev_b32_e32 v3, 5, v4
	v_and_b32_e32 v2, 16, v126
	v_and_b32_e32 v3, 0x1000, v3
	v_or3_b32 v2, v2, v125, v3
	v_lshlrev_b32_e32 v3, 2, v4
	v_lshlrev_b32_e32 v4, 9, v4
	v_and_b32_e32 v3, 0x100000, v3
	v_and_b32_e32 v4, 0x10000000, v4
	v_or3_b32 v3, v125, v3, v4
	v_and_b32_sdwa v4, v3, s21 dst_sel:DWORD dst_unused:UNUSED_PAD src0_sel:WORD_1 src1_sel:DWORD
	v_lshlrev_b16_sdwa v3, v121, v3 dst_sel:DWORD dst_unused:UNUSED_PAD src0_sel:DWORD src1_sel:WORD_1
	v_add_u16_e32 v4, 0xf000, v4
	v_add_u16_e32 v3, 0xf000, v3
	v_perm_b32 v3, v3, v4, s24
	v_and_b32_e32 v4, 0x1f00, v2
	v_lshlrev_b16_e32 v2, 8, v2
	v_add_u16_e32 v2, 0xf000, v2
	v_or_b32_sdwa v2, v4, v2 dst_sel:DWORD dst_unused:UNUSED_PAD src0_sel:DWORD src1_sel:BYTE_1
	v_add_u16_e32 v2, 0xf000, v2
	v_lshl_or_b32 v2, v3, 16, v2
	s_waitcnt vmcnt(3)
	v_ashrrev_i32_e32 v4, v28, v127
	v_lshlrev_b32_e32 v3, 4, v4
	v_lshlrev_b32_e32 v122, 11, v4
	ds_write2_b32 v14, v124, v2 offset1:1
	s_waitcnt vmcnt(2)
	v_and_b32_e32 v2, 0xf0f0f0f, v128
	v_and_b32_e32 v3, 16, v3
	v_and_b32_e32 v122, 0x1000, v122
	v_or3_b32 v3, v3, v2, v122
	v_lshlrev_b32_e32 v122, 18, v4
	v_lshlrev_b32_e32 v123, 25, v4
	v_and_b32_e32 v122, 0x100000, v122
	v_and_b32_e32 v123, 0x10000000, v123
	v_or3_b32 v2, v2, v122, v123
	v_and_b32_e32 v122, 0x1f00, v3
	v_lshlrev_b16_e32 v3, 8, v3
	v_add_u16_e32 v122, 0xf000, v122
	v_add_u16_e32 v3, 0xf000, v3
	v_perm_b32 v3, v3, v122, s24
	v_and_b32_sdwa v122, v2, s21 dst_sel:DWORD dst_unused:UNUSED_PAD src0_sel:WORD_1 src1_sel:DWORD
	v_lshlrev_b16_sdwa v2, v121, v2 dst_sel:DWORD dst_unused:UNUSED_PAD src0_sel:DWORD src1_sel:WORD_1
	v_add_u16_e32 v122, 0xf000, v122
	v_add_u16_e32 v2, 0xf000, v2
	v_perm_b32 v2, v2, v122, s24
	v_lshl_or_b32 v124, v2, 16, v3
	v_lshrrev_b32_e32 v2, 4, v128
	v_and_b32_e32 v125, 0xf0f0f0f, v2
	v_add_co_u32_e32 v2, vcc, s8, v91
	v_addc_co_u32_e32 v3, vcc, v92, v1, vcc
	v_add_co_u32_e32 v122, vcc, s8, v93
	v_addc_co_u32_e32 v123, vcc, v94, v1, vcc
	global_load_dword v127, v[122:123], off
	global_load_dword v128, v[2:3], off
	v_lshrrev_b32_e32 v126, 12, v4
	v_lshrrev_b32_e32 v3, 5, v4
	v_and_b32_e32 v2, 16, v126
	v_and_b32_e32 v3, 0x1000, v3
	v_or3_b32 v2, v2, v125, v3
	v_lshlrev_b32_e32 v3, 2, v4
	v_lshlrev_b32_e32 v4, 9, v4
	v_and_b32_e32 v3, 0x100000, v3
	v_and_b32_e32 v4, 0x10000000, v4
	v_or3_b32 v3, v125, v3, v4
	v_and_b32_sdwa v4, v3, s21 dst_sel:DWORD dst_unused:UNUSED_PAD src0_sel:WORD_1 src1_sel:DWORD
	v_lshlrev_b16_sdwa v3, v121, v3 dst_sel:DWORD dst_unused:UNUSED_PAD src0_sel:DWORD src1_sel:WORD_1
	v_add_u16_e32 v4, 0xf000, v4
	v_add_u16_e32 v3, 0xf000, v3
	v_perm_b32 v3, v3, v4, s24
	v_and_b32_e32 v4, 0x1f00, v2
	v_lshlrev_b16_e32 v2, 8, v2
	v_add_u16_e32 v2, 0xf000, v2
	v_or_b32_sdwa v2, v4, v2 dst_sel:DWORD dst_unused:UNUSED_PAD src0_sel:DWORD src1_sel:BYTE_1
	v_add_u16_e32 v2, 0xf000, v2
	v_lshl_or_b32 v2, v3, 16, v2
	ds_write2_b32 v15, v124, v2 offset1:1
	s_waitcnt vmcnt(3)
	v_ashrrev_i32_e32 v4, v28, v129
	v_lshlrev_b32_e32 v3, 4, v4
	v_lshlrev_b32_e32 v122, 11, v4
	s_waitcnt vmcnt(2)
	v_and_b32_e32 v2, 0xf0f0f0f, v130
	v_and_b32_e32 v3, 16, v3
	;; [unrolled: 1-line block ×3, first 2 shown]
	v_or3_b32 v3, v3, v2, v122
	v_lshlrev_b32_e32 v122, 18, v4
	v_lshlrev_b32_e32 v123, 25, v4
	v_and_b32_e32 v122, 0x100000, v122
	v_and_b32_e32 v123, 0x10000000, v123
	v_or3_b32 v2, v2, v122, v123
	v_and_b32_e32 v122, 0x1f00, v3
	v_lshlrev_b16_e32 v3, 8, v3
	v_add_u16_e32 v122, 0xf000, v122
	v_add_u16_e32 v3, 0xf000, v3
	v_perm_b32 v3, v3, v122, s24
	v_and_b32_sdwa v122, v2, s21 dst_sel:DWORD dst_unused:UNUSED_PAD src0_sel:WORD_1 src1_sel:DWORD
	v_lshlrev_b16_sdwa v2, v121, v2 dst_sel:DWORD dst_unused:UNUSED_PAD src0_sel:DWORD src1_sel:WORD_1
	v_add_u16_e32 v122, 0xf000, v122
	v_add_u16_e32 v2, 0xf000, v2
	v_perm_b32 v2, v2, v122, s24
	v_lshl_or_b32 v124, v2, 16, v3
	v_lshrrev_b32_e32 v2, 4, v130
	v_and_b32_e32 v125, 0xf0f0f0f, v2
	v_add_co_u32_e32 v2, vcc, s8, v95
	v_addc_co_u32_e32 v3, vcc, v96, v1, vcc
	v_add_co_u32_e32 v122, vcc, s8, v97
	v_addc_co_u32_e32 v123, vcc, v98, v1, vcc
	v_lshrrev_b32_e32 v126, 12, v4
	global_load_dword v129, v[122:123], off
	global_load_dword v130, v[2:3], off
	v_lshrrev_b32_e32 v3, 5, v4
	v_and_b32_e32 v2, 16, v126
	v_and_b32_e32 v3, 0x1000, v3
	v_or3_b32 v2, v2, v125, v3
	v_lshlrev_b32_e32 v3, 2, v4
	v_lshlrev_b32_e32 v4, 9, v4
	v_and_b32_e32 v3, 0x100000, v3
	v_and_b32_e32 v4, 0x10000000, v4
	v_or3_b32 v3, v125, v3, v4
	v_and_b32_sdwa v4, v3, s21 dst_sel:DWORD dst_unused:UNUSED_PAD src0_sel:WORD_1 src1_sel:DWORD
	v_lshlrev_b16_sdwa v3, v121, v3 dst_sel:DWORD dst_unused:UNUSED_PAD src0_sel:DWORD src1_sel:WORD_1
	v_add_u16_e32 v4, 0xf000, v4
	v_add_u16_e32 v3, 0xf000, v3
	v_perm_b32 v3, v3, v4, s24
	v_and_b32_e32 v4, 0x1f00, v2
	v_lshlrev_b16_e32 v2, 8, v2
	v_add_u16_e32 v2, 0xf000, v2
	v_or_b32_sdwa v2, v4, v2 dst_sel:DWORD dst_unused:UNUSED_PAD src0_sel:DWORD src1_sel:BYTE_1
	v_add_u16_e32 v2, 0xf000, v2
	v_lshl_or_b32 v2, v3, 16, v2
	s_waitcnt vmcnt(3)
	v_ashrrev_i32_e32 v4, v28, v127
	v_lshlrev_b32_e32 v3, 4, v4
	v_lshlrev_b32_e32 v122, 11, v4
	ds_write2_b32 v16, v124, v2 offset1:1
	s_waitcnt vmcnt(2)
	v_and_b32_e32 v2, 0xf0f0f0f, v128
	v_and_b32_e32 v3, 16, v3
	;; [unrolled: 1-line block ×3, first 2 shown]
	v_or3_b32 v3, v3, v2, v122
	v_lshlrev_b32_e32 v122, 18, v4
	v_lshlrev_b32_e32 v123, 25, v4
	v_and_b32_e32 v122, 0x100000, v122
	v_and_b32_e32 v123, 0x10000000, v123
	v_or3_b32 v2, v2, v122, v123
	v_and_b32_e32 v122, 0x1f00, v3
	v_lshlrev_b16_e32 v3, 8, v3
	v_add_u16_e32 v122, 0xf000, v122
	v_add_u16_e32 v3, 0xf000, v3
	v_perm_b32 v3, v3, v122, s24
	v_and_b32_sdwa v122, v2, s21 dst_sel:DWORD dst_unused:UNUSED_PAD src0_sel:WORD_1 src1_sel:DWORD
	v_lshlrev_b16_sdwa v2, v121, v2 dst_sel:DWORD dst_unused:UNUSED_PAD src0_sel:DWORD src1_sel:WORD_1
	v_add_u16_e32 v122, 0xf000, v122
	v_add_u16_e32 v2, 0xf000, v2
	v_perm_b32 v2, v2, v122, s24
	v_lshl_or_b32 v124, v2, 16, v3
	v_lshrrev_b32_e32 v2, 4, v128
	v_and_b32_e32 v125, 0xf0f0f0f, v2
	v_add_co_u32_e32 v2, vcc, s8, v99
	v_addc_co_u32_e32 v3, vcc, v100, v1, vcc
	v_add_co_u32_e32 v122, vcc, s8, v101
	v_addc_co_u32_e32 v123, vcc, v102, v1, vcc
	global_load_dword v127, v[122:123], off
	global_load_dword v128, v[2:3], off
	v_lshrrev_b32_e32 v126, 12, v4
	v_lshrrev_b32_e32 v3, 5, v4
	v_and_b32_e32 v2, 16, v126
	v_and_b32_e32 v3, 0x1000, v3
	v_or3_b32 v2, v2, v125, v3
	v_lshlrev_b32_e32 v3, 2, v4
	v_lshlrev_b32_e32 v4, 9, v4
	v_and_b32_e32 v3, 0x100000, v3
	v_and_b32_e32 v4, 0x10000000, v4
	v_or3_b32 v3, v125, v3, v4
	v_and_b32_sdwa v4, v3, s21 dst_sel:DWORD dst_unused:UNUSED_PAD src0_sel:WORD_1 src1_sel:DWORD
	v_lshlrev_b16_sdwa v3, v121, v3 dst_sel:DWORD dst_unused:UNUSED_PAD src0_sel:DWORD src1_sel:WORD_1
	v_add_u16_e32 v4, 0xf000, v4
	v_add_u16_e32 v3, 0xf000, v3
	v_perm_b32 v3, v3, v4, s24
	v_and_b32_e32 v4, 0x1f00, v2
	v_lshlrev_b16_e32 v2, 8, v2
	v_add_u16_e32 v2, 0xf000, v2
	v_or_b32_sdwa v2, v4, v2 dst_sel:DWORD dst_unused:UNUSED_PAD src0_sel:DWORD src1_sel:BYTE_1
	v_add_u16_e32 v2, 0xf000, v2
	v_lshl_or_b32 v2, v3, 16, v2
	ds_write2_b32 v17, v124, v2 offset1:1
	s_waitcnt vmcnt(3)
	v_ashrrev_i32_e32 v2, v28, v129
	v_lshlrev_b32_e32 v4, 4, v2
	v_lshlrev_b32_e32 v122, 11, v2
	s_waitcnt vmcnt(2)
	v_and_b32_e32 v3, 0xf0f0f0f, v130
	v_and_b32_e32 v4, 16, v4
	;; [unrolled: 1-line block ×3, first 2 shown]
	v_or3_b32 v4, v4, v3, v122
	v_lshlrev_b32_e32 v122, 18, v2
	v_lshlrev_b32_e32 v123, 25, v2
	v_and_b32_e32 v122, 0x100000, v122
	v_and_b32_e32 v123, 0x10000000, v123
	v_or3_b32 v3, v3, v122, v123
	v_and_b32_e32 v122, 0x1f00, v4
	v_lshlrev_b16_e32 v4, 8, v4
	v_add_u16_e32 v122, 0xf000, v122
	v_add_u16_e32 v4, 0xf000, v4
	v_perm_b32 v4, v4, v122, s24
	v_and_b32_sdwa v122, v3, s21 dst_sel:DWORD dst_unused:UNUSED_PAD src0_sel:WORD_1 src1_sel:DWORD
	v_lshlrev_b16_sdwa v3, v121, v3 dst_sel:DWORD dst_unused:UNUSED_PAD src0_sel:DWORD src1_sel:WORD_1
	v_add_u16_e32 v122, 0xf000, v122
	v_add_u16_e32 v3, 0xf000, v3
	v_perm_b32 v3, v3, v122, s24
	v_lshl_or_b32 v4, v3, 16, v4
	v_lshrrev_b32_e32 v3, 4, v130
	v_lshrrev_b32_e32 v122, 12, v2
	;; [unrolled: 1-line block ×3, first 2 shown]
	v_and_b32_e32 v3, 0xf0f0f0f, v3
	v_and_b32_e32 v122, 16, v122
	;; [unrolled: 1-line block ×3, first 2 shown]
	v_or3_b32 v124, v122, v3, v123
	v_lshlrev_b32_e32 v122, 2, v2
	v_lshlrev_b32_e32 v2, 9, v2
	v_and_b32_e32 v122, 0x100000, v122
	v_and_b32_e32 v2, 0x10000000, v2
	v_or3_b32 v125, v3, v122, v2
	v_add_co_u32_e32 v2, vcc, s8, v103
	v_addc_co_u32_e32 v3, vcc, v104, v1, vcc
	v_add_co_u32_e32 v122, vcc, s8, v105
	v_addc_co_u32_e32 v123, vcc, v106, v1, vcc
	v_and_b32_sdwa v126, v125, s21 dst_sel:DWORD dst_unused:UNUSED_PAD src0_sel:WORD_1 src1_sel:DWORD
	global_load_dword v122, v[122:123], off
	s_nop 0
	global_load_dword v123, v[2:3], off
	v_lshlrev_b16_sdwa v3, v121, v125 dst_sel:DWORD dst_unused:UNUSED_PAD src0_sel:DWORD src1_sel:WORD_1
	v_add_u16_e32 v2, 0xf000, v126
	v_add_u16_e32 v3, 0xf000, v3
	v_perm_b32 v2, v3, v2, s24
	v_and_b32_e32 v3, 0x1f00, v124
	v_lshlrev_b16_e32 v124, 8, v124
	v_add_u16_e32 v124, 0xf000, v124
	v_or_b32_sdwa v3, v3, v124 dst_sel:DWORD dst_unused:UNUSED_PAD src0_sel:DWORD src1_sel:BYTE_1
	v_add_u16_e32 v3, 0xf000, v3
	v_lshl_or_b32 v2, v2, 16, v3
	ds_write2_b32 v18, v4, v2 offset1:1
	s_waitcnt vmcnt(3)
	v_ashrrev_i32_e32 v4, v28, v127
	v_lshlrev_b32_e32 v3, 4, v4
	v_lshlrev_b32_e32 v124, 11, v4
	s_waitcnt vmcnt(2)
	v_and_b32_e32 v2, 0xf0f0f0f, v128
	v_and_b32_e32 v3, 16, v3
	;; [unrolled: 1-line block ×3, first 2 shown]
	v_or3_b32 v3, v3, v2, v124
	v_lshlrev_b32_e32 v124, 18, v4
	v_lshlrev_b32_e32 v125, 25, v4
	v_and_b32_e32 v124, 0x100000, v124
	v_and_b32_e32 v125, 0x10000000, v125
	v_or3_b32 v2, v2, v124, v125
	v_and_b32_e32 v124, 0x1f00, v3
	v_lshlrev_b16_e32 v3, 8, v3
	v_add_u16_e32 v124, 0xf000, v124
	v_add_u16_e32 v3, 0xf000, v3
	v_perm_b32 v124, v3, v124, s24
	v_and_b32_sdwa v3, v2, s21 dst_sel:DWORD dst_unused:UNUSED_PAD src0_sel:WORD_1 src1_sel:DWORD
	v_lshlrev_b16_sdwa v126, v121, v2 dst_sel:DWORD dst_unused:UNUSED_PAD src0_sel:DWORD src1_sel:WORD_1
	v_add_co_u32_e32 v2, vcc, s8, v108
	v_add_u16_e32 v125, 0xf000, v3
	v_addc_co_u32_e32 v3, vcc, v109, v1, vcc
	global_load_ushort v127, v[2:3], off
	v_add_co_u32_e32 v2, vcc, s8, v110
	v_addc_co_u32_e32 v3, vcc, v111, v1, vcc
	global_load_ushort v129, v[2:3], off
	v_add_co_u32_e32 v2, vcc, s8, v113
	v_addc_co_u32_e32 v3, vcc, v114, v1, vcc
	global_load_ushort v130, v[2:3], off
	v_add_co_u32_e32 v2, vcc, s8, v115
	v_addc_co_u32_e32 v3, vcc, v116, v1, vcc
	global_load_ushort v1, v[2:3], off
	v_add_u16_e32 v2, 0xf000, v126
	v_perm_b32 v2, v2, v125, s24
	v_lshl_or_b32 v2, v2, 16, v124
	v_lshrrev_b32_e32 v3, 4, v128
	v_lshrrev_b32_e32 v124, 12, v4
	;; [unrolled: 1-line block ×3, first 2 shown]
	v_and_b32_e32 v3, 0xf0f0f0f, v3
	v_and_b32_e32 v124, 16, v124
	v_and_b32_e32 v125, 0x1000, v125
	v_or3_b32 v124, v124, v3, v125
	v_lshlrev_b32_e32 v125, 2, v4
	v_lshlrev_b32_e32 v4, 9, v4
	v_and_b32_e32 v125, 0x100000, v125
	v_and_b32_e32 v4, 0x10000000, v4
	v_or3_b32 v3, v3, v125, v4
	v_and_b32_sdwa v4, v3, s21 dst_sel:DWORD dst_unused:UNUSED_PAD src0_sel:WORD_1 src1_sel:DWORD
	v_lshlrev_b16_sdwa v3, v121, v3 dst_sel:DWORD dst_unused:UNUSED_PAD src0_sel:DWORD src1_sel:WORD_1
	v_add_u16_e32 v4, 0xf000, v4
	v_add_u16_e32 v3, 0xf000, v3
	v_perm_b32 v3, v3, v4, s24
	v_and_b32_e32 v4, 0x1f00, v124
	v_lshlrev_b16_e32 v124, 8, v124
	v_add_u16_e32 v124, 0xf000, v124
	v_or_b32_sdwa v4, v4, v124 dst_sel:DWORD dst_unused:UNUSED_PAD src0_sel:DWORD src1_sel:BYTE_1
	v_add_u16_e32 v4, 0xf000, v4
	v_lshl_or_b32 v3, v3, 16, v4
	ds_write2_b32 v19, v2, v3 offset1:1
	s_waitcnt vmcnt(5)
	v_ashrrev_i32_e32 v2, v28, v122
	v_lshlrev_b32_e32 v4, 4, v2
	v_lshlrev_b32_e32 v122, 11, v2
	s_waitcnt vmcnt(4)
	v_and_b32_e32 v3, 0xf0f0f0f, v123
	v_and_b32_e32 v4, 16, v4
	;; [unrolled: 1-line block ×3, first 2 shown]
	v_or3_b32 v4, v4, v3, v122
	v_lshlrev_b32_e32 v122, 18, v2
	v_lshlrev_b32_e32 v124, 25, v2
	v_and_b32_e32 v122, 0x100000, v122
	v_and_b32_e32 v124, 0x10000000, v124
	v_or3_b32 v3, v3, v122, v124
	v_and_b32_e32 v122, 0x1f00, v4
	v_lshlrev_b16_e32 v4, 8, v4
	v_add_u16_e32 v122, 0xf000, v122
	v_add_u16_e32 v4, 0xf000, v4
	v_perm_b32 v4, v4, v122, s24
	v_and_b32_sdwa v122, v3, s21 dst_sel:DWORD dst_unused:UNUSED_PAD src0_sel:WORD_1 src1_sel:DWORD
	v_lshlrev_b16_sdwa v3, v121, v3 dst_sel:DWORD dst_unused:UNUSED_PAD src0_sel:DWORD src1_sel:WORD_1
	v_add_u16_e32 v122, 0xf000, v122
	v_add_u16_e32 v3, 0xf000, v3
	v_perm_b32 v3, v3, v122, s24
	v_lshl_or_b32 v3, v3, 16, v4
	v_lshrrev_b32_e32 v4, 4, v123
	v_lshrrev_b32_e32 v122, 12, v2
	;; [unrolled: 1-line block ×3, first 2 shown]
	v_and_b32_e32 v4, 0xf0f0f0f, v4
	v_and_b32_e32 v122, 16, v122
	;; [unrolled: 1-line block ×3, first 2 shown]
	v_or3_b32 v122, v122, v4, v123
	v_lshlrev_b32_e32 v123, 2, v2
	v_lshlrev_b32_e32 v2, 9, v2
	v_and_b32_e32 v123, 0x100000, v123
	v_and_b32_e32 v2, 0x10000000, v2
	v_or3_b32 v2, v4, v123, v2
	v_and_b32_sdwa v4, v2, s21 dst_sel:DWORD dst_unused:UNUSED_PAD src0_sel:WORD_1 src1_sel:DWORD
	v_lshlrev_b16_sdwa v2, v121, v2 dst_sel:DWORD dst_unused:UNUSED_PAD src0_sel:DWORD src1_sel:WORD_1
	v_add_u16_e32 v4, 0xf000, v4
	v_add_u16_e32 v2, 0xf000, v2
	v_perm_b32 v2, v2, v4, s24
	v_and_b32_e32 v4, 0x1f00, v122
	v_lshlrev_b16_e32 v122, 8, v122
	v_add_u16_e32 v122, 0xf000, v122
	v_or_b32_sdwa v4, v4, v122 dst_sel:DWORD dst_unused:UNUSED_PAD src0_sel:DWORD src1_sel:BYTE_1
	v_add_u16_e32 v4, 0xf000, v4
	v_lshl_or_b32 v2, v2, 16, v4
	s_waitcnt vmcnt(3)
	v_cvt_f32_f16_e32 v4, v127
	ds_write2_b32 v20, v3, v2 offset1:1
	s_waitcnt vmcnt(1)
	v_cvt_f32_f16_e32 v2, v130
	v_cvt_f32_f16_e32 v122, v129
	ds_write_b32 v117, v4
	ds_write_b32 v118, v122
	s_waitcnt vmcnt(0)
	v_cvt_f32_f16_e32 v1, v1
	ds_write_b32 v119, v2
	ds_write_b32 v120, v1
	s_cbranch_scc0 .LBB222_5
; %bb.7:                                ;   in Loop: Header=BB222_6 Depth=1
	v_add_u32_e32 v1, s10, v29
	v_cmp_gt_i32_e32 vcc, s12, v1
	s_and_b64 s[26:27], s[2:3], vcc
	s_and_saveexec_b64 s[4:5], s[26:27]
	s_cbranch_execz .LBB222_9
; %bb.8:                                ;   in Loop: Header=BB222_6 Depth=1
	v_add_u32_e32 v1, s10, v41
	v_mad_i64_i32 v[1:2], s[26:27], v1, 36, v[21:22]
	global_load_dword v1, v[1:2], off offset:4
	s_waitcnt vmcnt(0)
	ds_write_b32 v31, v1
.LBB222_9:                              ;   in Loop: Header=BB222_6 Depth=1
	s_or_b64 exec, exec, s[4:5]
	v_add_u32_e32 v122, s10, v0
	v_cmp_gt_i32_e32 vcc, s12, v122
	s_and_b64 s[26:27], s[18:19], vcc
	s_and_saveexec_b64 s[4:5], s[26:27]
	s_cbranch_execz .LBB222_11
; %bb.10:                               ;   in Loop: Header=BB222_6 Depth=1
	v_add_u32_e32 v1, s10, v42
	v_mad_i64_i32 v[1:2], s[26:27], v1, 36, s[6:7]
	global_load_dword v1, v[1:2], off
	s_waitcnt vmcnt(0)
	v_cvt_f32_f16_e32 v1, v1
	ds_write_b32 v33, v1
.LBB222_11:                             ;   in Loop: Header=BB222_6 Depth=1
	s_or_b64 exec, exec, s[4:5]
	s_waitcnt lgkmcnt(0)
	s_barrier
	ds_read_b128 v[1:4], v32
	ds_read2_b32 v[139:140], v34 offset1:1
	ds_read_b128 v[123:126], v30
	ds_read_b128 v[127:130], v30 offset:16
	ds_read_b128 v[131:134], v30 offset:32
	;; [unrolled: 1-line block ×3, first 2 shown]
	ds_read2_b32 v[141:142], v35 offset1:1
	ds_read2_b32 v[143:144], v34 offset0:2 offset1:3
	s_waitcnt lgkmcnt(5)
	v_dot4_i32_i8 v139, v139, v123, 0
	s_waitcnt lgkmcnt(4)
	v_dot4_i32_i8 v149, v140, v127, v139
	ds_read2_b32 v[139:140], v34 offset0:4 offset1:5
	ds_read2_b32 v[145:146], v34 offset0:6 offset1:7
	ds_read2_b32 v[147:148], v34 offset0:8 offset1:9
	s_waitcnt lgkmcnt(4)
	v_mul_f32_e32 v141, v1, v141
	s_waitcnt lgkmcnt(3)
	v_dot4_i32_i8 v143, v143, v124, v149
	v_dot4_i32_i8 v143, v144, v128, v143
	s_waitcnt lgkmcnt(2)
	v_dot4_i32_i8 v139, v139, v125, v143
	v_dot4_i32_i8 v139, v140, v129, v139
	;; [unrolled: 3-line block ×3, first 2 shown]
	v_add_u32_e32 v149, 0x2080, v34
	v_cvt_f32_i32_e32 v151, v139
	ds_read2_b32 v[139:140], v34 offset0:26 offset1:27
	ds_read2_b32 v[143:144], v34 offset0:28 offset1:29
	;; [unrolled: 1-line block ×3, first 2 shown]
	ds_read2_b32 v[149:150], v149 offset1:1
	v_add_u32_e32 v157, 0x2090, v34
	v_fmac_f32_e32 v27, v141, v151
	ds_read2_b32 v[151:152], v36 offset1:1
	ds_read2_b32 v[153:154], v38 offset1:1
	ds_read2_b32 v[155:156], v38 offset0:2 offset1:3
	v_add_u32_e32 v159, 0x2098, v34
	s_waitcnt lgkmcnt(3)
	v_dot4_i32_i8 v141, v149, v123, 0
	v_add_u32_e32 v149, 0x2088, v34
	v_dot4_i32_i8 v141, v150, v127, v141
	ds_read2_b32 v[149:150], v149 offset1:1
	v_add_u32_e32 v161, 0x4100, v34
	ds_read2_b32 v[157:158], v157 offset1:1
	ds_read2_b32 v[159:160], v159 offset1:1
	;; [unrolled: 1-line block ×3, first 2 shown]
	s_waitcnt lgkmcnt(6)
	v_mul_f32_e32 v151, v1, v151
	v_add_u32_e32 v165, 0x4118, v34
	s_waitcnt lgkmcnt(3)
	v_dot4_i32_i8 v141, v149, v124, v141
	v_dot4_i32_i8 v141, v150, v128, v141
	s_waitcnt lgkmcnt(2)
	v_dot4_i32_i8 v141, v157, v125, v141
	v_dot4_i32_i8 v141, v158, v129, v141
	;; [unrolled: 3-line block ×3, first 2 shown]
	v_cvt_f32_i32_e32 v141, v141
	ds_read2_b32 v[149:150], v37 offset1:1
	ds_read2_b32 v[157:158], v36 offset0:2 offset1:3
	ds_read2_b32 v[159:160], v35 offset0:2 offset1:3
	v_add_u32_e32 v167, 0x6180, v34
	s_cmp_ge_i32 s20, s9
	v_fmac_f32_e32 v112, v151, v141
	s_waitcnt lgkmcnt(3)
	v_dot4_i32_i8 v141, v161, v123, 0
	v_add_u32_e32 v151, 0x4108, v34
	v_dot4_i32_i8 v141, v162, v127, v141
	ds_read2_b32 v[161:162], v151 offset1:1
	v_add_u32_e32 v151, 0x4110, v34
	ds_read2_b32 v[163:164], v151 offset1:1
	ds_read2_b32 v[165:166], v165 offset1:1
	;; [unrolled: 1-line block ×3, first 2 shown]
	v_add_u32_e32 v151, 0x6198, v34
	s_waitcnt lgkmcnt(6)
	v_mul_f32_e32 v149, v1, v149
	s_waitcnt lgkmcnt(3)
	v_dot4_i32_i8 v141, v161, v124, v141
	v_dot4_i32_i8 v141, v162, v128, v141
	s_waitcnt lgkmcnt(0)
	v_dot4_i32_i8 v123, v167, v123, 0
	v_dot4_i32_i8 v123, v168, v127, v123
	v_add_u32_e32 v127, 0x6188, v34
	ds_read2_b32 v[161:162], v127 offset1:1
	v_dot4_i32_i8 v141, v163, v125, v141
	v_dot4_i32_i8 v141, v164, v129, v141
	;; [unrolled: 1-line block ×3, first 2 shown]
	v_add_u32_e32 v127, 0x6190, v34
	v_add_u32_e32 v167, 0x20a0, v34
	v_dot4_i32_i8 v141, v166, v130, v141
	ds_read2_b32 v[163:164], v127 offset1:1
	ds_read2_b32 v[165:166], v151 offset1:1
	;; [unrolled: 1-line block ×3, first 2 shown]
	s_waitcnt lgkmcnt(3)
	v_dot4_i32_i8 v123, v161, v124, v123
	v_dot4_i32_i8 v123, v162, v128, v123
	s_waitcnt lgkmcnt(2)
	v_dot4_i32_i8 v123, v163, v125, v123
	v_dot4_i32_i8 v123, v164, v129, v123
	;; [unrolled: 3-line block ×3, first 2 shown]
	v_cvt_f32_i32_e32 v123, v123
	v_mul_f32_e32 v1, v1, v153
	ds_read2_b32 v[161:162], v37 offset0:2 offset1:3
	v_cvt_f32_i32_e32 v141, v141
	v_fmac_f32_e32 v25, v1, v123
	ds_read2_b32 v[123:124], v34 offset0:10 offset1:11
	v_dot4_i32_i8 v1, v147, v131, 0
	v_dot4_i32_i8 v1, v148, v135, v1
	ds_read2_b32 v[125:126], v34 offset0:12 offset1:13
	ds_read2_b32 v[127:128], v34 offset0:14 offset1:15
	;; [unrolled: 1-line block ×3, first 2 shown]
	v_fmac_f32_e32 v107, v149, v141
	s_waitcnt lgkmcnt(3)
	v_dot4_i32_i8 v1, v123, v132, v1
	v_dot4_i32_i8 v123, v167, v131, 0
	;; [unrolled: 1-line block ×3, first 2 shown]
	v_add_u32_e32 v123, 0x20a8, v34
	v_dot4_i32_i8 v1, v124, v136, v1
	ds_read2_b32 v[123:124], v123 offset1:1
	s_waitcnt lgkmcnt(3)
	v_dot4_i32_i8 v1, v125, v133, v1
	v_dot4_i32_i8 v1, v126, v137, v1
	s_waitcnt lgkmcnt(2)
	v_dot4_i32_i8 v1, v127, v134, v1
	v_add_u32_e32 v125, 0x20b0, v34
	v_add_u32_e32 v127, 0x20b8, v34
	;; [unrolled: 1-line block ×3, first 2 shown]
	v_dot4_i32_i8 v1, v128, v138, v1
	ds_read2_b32 v[125:126], v125 offset1:1
	ds_read2_b32 v[127:128], v127 offset1:1
	;; [unrolled: 1-line block ×3, first 2 shown]
	s_waitcnt lgkmcnt(3)
	v_dot4_i32_i8 v123, v123, v132, v141
	v_dot4_i32_i8 v123, v124, v136, v123
	s_waitcnt lgkmcnt(2)
	v_dot4_i32_i8 v123, v125, v133, v123
	v_dot4_i32_i8 v123, v126, v137, v123
	s_waitcnt lgkmcnt(1)
	v_dot4_i32_i8 v123, v127, v134, v123
	v_cvt_f32_i32_e32 v1, v1
	v_dot4_i32_i8 v123, v128, v138, v123
	v_cvt_f32_i32_e32 v123, v123
	v_mul_f32_e32 v124, v2, v142
	v_fmac_f32_e32 v27, v124, v1
	v_mul_f32_e32 v1, v2, v152
	v_fmac_f32_e32 v112, v1, v123
	s_waitcnt lgkmcnt(0)
	v_dot4_i32_i8 v1, v129, v131, 0
	v_add_u32_e32 v123, 0x4128, v34
	v_add_u32_e32 v125, 0x4130, v34
	;; [unrolled: 1-line block ×4, first 2 shown]
	v_dot4_i32_i8 v1, v130, v135, v1
	ds_read2_b32 v[123:124], v123 offset1:1
	ds_read2_b32 v[125:126], v125 offset1:1
	;; [unrolled: 1-line block ×4, first 2 shown]
	v_mul_f32_e32 v149, v2, v150
	s_waitcnt lgkmcnt(3)
	v_dot4_i32_i8 v1, v123, v132, v1
	s_waitcnt lgkmcnt(0)
	v_dot4_i32_i8 v123, v129, v131, 0
	v_dot4_i32_i8 v129, v130, v135, v123
	v_add_u32_e32 v123, 0x61a8, v34
	v_dot4_i32_i8 v1, v124, v136, v1
	ds_read2_b32 v[123:124], v123 offset1:1
	v_dot4_i32_i8 v1, v125, v133, v1
	v_dot4_i32_i8 v1, v126, v137, v1
	;; [unrolled: 1-line block ×3, first 2 shown]
	v_add_u32_e32 v125, 0x61b0, v34
	v_add_u32_e32 v127, 0x61b8, v34
	v_dot4_i32_i8 v1, v128, v138, v1
	v_add_u32_e32 v130, 0x20c0, v34
	ds_read2_b32 v[125:126], v125 offset1:1
	ds_read2_b32 v[127:128], v127 offset1:1
	;; [unrolled: 1-line block ×3, first 2 shown]
	s_waitcnt lgkmcnt(3)
	v_dot4_i32_i8 v123, v123, v132, v129
	v_dot4_i32_i8 v123, v124, v136, v123
	s_waitcnt lgkmcnt(2)
	v_dot4_i32_i8 v123, v125, v133, v123
	v_dot4_i32_i8 v123, v126, v137, v123
	s_waitcnt lgkmcnt(1)
	v_dot4_i32_i8 v123, v127, v134, v123
	v_cvt_f32_i32_e32 v1, v1
	v_dot4_i32_i8 v123, v128, v138, v123
	v_cvt_f32_i32_e32 v131, v123
	ds_read_b128 v[123:126], v30 offset:64
	ds_read_b128 v[127:130], v30 offset:80
	v_fmac_f32_e32 v107, v149, v1
	v_mul_f32_e32 v1, v2, v154
	v_fmac_f32_e32 v25, v1, v131
	ds_read2_b32 v[1:2], v34 offset0:18 offset1:19
	s_waitcnt lgkmcnt(2)
	v_dot4_i32_i8 v131, v147, v123, 0
	s_waitcnt lgkmcnt(1)
	v_dot4_i32_i8 v137, v148, v127, v131
	ds_read2_b32 v[131:132], v34 offset0:20 offset1:21
	ds_read2_b32 v[133:134], v34 offset0:22 offset1:23
	;; [unrolled: 1-line block ×3, first 2 shown]
	s_waitcnt lgkmcnt(3)
	v_dot4_i32_i8 v1, v1, v124, v137
	v_dot4_i32_i8 v1, v2, v128, v1
	s_waitcnt lgkmcnt(2)
	v_dot4_i32_i8 v1, v131, v125, v1
	v_dot4_i32_i8 v1, v132, v129, v1
	;; [unrolled: 3-line block ×3, first 2 shown]
	v_cvt_f32_i32_e32 v147, v1
	v_dot4_i32_i8 v1, v141, v123, 0
	v_dot4_i32_i8 v141, v142, v127, v1
	v_add_u32_e32 v1, 0x20c8, v34
	ds_read2_b32 v[1:2], v1 offset1:1
	v_add_u32_e32 v131, 0x20d0, v34
	v_add_u32_e32 v133, 0x20d8, v34
	;; [unrolled: 1-line block ×3, first 2 shown]
	ds_read2_b32 v[131:132], v131 offset1:1
	ds_read2_b32 v[133:134], v133 offset1:1
	;; [unrolled: 1-line block ×3, first 2 shown]
	s_waitcnt lgkmcnt(3)
	v_dot4_i32_i8 v1, v1, v124, v141
	v_dot4_i32_i8 v1, v2, v128, v1
	s_waitcnt lgkmcnt(2)
	v_dot4_i32_i8 v1, v131, v125, v1
	v_dot4_i32_i8 v1, v132, v129, v1
	;; [unrolled: 3-line block ×3, first 2 shown]
	v_cvt_f32_i32_e32 v1, v1
	v_mul_f32_e32 v2, v3, v159
	v_fmac_f32_e32 v27, v2, v147
	v_mul_f32_e32 v2, v3, v157
	v_fmac_f32_e32 v112, v2, v1
	s_waitcnt lgkmcnt(0)
	v_dot4_i32_i8 v1, v137, v123, 0
	v_dot4_i32_i8 v141, v138, v127, v1
	v_add_u32_e32 v1, 0x4148, v34
	ds_read2_b32 v[1:2], v1 offset1:1
	v_add_u32_e32 v131, 0x4150, v34
	v_add_u32_e32 v133, 0x4158, v34
	;; [unrolled: 1-line block ×3, first 2 shown]
	ds_read2_b32 v[131:132], v131 offset1:1
	ds_read2_b32 v[133:134], v133 offset1:1
	;; [unrolled: 1-line block ×3, first 2 shown]
	s_waitcnt lgkmcnt(3)
	v_dot4_i32_i8 v1, v1, v124, v141
	v_dot4_i32_i8 v1, v2, v128, v1
	s_waitcnt lgkmcnt(2)
	v_dot4_i32_i8 v1, v131, v125, v1
	v_dot4_i32_i8 v1, v132, v129, v1
	s_waitcnt lgkmcnt(1)
	v_dot4_i32_i8 v1, v133, v126, v1
	v_dot4_i32_i8 v1, v134, v130, v1
	v_cvt_f32_i32_e32 v142, v1
	s_waitcnt lgkmcnt(0)
	v_dot4_i32_i8 v1, v137, v123, 0
	v_dot4_i32_i8 v123, v138, v127, v1
	v_add_u32_e32 v1, 0x61c8, v34
	ds_read2_b32 v[1:2], v1 offset1:1
	v_add_u32_e32 v127, 0x61d0, v34
	v_add_u32_e32 v133, 0x61d8, v34
	;; [unrolled: 1-line block ×3, first 2 shown]
	ds_read2_b32 v[131:132], v127 offset1:1
	ds_read2_b32 v[133:134], v133 offset1:1
	;; [unrolled: 1-line block ×3, first 2 shown]
	s_waitcnt lgkmcnt(3)
	v_dot4_i32_i8 v1, v1, v124, v123
	v_dot4_i32_i8 v1, v2, v128, v1
	s_waitcnt lgkmcnt(2)
	v_dot4_i32_i8 v1, v131, v125, v1
	v_dot4_i32_i8 v1, v132, v129, v1
	s_waitcnt lgkmcnt(1)
	v_dot4_i32_i8 v1, v133, v126, v1
	v_dot4_i32_i8 v1, v134, v130, v1
	v_cvt_f32_i32_e32 v1, v1
	ds_read_b128 v[123:126], v30 offset:96
	ds_read_b128 v[127:130], v30 offset:112
	v_mul_f32_e32 v2, v3, v155
	v_mul_f32_e32 v141, v3, v161
	v_fmac_f32_e32 v25, v2, v1
	s_waitcnt lgkmcnt(1)
	v_dot4_i32_i8 v1, v135, v123, 0
	s_waitcnt lgkmcnt(0)
	v_dot4_i32_i8 v1, v136, v127, v1
	v_dot4_i32_i8 v1, v139, v124, v1
	v_dot4_i32_i8 v1, v140, v128, v1
	v_dot4_i32_i8 v1, v143, v125, v1
	v_dot4_i32_i8 v1, v144, v129, v1
	v_dot4_i32_i8 v1, v145, v126, v1
	v_dot4_i32_i8 v1, v146, v130, v1
	v_cvt_f32_i32_e32 v3, v1
	v_dot4_i32_i8 v1, v137, v123, 0
	v_dot4_i32_i8 v137, v138, v127, v1
	v_add_u32_e32 v1, 0x20e8, v34
	ds_read2_b32 v[1:2], v1 offset1:1
	v_add_u32_e32 v131, 0x20f0, v34
	v_add_u32_e32 v133, 0x20f8, v34
	;; [unrolled: 1-line block ×3, first 2 shown]
	ds_read2_b32 v[131:132], v131 offset1:1
	ds_read2_b32 v[133:134], v133 offset1:1
	;; [unrolled: 1-line block ×3, first 2 shown]
	s_waitcnt lgkmcnt(3)
	v_dot4_i32_i8 v1, v1, v124, v137
	v_dot4_i32_i8 v1, v2, v128, v1
	s_waitcnt lgkmcnt(2)
	v_dot4_i32_i8 v1, v131, v125, v1
	v_dot4_i32_i8 v1, v132, v129, v1
	s_waitcnt lgkmcnt(1)
	v_dot4_i32_i8 v1, v133, v126, v1
	v_dot4_i32_i8 v1, v134, v130, v1
	v_cvt_f32_i32_e32 v1, v1
	v_mul_f32_e32 v2, v4, v160
	v_fmac_f32_e32 v27, v2, v3
	v_mul_f32_e32 v2, v4, v158
	v_fmac_f32_e32 v112, v2, v1
	s_waitcnt lgkmcnt(0)
	v_dot4_i32_i8 v1, v135, v123, 0
	v_dot4_i32_i8 v3, v136, v127, v1
	v_add_u32_e32 v1, 0x4168, v34
	ds_read2_b32 v[1:2], v1 offset1:1
	v_add_u32_e32 v131, 0x4170, v34
	v_add_u32_e32 v133, 0x4178, v34
	v_add_u32_e32 v135, 0x61e0, v34
	ds_read2_b32 v[131:132], v131 offset1:1
	ds_read2_b32 v[133:134], v133 offset1:1
	;; [unrolled: 1-line block ×3, first 2 shown]
	s_waitcnt lgkmcnt(3)
	v_dot4_i32_i8 v1, v1, v124, v3
	v_dot4_i32_i8 v1, v2, v128, v1
	s_waitcnt lgkmcnt(2)
	v_dot4_i32_i8 v1, v131, v125, v1
	v_dot4_i32_i8 v1, v132, v129, v1
	;; [unrolled: 3-line block ×3, first 2 shown]
	v_cvt_f32_i32_e32 v3, v1
	s_waitcnt lgkmcnt(0)
	v_dot4_i32_i8 v1, v135, v123, 0
	v_dot4_i32_i8 v123, v136, v127, v1
	v_add_u32_e32 v1, 0x61e8, v34
	ds_read2_b32 v[1:2], v1 offset1:1
	v_add_u32_e32 v127, 0x61f0, v34
	ds_read2_b32 v[131:132], v127 offset1:1
	;; [unrolled: 2-line block ×3, first 2 shown]
	s_waitcnt lgkmcnt(2)
	v_dot4_i32_i8 v1, v1, v124, v123
	v_dot4_i32_i8 v1, v2, v128, v1
	s_waitcnt lgkmcnt(1)
	v_dot4_i32_i8 v1, v131, v125, v1
	v_dot4_i32_i8 v1, v132, v129, v1
	;; [unrolled: 3-line block ×3, first 2 shown]
	v_cvt_f32_i32_e32 v1, v1
	v_fmac_f32_e32 v107, v141, v142
	v_mul_f32_e32 v2, v4, v162
	v_fmac_f32_e32 v107, v2, v3
	v_mul_f32_e32 v2, v4, v156
	v_fmac_f32_e32 v25, v2, v1
	s_barrier
	s_cbranch_scc1 .LBB222_5
; %bb.12:                               ;   in Loop: Header=BB222_6 Depth=1
	v_add_u32_e32 v1, s10, v39
	v_cmp_gt_i32_e32 vcc, s12, v1
	s_and_b64 s[26:27], s[2:3], vcc
	s_and_saveexec_b64 s[4:5], s[26:27]
	s_cbranch_execz .LBB222_14
; %bb.13:                               ;   in Loop: Header=BB222_6 Depth=1
	v_add_u32_e32 v1, s10, v40
	v_mad_i64_i32 v[1:2], s[26:27], v1, 36, v[21:22]
	global_load_dword v1, v[1:2], off offset:4
	s_waitcnt vmcnt(0)
	ds_write_b32 v31, v1
.LBB222_14:                             ;   in Loop: Header=BB222_6 Depth=1
	s_or_b64 exec, exec, s[4:5]
	s_and_saveexec_b64 s[4:5], s[0:1]
	s_cbranch_execz .LBB222_4
; %bb.15:                               ;   in Loop: Header=BB222_6 Depth=1
	v_add_u32_e32 v1, 4, v122
	v_cmp_gt_i32_e32 vcc, s12, v1
	s_and_b64 s[26:27], s[2:3], vcc
	s_and_b64 exec, exec, s[26:27]
	s_cbranch_execz .LBB222_4
; %bb.16:                               ;   in Loop: Header=BB222_6 Depth=1
	global_load_dword v1, v[23:24], off
	s_waitcnt vmcnt(0)
	v_cvt_f32_f16_e32 v1, v1
	ds_write_b32 v33, v1
	s_branch .LBB222_4
.LBB222_17:
	s_mul_i32 s0, s14, s11
	s_waitcnt vmcnt(0)
	v_cmp_gt_i32_e32 vcc, s0, v26
	s_and_saveexec_b64 s[0:1], vcc
	s_cbranch_execz .LBB222_26
; %bb.18:
	v_mul_lo_u32 v1, v26, s13
	v_add_u32_e32 v0, s15, v0
	v_cmp_gt_u32_e32 vcc, s13, v0
	s_and_saveexec_b64 s[0:1], vcc
	s_cbranch_execz .LBB222_20
; %bb.19:
	v_bfe_u32 v2, v27, 16, 1
	s_movk_i32 s2, 0x7fff
	v_add3_u32 v2, v27, v2, s2
	v_cmp_o_f32_e32 vcc, v27, v27
	v_mov_b32_e32 v3, 0x7fc0
	v_cndmask_b32_sdwa v4, v3, v2, vcc dst_sel:DWORD dst_unused:UNUSED_PAD src0_sel:DWORD src1_sel:WORD_1
	v_add_u32_e32 v2, v1, v0
	v_mov_b32_e32 v3, 0
	v_lshlrev_b64 v[2:3], 1, v[2:3]
	v_mov_b32_e32 v5, s17
	v_add_co_u32_e32 v2, vcc, s16, v2
	v_addc_co_u32_e32 v3, vcc, v5, v3, vcc
	global_store_short v[2:3], v4, off
.LBB222_20:
	s_or_b64 exec, exec, s[0:1]
	v_add_u32_e32 v2, 32, v0
	v_cmp_gt_u32_e32 vcc, s13, v2
	s_and_saveexec_b64 s[0:1], vcc
	s_cbranch_execz .LBB222_22
; %bb.21:
	v_bfe_u32 v3, v112, 16, 1
	s_movk_i32 s2, 0x7fff
	v_add3_u32 v3, v112, v3, s2
	v_cmp_o_f32_e32 vcc, v112, v112
	v_mov_b32_e32 v4, 0x7fc0
	v_cndmask_b32_sdwa v4, v4, v3, vcc dst_sel:DWORD dst_unused:UNUSED_PAD src0_sel:DWORD src1_sel:WORD_1
	v_add_u32_e32 v2, v1, v2
	v_mov_b32_e32 v3, 0
	v_lshlrev_b64 v[2:3], 1, v[2:3]
	v_mov_b32_e32 v5, s17
	v_add_co_u32_e32 v2, vcc, s16, v2
	v_addc_co_u32_e32 v3, vcc, v5, v3, vcc
	global_store_short v[2:3], v4, off
.LBB222_22:
	s_or_b64 exec, exec, s[0:1]
	;; [unrolled: 20-line block ×3, first 2 shown]
	v_add_u32_e32 v0, 0x60, v0
	v_cmp_gt_u32_e32 vcc, s13, v0
	s_and_b64 exec, exec, vcc
	s_cbranch_execz .LBB222_26
; %bb.25:
	v_add_u32_e32 v0, v1, v0
	v_mov_b32_e32 v1, 0
	v_bfe_u32 v2, v25, 16, 1
	s_movk_i32 s0, 0x7fff
	v_lshlrev_b64 v[0:1], 1, v[0:1]
	v_add3_u32 v2, v25, v2, s0
	v_cmp_o_f32_e32 vcc, v25, v25
	v_mov_b32_e32 v3, 0x7fc0
	v_cndmask_b32_sdwa v2, v3, v2, vcc dst_sel:DWORD dst_unused:UNUSED_PAD src0_sel:DWORD src1_sel:WORD_1
	v_mov_b32_e32 v3, s17
	v_add_co_u32_e32 v0, vcc, s16, v0
	v_addc_co_u32_e32 v1, vcc, v3, v1, vcc
	global_store_short v[0:1], v2, off
.LBB222_26:
	s_endpgm
	.section	.rodata,"a",@progbits
	.p2align	6, 0x0
	.amdhsa_kernel _ZL8moe_q5_0IN3c108BFloat16ELb1EEvPKvS3_PT_PKiS7_S7_iiiiiii
		.amdhsa_group_segment_fixed_size 38656
		.amdhsa_private_segment_fixed_size 0
		.amdhsa_kernarg_size 76
		.amdhsa_user_sgpr_count 6
		.amdhsa_user_sgpr_private_segment_buffer 1
		.amdhsa_user_sgpr_dispatch_ptr 0
		.amdhsa_user_sgpr_queue_ptr 0
		.amdhsa_user_sgpr_kernarg_segment_ptr 1
		.amdhsa_user_sgpr_dispatch_id 0
		.amdhsa_user_sgpr_flat_scratch_init 0
		.amdhsa_user_sgpr_private_segment_size 0
		.amdhsa_uses_dynamic_stack 0
		.amdhsa_system_sgpr_private_segment_wavefront_offset 0
		.amdhsa_system_sgpr_workgroup_id_x 1
		.amdhsa_system_sgpr_workgroup_id_y 1
		.amdhsa_system_sgpr_workgroup_id_z 0
		.amdhsa_system_sgpr_workgroup_info 0
		.amdhsa_system_vgpr_workitem_id 1
		.amdhsa_next_free_vgpr 169
		.amdhsa_next_free_sgpr 98
		.amdhsa_reserve_vcc 1
		.amdhsa_reserve_flat_scratch 0
		.amdhsa_float_round_mode_32 0
		.amdhsa_float_round_mode_16_64 0
		.amdhsa_float_denorm_mode_32 3
		.amdhsa_float_denorm_mode_16_64 3
		.amdhsa_dx10_clamp 1
		.amdhsa_ieee_mode 1
		.amdhsa_fp16_overflow 0
		.amdhsa_exception_fp_ieee_invalid_op 0
		.amdhsa_exception_fp_denorm_src 0
		.amdhsa_exception_fp_ieee_div_zero 0
		.amdhsa_exception_fp_ieee_overflow 0
		.amdhsa_exception_fp_ieee_underflow 0
		.amdhsa_exception_fp_ieee_inexact 0
		.amdhsa_exception_int_div_zero 0
	.end_amdhsa_kernel
	.section	.text._ZL8moe_q5_0IN3c108BFloat16ELb1EEvPKvS3_PT_PKiS7_S7_iiiiiii,"axG",@progbits,_ZL8moe_q5_0IN3c108BFloat16ELb1EEvPKvS3_PT_PKiS7_S7_iiiiiii,comdat
.Lfunc_end222:
	.size	_ZL8moe_q5_0IN3c108BFloat16ELb1EEvPKvS3_PT_PKiS7_S7_iiiiiii, .Lfunc_end222-_ZL8moe_q5_0IN3c108BFloat16ELb1EEvPKvS3_PT_PKiS7_S7_iiiiiii
                                        ; -- End function
	.set _ZL8moe_q5_0IN3c108BFloat16ELb1EEvPKvS3_PT_PKiS7_S7_iiiiiii.num_vgpr, 169
	.set _ZL8moe_q5_0IN3c108BFloat16ELb1EEvPKvS3_PT_PKiS7_S7_iiiiiii.num_agpr, 0
	.set _ZL8moe_q5_0IN3c108BFloat16ELb1EEvPKvS3_PT_PKiS7_S7_iiiiiii.numbered_sgpr, 28
	.set _ZL8moe_q5_0IN3c108BFloat16ELb1EEvPKvS3_PT_PKiS7_S7_iiiiiii.num_named_barrier, 0
	.set _ZL8moe_q5_0IN3c108BFloat16ELb1EEvPKvS3_PT_PKiS7_S7_iiiiiii.private_seg_size, 0
	.set _ZL8moe_q5_0IN3c108BFloat16ELb1EEvPKvS3_PT_PKiS7_S7_iiiiiii.uses_vcc, 1
	.set _ZL8moe_q5_0IN3c108BFloat16ELb1EEvPKvS3_PT_PKiS7_S7_iiiiiii.uses_flat_scratch, 0
	.set _ZL8moe_q5_0IN3c108BFloat16ELb1EEvPKvS3_PT_PKiS7_S7_iiiiiii.has_dyn_sized_stack, 0
	.set _ZL8moe_q5_0IN3c108BFloat16ELb1EEvPKvS3_PT_PKiS7_S7_iiiiiii.has_recursion, 0
	.set _ZL8moe_q5_0IN3c108BFloat16ELb1EEvPKvS3_PT_PKiS7_S7_iiiiiii.has_indirect_call, 0
	.section	.AMDGPU.csdata,"",@progbits
; Kernel info:
; codeLenInByte = 14388
; TotalNumSgprs: 32
; NumVgprs: 169
; ScratchSize: 0
; MemoryBound: 0
; FloatMode: 240
; IeeeMode: 1
; LDSByteSize: 38656 bytes/workgroup (compile time only)
; SGPRBlocks: 12
; VGPRBlocks: 42
; NumSGPRsForWavesPerEU: 102
; NumVGPRsForWavesPerEU: 169
; Occupancy: 1
; WaveLimiterHint : 1
; COMPUTE_PGM_RSRC2:SCRATCH_EN: 0
; COMPUTE_PGM_RSRC2:USER_SGPR: 6
; COMPUTE_PGM_RSRC2:TRAP_HANDLER: 0
; COMPUTE_PGM_RSRC2:TGID_X_EN: 1
; COMPUTE_PGM_RSRC2:TGID_Y_EN: 1
; COMPUTE_PGM_RSRC2:TGID_Z_EN: 0
; COMPUTE_PGM_RSRC2:TIDIG_COMP_CNT: 1
	.section	.text._ZL8moe_q5_1IN3c108BFloat16ELb0EEvPKvS3_PT_PKiS7_S7_iiiiiii,"axG",@progbits,_ZL8moe_q5_1IN3c108BFloat16ELb0EEvPKvS3_PT_PKiS7_S7_iiiiiii,comdat
	.globl	_ZL8moe_q5_1IN3c108BFloat16ELb0EEvPKvS3_PT_PKiS7_S7_iiiiiii ; -- Begin function _ZL8moe_q5_1IN3c108BFloat16ELb0EEvPKvS3_PT_PKiS7_S7_iiiiiii
	.p2align	8
	.type	_ZL8moe_q5_1IN3c108BFloat16ELb0EEvPKvS3_PT_PKiS7_S7_iiiiiii,@function
_ZL8moe_q5_1IN3c108BFloat16ELb0EEvPKvS3_PT_PKiS7_S7_iiiiiii: ; @_ZL8moe_q5_1IN3c108BFloat16ELb0EEvPKvS3_PT_PKiS7_S7_iiiiiii
; %bb.0:
	s_load_dwordx4 s[0:3], s[4:5], 0x18
	s_mov_b32 s8, s7
	s_mov_b32 s9, 0
	s_lshl_b64 s[10:11], s[8:9], 2
	s_waitcnt lgkmcnt(0)
	s_add_u32 s2, s2, s10
	s_addc_u32 s3, s3, s11
	s_load_dword s2, s[2:3], 0x0
	s_waitcnt lgkmcnt(0)
	s_cmpk_gt_u32 s2, 0xff
	s_cbranch_scc1 .LBB223_30
; %bb.1:
	s_load_dwordx2 s[10:11], s[4:5], 0x28
	s_lshl_b32 s3, s8, 3
	s_waitcnt lgkmcnt(0)
	s_load_dword s7, s[10:11], 0x0
	s_waitcnt lgkmcnt(0)
	s_cmp_gt_u32 s3, s7
	s_cbranch_scc1 .LBB223_30
; %bb.2:
	v_add_u32_e32 v2, s3, v1
	v_mov_b32_e32 v3, 0
	v_lshlrev_b64 v[4:5], 2, v[2:3]
	v_mov_b32_e32 v2, s1
	v_add_co_u32_e32 v4, vcc, s0, v4
	v_addc_co_u32_e32 v5, vcc, v2, v5, vcc
	global_load_dword v6, v[4:5], off
	s_load_dwordx2 s[14:15], s[4:5], 0x30
	s_load_dwordx2 s[12:13], s[4:5], 0x10
	s_load_dwordx4 s[8:11], s[4:5], 0x3c
	s_lshl_b32 s18, s6, 7
	v_mov_b32_e32 v48, v3
	s_waitcnt lgkmcnt(0)
	s_cmp_lt_i32 s15, 32
	v_mov_b32_e32 v51, v3
	v_mov_b32_e32 v7, v3
	s_cbranch_scc1 .LBB223_21
; %bb.3:
	s_load_dwordx4 s[4:7], s[4:5], 0x0
	s_ashr_i32 s0, s15, 31
	s_ashr_i32 s1, s9, 31
	s_lshr_b32 s0, s0, 27
	s_lshr_b32 s1, s1, 27
	s_add_i32 s0, s15, s0
	s_add_i32 s1, s9, s1
	s_mul_i32 s2, s2, s14
	s_ashr_i32 s19, s0, 5
	s_ashr_i32 s9, s1, 5
	;; [unrolled: 1-line block ×3, first 2 shown]
	s_waitcnt lgkmcnt(0)
	s_add_u32 s2, s4, s2
	s_mul_i32 s3, s19, s18
	v_mul_lo_u32 v10, s19, v1
	s_addc_u32 s1, s5, s1
	s_mul_hi_i32 s4, s3, 24
	s_mul_i32 s3, s3, 24
	s_add_u32 s14, s2, s3
	s_addc_u32 s20, s1, s4
	s_lshl_b32 s1, s19, 3
	v_add_u32_e32 v12, s1, v10
	v_add_u32_e32 v14, s1, v12
	;; [unrolled: 1-line block ×11, first 2 shown]
	v_lshlrev_b32_e32 v3, 3, v0
	s_movk_i32 s16, 0x104
	v_add_u32_e32 v34, s1, v32
	v_lshrrev_b32_e32 v43, 3, v0
	v_mad_u32_u24 v11, v1, s16, v3
	v_add_u32_e32 v36, s1, v34
	v_lshl_add_u32 v3, v1, 2, v43
	v_add_u32_e32 v38, s1, v36
	v_and_b32_e32 v42, 7, v0
	v_add_u32_e32 v46, 32, v3
	v_add_u32_e32 v40, s1, v38
	v_lshlrev_b32_e32 v5, 2, v42
	s_mov_b32 s1, 0x8200
	v_and_b32_e32 v47, 0xffc, v46
	v_add3_u32 v51, v47, v5, s1
	v_add_u32_e32 v47, 64, v3
	v_mul_lo_u32 v44, s19, v3
	v_and_b32_e32 v4, 0x7fc, v3
	v_lshlrev_b32_e32 v48, 5, v3
	v_and_b32_e32 v49, 0xffc, v47
	v_add_u32_e32 v3, 0x60, v3
	v_add3_u32 v69, v49, v5, s1
	v_and_b32_e32 v49, 0xffc, v3
	s_abs_i32 s2, s11
	v_add3_u32 v4, v4, v5, s1
	v_add3_u32 v5, v49, v5, s1
	v_cvt_f32_u32_e32 v49, s2
	s_andn2_b32 s0, s0, 31
	v_add_u32_e32 v45, s0, v44
	v_lshlrev_b32_e32 v68, 5, v46
	v_rcp_iflag_f32_e32 v52, v49
	v_add_u32_e32 v46, s0, v45
	v_lshlrev_b32_e32 v70, 5, v47
	v_add_u32_e32 v47, s0, v46
	v_mul_f32_e32 v52, 0x4f7ffffe, v52
	v_cvt_u32_f32_e32 v54, v52
	s_sub_i32 s0, 0, s2
	v_mov_b32_e32 v49, 0x9280
	v_mov_b32_e32 v52, 0x9680
	v_mul_lo_u32 v55, s0, v54
	v_lshl_add_u32 v49, v1, 7, v49
	v_lshl_add_u32 v52, v1, 4, v52
	v_lshlrev_b32_e32 v2, 2, v0
	v_mul_hi_u32 v1, v54, v55
	v_and_b32_e32 v9, 12, v2
	v_and_b32_e32 v57, 28, v2
	v_add_u32_e32 v53, v52, v2
	s_waitcnt vmcnt(0)
	v_sub_u32_e32 v2, 0, v6
	v_max_i32_e32 v2, v6, v2
	v_add_u32_e32 v1, v54, v1
	v_mul_hi_u32 v1, v2, v1
	v_xor_b32_e32 v61, s11, v6
	v_ashrrev_i32_e32 v61, 31, v61
	v_add_u32_e32 v60, 32, v0
	v_mul_lo_u32 v56, v1, s2
	v_add_u32_e32 v59, 64, v0
	v_add_u32_e32 v58, 0x60, v0
	v_lshrrev_b32_e32 v55, 3, v60
	v_sub_u32_e32 v2, v2, v56
	v_add_u32_e32 v56, 1, v1
	v_cmp_le_u32_e64 s[0:1], s2, v2
	v_cndmask_b32_e64 v1, v1, v56, s[0:1]
	v_subrev_u32_e32 v56, s2, v2
	v_cndmask_b32_e64 v2, v2, v56, s[0:1]
	v_add_u32_e32 v56, 1, v1
	v_cmp_le_u32_e64 s[0:1], s2, v2
	v_cndmask_b32_e64 v1, v1, v56, s[0:1]
	v_xor_b32_e32 v1, v1, v61
	v_sub_u32_e32 v1, v1, v61
	v_mul_lo_u32 v56, v1, s9
	v_lshlrev_b32_e32 v61, 5, v0
	v_and_b32_e32 v58, 0x1fc, v58
	v_and_b32_e32 v59, 0x1fc, v59
	;; [unrolled: 1-line block ×4, first 2 shown]
	v_lshlrev_b32_e32 v3, 5, v3
	v_and_b32_e32 v50, 31, v0
	v_cmp_gt_u32_e32 vcc, 4, v0
	v_cmp_gt_i32_e64 s[0:1], s8, v1
	v_mov_b32_e32 v2, s7
	v_add_co_u32_e64 v1, s[2:3], s6, v57
	v_add_u32_e32 v62, v61, v58
	v_add_u32_e32 v63, v61, v59
	v_add_u32_e32 v64, v61, v60
	v_add_u32_e32 v65, v61, v65
	v_mov_b32_e32 v66, 0x80
	v_lshrrev_b32_e32 v8, 2, v0
	v_mov_b32_e32 v7, 0
	v_add_u32_e32 v13, 0x820, v11
	v_add_u32_e32 v15, 0x1040, v11
	;; [unrolled: 1-line block ×15, first 2 shown]
	v_lshl_or_b32 v50, v50, 2, v49
	v_mul_u32_u24_e32 v54, 0x104, v0
	s_mov_b32 s21, 0
	v_addc_co_u32_e64 v2, s[2:3], 0, v2, s[2:3]
	s_and_b64 s[4:5], vcc, s[0:1]
	v_ashrrev_i32_e32 v57, 31, v56
	v_add_u32_e32 v58, 0x8e00, v62
	v_add_u32_e32 v59, 0x8a00, v63
	;; [unrolled: 1-line block ×8, first 2 shown]
	v_mad_u32_u24 v66, v0, s16, v66
	v_add_u32_e32 v67, v4, v48
	v_add_u32_e32 v68, v51, v68
	;; [unrolled: 1-line block ×4, first 2 shown]
	v_mov_b32_e32 v51, 0
	v_mov_b32_e32 v48, 0
	;; [unrolled: 1-line block ×3, first 2 shown]
	s_branch .LBB223_5
.LBB223_4:                              ;   in Loop: Header=BB223_5 Depth=1
	s_add_i32 s21, s21, 8
	s_cmp_ge_i32 s21, s19
	s_cbranch_scc1 .LBB223_21
.LBB223_5:                              ; =>This Loop Header: Depth=1
                                        ;     Child Loop BB223_11 Depth 2
                                        ;     Child Loop BB223_19 Depth 2
	s_mul_i32 s3, s21, 24
	s_mul_hi_u32 s2, s21, 24
	s_add_u32 s16, s14, s3
	s_addc_u32 s17, s20, s2
	v_mad_u64_u32 v[4:5], s[2:3], v8, 24, s[16:17]
	v_mad_u64_u32 v[71:72], s[2:3], v10, 24, v[4:5]
	v_add_co_u32_e64 v73, s[2:3], v71, v9
	v_addc_co_u32_e64 v74, s[2:3], 0, v72, s[2:3]
	v_mad_u64_u32 v[77:78], s[2:3], v16, 24, v[4:5]
	v_mad_u64_u32 v[75:76], s[2:3], v14, 24, v[4:5]
	;; [unrolled: 1-line block ×3, first 2 shown]
	global_load_dword v87, v[73:74], off offset:8
	global_load_dword v88, v[77:78], off offset:4
	;; [unrolled: 1-line block ×5, first 2 shown]
	v_add_co_u32_e64 v71, s[2:3], v79, v9
	v_addc_co_u32_e64 v72, s[2:3], 0, v80, s[2:3]
	global_load_dword v92, v[71:72], off offset:8
	v_add_co_u32_e64 v71, s[2:3], v75, v9
	v_addc_co_u32_e64 v72, s[2:3], 0, v76, s[2:3]
	v_add_co_u32_e64 v73, s[2:3], v77, v9
	v_addc_co_u32_e64 v74, s[2:3], 0, v78, s[2:3]
	global_load_dword v93, v[71:72], off offset:8
	global_load_dword v94, v[73:74], off offset:8
	v_mad_u64_u32 v[71:72], s[2:3], v18, 24, v[4:5]
	v_mad_u64_u32 v[73:74], s[2:3], v20, 24, v[4:5]
	;; [unrolled: 1-line block ×4, first 2 shown]
	v_add_co_u32_e64 v79, s[2:3], v71, v9
	v_addc_co_u32_e64 v80, s[2:3], 0, v72, s[2:3]
	v_add_co_u32_e64 v81, s[2:3], v73, v9
	v_addc_co_u32_e64 v82, s[2:3], 0, v74, s[2:3]
	;; [unrolled: 2-line block ×4, first 2 shown]
	global_load_dword v95, v[79:80], off offset:8
	global_load_dword v96, v[81:82], off offset:8
	;; [unrolled: 1-line block ×8, first 2 shown]
	s_waitcnt vmcnt(15)
	v_lshrrev_b32_e32 v73, 4, v87
	v_and_b32_e32 v72, 0xf0f0f0f, v87
	v_and_b32_e32 v73, 0xf0f0f0f, v73
	s_waitcnt vmcnt(12)
	v_ashrrev_i32_e32 v74, v9, v90
	s_waitcnt vmcnt(11)
	v_ashrrev_i32_e32 v71, v9, v91
	v_lshlrev_b32_e32 v76, 4, v71
	v_lshlrev_b32_e32 v77, 11, v71
	v_lshrrev_b32_e32 v80, 12, v71
	v_lshrrev_b32_e32 v81, 5, v71
	v_lshlrev_b32_e32 v78, 18, v71
	v_lshlrev_b32_e32 v79, 25, v71
	;; [unrolled: 1-line block ×4, first 2 shown]
	v_and_b32_e32 v76, 16, v76
	v_and_b32_e32 v77, 0x1000, v77
	;; [unrolled: 1-line block ×8, first 2 shown]
	v_or3_b32 v72, v76, v72, v77
	v_or3_b32 v73, v80, v73, v81
	;; [unrolled: 1-line block ×4, first 2 shown]
	v_lshlrev_b32_e32 v83, 4, v74
	ds_write2_b32 v11, v72, v71 offset1:1
	v_lshlrev_b32_e32 v72, 11, v74
	s_waitcnt vmcnt(10)
	v_and_b32_e32 v75, 0xf0f0f0f, v92
	v_and_b32_e32 v71, 16, v83
	;; [unrolled: 1-line block ×3, first 2 shown]
	v_or3_b32 v71, v71, v75, v72
	v_lshlrev_b32_e32 v72, 18, v74
	v_lshlrev_b32_e32 v73, 25, v74
	v_and_b32_e32 v72, 0x100000, v72
	v_and_b32_e32 v73, 0x10000000, v73
	v_or3_b32 v71, v71, v72, v73
	v_lshrrev_b32_e32 v72, 4, v92
	v_lshrrev_b32_e32 v73, 12, v74
	;; [unrolled: 1-line block ×3, first 2 shown]
	v_and_b32_e32 v72, 0xf0f0f0f, v72
	v_and_b32_e32 v73, 16, v73
	;; [unrolled: 1-line block ×3, first 2 shown]
	v_or3_b32 v72, v73, v72, v75
	v_lshlrev_b32_e32 v73, 2, v74
	v_lshlrev_b32_e32 v74, 9, v74
	v_and_b32_e32 v73, 0x100000, v73
	v_and_b32_e32 v74, 0x10000000, v74
	v_or3_b32 v72, v72, v73, v74
	ds_write2_b32 v13, v71, v72 offset1:1
	v_ashrrev_i32_e32 v71, v9, v89
	v_lshlrev_b32_e32 v73, 4, v71
	v_lshlrev_b32_e32 v74, 11, v71
	s_waitcnt vmcnt(9)
	v_and_b32_e32 v72, 0xf0f0f0f, v93
	v_and_b32_e32 v73, 16, v73
	;; [unrolled: 1-line block ×3, first 2 shown]
	v_or3_b32 v72, v73, v72, v74
	v_lshlrev_b32_e32 v73, 18, v71
	v_lshlrev_b32_e32 v74, 25, v71
	v_and_b32_e32 v73, 0x100000, v73
	v_and_b32_e32 v74, 0x10000000, v74
	v_or3_b32 v72, v72, v73, v74
	v_lshrrev_b32_e32 v73, 4, v93
	v_lshrrev_b32_e32 v74, 12, v71
	;; [unrolled: 1-line block ×3, first 2 shown]
	v_and_b32_e32 v73, 0xf0f0f0f, v73
	v_and_b32_e32 v74, 16, v74
	;; [unrolled: 1-line block ×3, first 2 shown]
	v_or3_b32 v73, v74, v73, v75
	v_lshlrev_b32_e32 v74, 2, v71
	v_lshlrev_b32_e32 v71, 9, v71
	v_and_b32_e32 v74, 0x100000, v74
	v_and_b32_e32 v71, 0x10000000, v71
	v_or3_b32 v71, v73, v74, v71
	ds_write2_b32 v15, v72, v71 offset1:1
	v_ashrrev_i32_e32 v71, v9, v88
	v_lshlrev_b32_e32 v73, 4, v71
	v_lshlrev_b32_e32 v74, 11, v71
	s_waitcnt vmcnt(8)
	v_and_b32_e32 v72, 0xf0f0f0f, v94
	v_and_b32_e32 v73, 16, v73
	;; [unrolled: 1-line block ×3, first 2 shown]
	v_or3_b32 v72, v73, v72, v74
	v_lshlrev_b32_e32 v73, 18, v71
	v_lshlrev_b32_e32 v74, 25, v71
	v_and_b32_e32 v73, 0x100000, v73
	v_and_b32_e32 v74, 0x10000000, v74
	v_or3_b32 v72, v72, v73, v74
	v_lshrrev_b32_e32 v73, 4, v94
	v_lshrrev_b32_e32 v74, 12, v71
	;; [unrolled: 1-line block ×3, first 2 shown]
	v_and_b32_e32 v73, 0xf0f0f0f, v73
	v_and_b32_e32 v74, 16, v74
	v_and_b32_e32 v75, 0x1000, v75
	v_or3_b32 v73, v74, v73, v75
	v_lshlrev_b32_e32 v74, 2, v71
	v_lshlrev_b32_e32 v71, 9, v71
	v_and_b32_e32 v74, 0x100000, v74
	v_and_b32_e32 v71, 0x10000000, v71
	v_or3_b32 v71, v73, v74, v71
	s_waitcnt vmcnt(0)
	v_ashrrev_i32_e32 v87, v9, v102
	ds_write2_b32 v17, v72, v71 offset1:1
	v_lshlrev_b32_e32 v72, 4, v87
	v_lshlrev_b32_e32 v73, 11, v87
	v_and_b32_e32 v71, 0xf0f0f0f, v95
	v_and_b32_e32 v72, 16, v72
	;; [unrolled: 1-line block ×3, first 2 shown]
	v_or3_b32 v71, v72, v71, v73
	v_lshlrev_b32_e32 v72, 18, v87
	v_lshlrev_b32_e32 v73, 25, v87
	v_and_b32_e32 v72, 0x100000, v72
	v_and_b32_e32 v73, 0x10000000, v73
	v_or3_b32 v88, v71, v72, v73
	v_lshrrev_b32_e32 v71, 4, v95
	v_lshrrev_b32_e32 v72, 12, v87
	;; [unrolled: 1-line block ×3, first 2 shown]
	v_and_b32_e32 v71, 0xf0f0f0f, v71
	v_and_b32_e32 v72, 16, v72
	;; [unrolled: 1-line block ×3, first 2 shown]
	v_or3_b32 v89, v72, v71, v73
	v_lshlrev_b32_e32 v71, 2, v87
	v_and_b32_e32 v90, 0x100000, v71
	v_mad_u64_u32 v[71:72], s[2:3], v26, 24, v[4:5]
	v_mad_u64_u32 v[73:74], s[2:3], v28, 24, v[4:5]
	v_add_co_u32_e64 v75, s[2:3], v71, v9
	v_addc_co_u32_e64 v76, s[2:3], 0, v72, s[2:3]
	v_add_co_u32_e64 v77, s[2:3], v73, v9
	v_addc_co_u32_e64 v78, s[2:3], 0, v74, s[2:3]
	v_mad_u64_u32 v[79:80], s[2:3], v30, 24, v[4:5]
	v_mad_u64_u32 v[81:82], s[2:3], v32, 24, v[4:5]
	v_add_co_u32_e64 v83, s[2:3], v79, v9
	v_addc_co_u32_e64 v84, s[2:3], 0, v80, s[2:3]
	v_add_co_u32_e64 v85, s[2:3], v81, v9
	v_addc_co_u32_e64 v86, s[2:3], 0, v82, s[2:3]
	global_load_dword v91, v[75:76], off offset:8
	global_load_dword v92, v[77:78], off offset:8
	;; [unrolled: 1-line block ×8, first 2 shown]
	v_lshlrev_b32_e32 v71, 9, v87
	v_and_b32_e32 v71, 0x10000000, v71
	v_or3_b32 v71, v89, v90, v71
	ds_write2_b32 v19, v88, v71 offset1:1
	v_ashrrev_i32_e32 v71, v9, v101
	v_lshlrev_b32_e32 v73, 4, v71
	v_lshlrev_b32_e32 v74, 11, v71
	v_and_b32_e32 v72, 0xf0f0f0f, v96
	v_and_b32_e32 v73, 16, v73
	v_and_b32_e32 v74, 0x1000, v74
	v_or3_b32 v72, v73, v72, v74
	v_lshlrev_b32_e32 v73, 18, v71
	v_lshlrev_b32_e32 v74, 25, v71
	v_and_b32_e32 v73, 0x100000, v73
	v_and_b32_e32 v74, 0x10000000, v74
	v_or3_b32 v72, v72, v73, v74
	v_lshrrev_b32_e32 v73, 4, v96
	v_lshrrev_b32_e32 v74, 12, v71
	v_lshrrev_b32_e32 v75, 5, v71
	v_and_b32_e32 v73, 0xf0f0f0f, v73
	v_and_b32_e32 v74, 16, v74
	v_and_b32_e32 v75, 0x1000, v75
	v_or3_b32 v73, v74, v73, v75
	v_lshlrev_b32_e32 v74, 2, v71
	v_lshlrev_b32_e32 v71, 9, v71
	v_and_b32_e32 v74, 0x100000, v74
	v_and_b32_e32 v71, 0x10000000, v71
	v_or3_b32 v71, v73, v74, v71
	ds_write2_b32 v21, v72, v71 offset1:1
	v_ashrrev_i32_e32 v71, v9, v100
	v_lshlrev_b32_e32 v73, 4, v71
	v_lshlrev_b32_e32 v74, 11, v71
	v_and_b32_e32 v72, 0xf0f0f0f, v97
	v_and_b32_e32 v73, 16, v73
	v_and_b32_e32 v74, 0x1000, v74
	v_or3_b32 v72, v73, v72, v74
	v_lshlrev_b32_e32 v73, 18, v71
	v_lshlrev_b32_e32 v74, 25, v71
	v_and_b32_e32 v73, 0x100000, v73
	v_and_b32_e32 v74, 0x10000000, v74
	v_or3_b32 v72, v72, v73, v74
	v_lshrrev_b32_e32 v73, 4, v97
	v_lshrrev_b32_e32 v74, 12, v71
	v_lshrrev_b32_e32 v75, 5, v71
	v_and_b32_e32 v73, 0xf0f0f0f, v73
	v_and_b32_e32 v74, 16, v74
	v_and_b32_e32 v75, 0x1000, v75
	v_or3_b32 v73, v74, v73, v75
	v_lshlrev_b32_e32 v74, 2, v71
	v_lshlrev_b32_e32 v71, 9, v71
	v_and_b32_e32 v74, 0x100000, v74
	;; [unrolled: 25-line block ×3, first 2 shown]
	v_and_b32_e32 v71, 0x10000000, v71
	v_or3_b32 v71, v73, v74, v71
	ds_write2_b32 v25, v72, v71 offset1:1
	s_waitcnt vmcnt(0)
	v_ashrrev_i32_e32 v85, v9, v104
	v_lshlrev_b32_e32 v72, 4, v85
	v_lshlrev_b32_e32 v73, 11, v85
	v_and_b32_e32 v71, 0xf0f0f0f, v91
	v_and_b32_e32 v72, 16, v72
	v_and_b32_e32 v73, 0x1000, v73
	v_or3_b32 v71, v72, v71, v73
	v_lshlrev_b32_e32 v72, 18, v85
	v_lshlrev_b32_e32 v73, 25, v85
	v_and_b32_e32 v72, 0x100000, v72
	v_and_b32_e32 v73, 0x10000000, v73
	v_or3_b32 v86, v71, v72, v73
	v_lshrrev_b32_e32 v71, 4, v91
	v_lshrrev_b32_e32 v72, 12, v85
	;; [unrolled: 1-line block ×3, first 2 shown]
	v_and_b32_e32 v71, 0xf0f0f0f, v71
	v_and_b32_e32 v72, 16, v72
	;; [unrolled: 1-line block ×3, first 2 shown]
	v_or3_b32 v87, v72, v71, v73
	v_lshlrev_b32_e32 v71, 2, v85
	v_and_b32_e32 v88, 0x100000, v71
	v_mad_u64_u32 v[71:72], s[2:3], v34, 24, v[4:5]
	v_mad_u64_u32 v[73:74], s[2:3], v36, 24, v[4:5]
	v_add_co_u32_e64 v75, s[2:3], v71, v9
	v_addc_co_u32_e64 v76, s[2:3], 0, v72, s[2:3]
	v_add_co_u32_e64 v77, s[2:3], v73, v9
	v_addc_co_u32_e64 v78, s[2:3], 0, v74, s[2:3]
	v_mad_u64_u32 v[79:80], s[2:3], v38, 24, v[4:5]
	v_mad_u64_u32 v[4:5], s[2:3], v40, 24, v[4:5]
	v_add_co_u32_e64 v81, s[2:3], v79, v9
	v_addc_co_u32_e64 v82, s[2:3], 0, v80, s[2:3]
	v_add_co_u32_e64 v83, s[2:3], v4, v9
	v_addc_co_u32_e64 v84, s[2:3], 0, v5, s[2:3]
	global_load_dword v89, v[75:76], off offset:8
	global_load_dword v90, v[77:78], off offset:8
	;; [unrolled: 1-line block ×8, first 2 shown]
	v_lshlrev_b32_e32 v4, 9, v85
	v_and_b32_e32 v4, 0x10000000, v4
	v_or3_b32 v4, v87, v88, v4
	ds_write2_b32 v27, v86, v4 offset1:1
	v_ashrrev_i32_e32 v4, v9, v103
	v_lshlrev_b32_e32 v71, 4, v4
	v_lshlrev_b32_e32 v72, 11, v4
	v_and_b32_e32 v5, 0xf0f0f0f, v92
	v_and_b32_e32 v71, 16, v71
	v_and_b32_e32 v72, 0x1000, v72
	v_or3_b32 v5, v71, v5, v72
	v_lshlrev_b32_e32 v71, 18, v4
	v_lshlrev_b32_e32 v72, 25, v4
	v_and_b32_e32 v71, 0x100000, v71
	v_and_b32_e32 v72, 0x10000000, v72
	v_or3_b32 v5, v5, v71, v72
	v_lshrrev_b32_e32 v71, 4, v92
	v_lshrrev_b32_e32 v72, 12, v4
	v_lshrrev_b32_e32 v73, 5, v4
	v_and_b32_e32 v71, 0xf0f0f0f, v71
	v_and_b32_e32 v72, 16, v72
	v_and_b32_e32 v73, 0x1000, v73
	v_or3_b32 v71, v72, v71, v73
	v_lshlrev_b32_e32 v72, 2, v4
	v_lshlrev_b32_e32 v4, 9, v4
	v_and_b32_e32 v72, 0x100000, v72
	v_and_b32_e32 v4, 0x10000000, v4
	v_or3_b32 v4, v71, v72, v4
	ds_write2_b32 v29, v5, v4 offset1:1
	v_ashrrev_i32_e32 v4, v9, v102
	v_lshlrev_b32_e32 v71, 4, v4
	v_lshlrev_b32_e32 v72, 11, v4
	v_and_b32_e32 v5, 0xf0f0f0f, v93
	v_and_b32_e32 v71, 16, v71
	v_and_b32_e32 v72, 0x1000, v72
	v_or3_b32 v5, v71, v5, v72
	v_lshlrev_b32_e32 v71, 18, v4
	v_lshlrev_b32_e32 v72, 25, v4
	v_and_b32_e32 v71, 0x100000, v71
	v_and_b32_e32 v72, 0x10000000, v72
	v_or3_b32 v5, v5, v71, v72
	v_lshrrev_b32_e32 v71, 4, v93
	v_lshrrev_b32_e32 v72, 12, v4
	v_lshrrev_b32_e32 v73, 5, v4
	v_and_b32_e32 v71, 0xf0f0f0f, v71
	v_and_b32_e32 v72, 16, v72
	v_and_b32_e32 v73, 0x1000, v73
	v_or3_b32 v71, v72, v71, v73
	v_lshlrev_b32_e32 v72, 2, v4
	v_lshlrev_b32_e32 v4, 9, v4
	v_and_b32_e32 v72, 0x100000, v72
	;; [unrolled: 25-line block ×3, first 2 shown]
	v_and_b32_e32 v4, 0x10000000, v4
	v_or3_b32 v4, v71, v72, v4
	ds_write2_b32 v33, v5, v4 offset1:1
	s_waitcnt vmcnt(0)
	v_ashrrev_i32_e32 v4, v9, v100
	v_lshlrev_b32_e32 v71, 4, v4
	v_lshlrev_b32_e32 v72, 11, v4
	v_and_b32_e32 v5, 0xf0f0f0f, v89
	v_and_b32_e32 v71, 16, v71
	;; [unrolled: 1-line block ×3, first 2 shown]
	v_or3_b32 v5, v71, v5, v72
	v_lshlrev_b32_e32 v71, 18, v4
	v_lshlrev_b32_e32 v72, 25, v4
	v_and_b32_e32 v71, 0x100000, v71
	v_and_b32_e32 v72, 0x10000000, v72
	v_or3_b32 v77, v5, v71, v72
	v_lshrrev_b32_e32 v5, 4, v89
	v_lshrrev_b32_e32 v71, 12, v4
	;; [unrolled: 1-line block ×3, first 2 shown]
	v_and_b32_e32 v5, 0xf0f0f0f, v5
	v_and_b32_e32 v71, 16, v71
	;; [unrolled: 1-line block ×3, first 2 shown]
	v_or3_b32 v71, v71, v5, v72
	v_lshlrev_b32_e32 v5, 2, v4
	v_and_b32_e32 v72, 0x100000, v5
	v_lshlrev_b32_e32 v73, 9, v4
	v_mad_u64_u32 v[4:5], s[2:3], v42, 24, s[16:17]
	v_and_b32_e32 v73, 0x10000000, v73
	v_or3_b32 v78, v71, v72, v73
	v_mad_u64_u32 v[71:72], s[2:3], v44, 24, v[4:5]
	v_mad_u64_u32 v[73:74], s[2:3], v45, 24, v[4:5]
	;; [unrolled: 1-line block ×4, first 2 shown]
	global_load_dword v79, v[71:72], off
	global_load_dword v80, v[73:74], off
	global_load_dword v81, v[75:76], off
	v_ashrrev_i32_e32 v71, v9, v99
	global_load_dword v4, v[4:5], off
	v_lshlrev_b32_e32 v72, 4, v71
	v_lshlrev_b32_e32 v73, 11, v71
	v_and_b32_e32 v5, 0xf0f0f0f, v90
	v_and_b32_e32 v72, 16, v72
	;; [unrolled: 1-line block ×3, first 2 shown]
	v_or3_b32 v5, v72, v5, v73
	v_lshlrev_b32_e32 v72, 18, v71
	v_lshlrev_b32_e32 v73, 25, v71
	v_and_b32_e32 v72, 0x100000, v72
	v_and_b32_e32 v73, 0x10000000, v73
	v_or3_b32 v5, v5, v72, v73
	v_lshrrev_b32_e32 v72, 4, v90
	v_lshrrev_b32_e32 v73, 12, v71
	;; [unrolled: 1-line block ×3, first 2 shown]
	v_and_b32_e32 v72, 0xf0f0f0f, v72
	v_and_b32_e32 v73, 16, v73
	;; [unrolled: 1-line block ×3, first 2 shown]
	v_or3_b32 v72, v73, v72, v74
	v_lshlrev_b32_e32 v73, 2, v71
	v_lshlrev_b32_e32 v71, 9, v71
	v_and_b32_e32 v73, 0x100000, v73
	v_and_b32_e32 v71, 0x10000000, v71
	v_or3_b32 v71, v72, v73, v71
	ds_write2_b32 v37, v5, v71 offset1:1
	v_ashrrev_i32_e32 v5, v9, v98
	v_lshlrev_b32_e32 v72, 4, v5
	v_lshlrev_b32_e32 v73, 11, v5
	v_and_b32_e32 v71, 0xf0f0f0f, v91
	v_and_b32_e32 v72, 16, v72
	v_and_b32_e32 v73, 0x1000, v73
	v_or3_b32 v71, v72, v71, v73
	v_lshlrev_b32_e32 v72, 18, v5
	v_lshlrev_b32_e32 v73, 25, v5
	v_and_b32_e32 v72, 0x100000, v72
	v_and_b32_e32 v73, 0x10000000, v73
	v_or3_b32 v71, v71, v72, v73
	v_lshrrev_b32_e32 v72, 4, v91
	v_lshrrev_b32_e32 v73, 12, v5
	;; [unrolled: 1-line block ×3, first 2 shown]
	v_and_b32_e32 v72, 0xf0f0f0f, v72
	v_and_b32_e32 v73, 16, v73
	v_and_b32_e32 v74, 0x1000, v74
	v_or3_b32 v72, v73, v72, v74
	v_lshlrev_b32_e32 v73, 2, v5
	v_lshlrev_b32_e32 v5, 9, v5
	v_and_b32_e32 v73, 0x100000, v73
	v_and_b32_e32 v5, 0x10000000, v5
	v_or3_b32 v5, v72, v73, v5
	ds_write2_b32 v39, v71, v5 offset1:1
	v_ashrrev_i32_e32 v5, v9, v97
	v_lshlrev_b32_e32 v72, 4, v5
	v_lshlrev_b32_e32 v73, 11, v5
	v_and_b32_e32 v71, 0xf0f0f0f, v96
	v_and_b32_e32 v72, 16, v72
	;; [unrolled: 1-line block ×3, first 2 shown]
	v_or3_b32 v71, v72, v71, v73
	v_lshlrev_b32_e32 v72, 18, v5
	v_lshlrev_b32_e32 v73, 25, v5
	v_and_b32_e32 v72, 0x100000, v72
	v_and_b32_e32 v73, 0x10000000, v73
	v_or3_b32 v71, v71, v72, v73
	v_lshrrev_b32_e32 v72, 4, v96
	v_lshrrev_b32_e32 v73, 12, v5
	;; [unrolled: 1-line block ×3, first 2 shown]
	v_and_b32_e32 v72, 0xf0f0f0f, v72
	v_and_b32_e32 v73, 16, v73
	;; [unrolled: 1-line block ×3, first 2 shown]
	v_or3_b32 v72, v73, v72, v74
	v_lshlrev_b32_e32 v73, 2, v5
	v_lshlrev_b32_e32 v5, 9, v5
	v_and_b32_e32 v73, 0x100000, v73
	v_and_b32_e32 v5, 0x10000000, v5
	s_lshl_b32 s16, s21, 5
	v_or3_b32 v5, v72, v73, v5
	s_cmp_lt_i32 s16, s15
	ds_write2_b32 v35, v77, v78 offset1:1
	ds_write2_b32 v41, v71, v5 offset1:1
	s_waitcnt vmcnt(3)
	ds_write_b32 v67, v79
	s_waitcnt vmcnt(2)
	ds_write_b32 v68, v80
	s_waitcnt vmcnt(1)
	ds_write_b32 v69, v81
	s_waitcnt vmcnt(0)
	ds_write_b32 v70, v4
	s_cbranch_scc0 .LBB223_4
; %bb.6:                                ;   in Loop: Header=BB223_5 Depth=1
	v_add_u32_e32 v4, s21, v43
	v_cmp_gt_i32_e64 s[2:3], s9, v4
	s_and_b64 s[22:23], s[0:1], s[2:3]
	s_and_saveexec_b64 s[2:3], s[22:23]
	s_cbranch_execz .LBB223_8
; %bb.7:                                ;   in Loop: Header=BB223_5 Depth=1
	v_add_u32_e32 v4, v56, v4
	v_mad_i64_i32 v[4:5], s[22:23], v4, 36, v[1:2]
	global_load_dword v4, v[4:5], off offset:4
	s_waitcnt vmcnt(0)
	ds_write_b32 v50, v4
.LBB223_8:                              ;   in Loop: Header=BB223_5 Depth=1
	s_or_b64 exec, exec, s[2:3]
	v_add_u32_e32 v4, s21, v0
	v_cmp_gt_i32_e64 s[2:3], s9, v4
	s_and_b64 s[22:23], s[4:5], s[2:3]
	s_and_saveexec_b64 s[2:3], s[22:23]
	s_cbranch_execz .LBB223_10
; %bb.9:                                ;   in Loop: Header=BB223_5 Depth=1
	v_add_u32_e32 v5, v56, v4
	v_mad_i64_i32 v[71:72], s[22:23], v5, 36, s[6:7]
	global_load_dword v5, v[71:72], off
	s_waitcnt vmcnt(0)
	ds_write_b32 v53, v5
.LBB223_10:                             ;   in Loop: Header=BB223_5 Depth=1
	s_or_b64 exec, exec, s[2:3]
	s_mov_b32 s2, -4
	v_mov_b32_e32 v5, v49
	v_mov_b32_e32 v71, v54
	;; [unrolled: 1-line block ×7, first 2 shown]
	s_waitcnt lgkmcnt(0)
	s_barrier
.LBB223_11:                             ;   Parent Loop BB223_5 Depth=1
                                        ; =>  This Inner Loop Header: Depth=2
	ds_read_b128 v[77:80], v5
	ds_read_b128 v[81:84], v5 offset:16
	ds_read2_b32 v[85:86], v71 offset1:1
	ds_read2_b32 v[87:88], v71 offset0:2 offset1:3
	ds_read2_b32 v[89:90], v71 offset0:4 offset1:5
	ds_read2_b32 v[91:92], v71 offset0:6 offset1:7
	v_add_u32_e32 v93, 0x2080, v71
	v_add_u32_e32 v95, 0x2088, v71
	;; [unrolled: 1-line block ×12, first 2 shown]
	ds_read_b32 v117, v72
	ds_read_b32 v118, v73
	;; [unrolled: 1-line block ×5, first 2 shown]
	ds_read2_b32 v[93:94], v93 offset1:1
	ds_read2_b32 v[95:96], v95 offset1:1
	;; [unrolled: 1-line block ×12, first 2 shown]
	s_waitcnt lgkmcnt(14)
	v_dot4_i32_i8 v85, v85, v77, 0
	v_dot4_i32_i8 v85, v86, v81, v85
	s_waitcnt lgkmcnt(11)
	v_dot4_i32_i8 v86, v93, v77, 0
	s_waitcnt lgkmcnt(7)
	;; [unrolled: 2-line block ×3, first 2 shown]
	v_dot4_i32_i8 v77, v109, v77, 0
	v_dot4_i32_i8 v85, v87, v78, v85
	v_dot4_i32_i8 v86, v94, v81, v86
	v_dot4_i32_i8 v87, v102, v81, v93
	v_dot4_i32_i8 v77, v110, v81, v77
	v_dot4_i32_i8 v81, v88, v82, v85
	v_dot4_i32_i8 v85, v95, v78, v86
	v_dot4_i32_i8 v86, v103, v78, v87
	s_waitcnt lgkmcnt(2)
	v_dot4_i32_i8 v77, v111, v78, v77
	v_dot4_i32_i8 v78, v89, v79, v81
	v_dot4_i32_i8 v81, v96, v82, v85
	v_dot4_i32_i8 v85, v104, v82, v86
	v_dot4_i32_i8 v77, v112, v82, v77
	v_dot4_i32_i8 v78, v90, v83, v78
	v_dot4_i32_i8 v81, v97, v79, v81
	v_dot4_i32_i8 v82, v105, v79, v85
	s_waitcnt lgkmcnt(1)
	;; [unrolled: 9-line block ×3, first 2 shown]
	v_dot4_i32_i8 v77, v115, v80, v77
	v_cvt_f32_i32_e32 v78, v78
	v_dot4_i32_i8 v79, v100, v84, v79
	v_dot4_i32_i8 v80, v108, v84, v81
	;; [unrolled: 1-line block ×3, first 2 shown]
	v_cvt_f32_i32_e32 v79, v79
	v_cvt_f32_i32_e32 v80, v80
	;; [unrolled: 1-line block ×3, first 2 shown]
	v_pk_mul_f16 v118, v117, v118
	v_pk_mul_f16 v119, v117, v119
	;; [unrolled: 1-line block ×4, first 2 shown]
	v_fma_mix_f32 v78, v118, v78, v118 op_sel:[0,0,1] op_sel_hi:[1,0,1]
	s_add_i32 s2, s2, 4
	v_add_f32_e32 v7, v7, v78
	v_fma_mix_f32 v78, v119, v79, v119 op_sel:[0,0,1] op_sel_hi:[1,0,1]
	v_fma_mix_f32 v79, v120, v80, v120 op_sel:[0,0,1] op_sel_hi:[1,0,1]
	v_fma_mix_f32 v77, v117, v77, v117 op_sel:[0,0,1] op_sel_hi:[1,0,1]
	v_add_u32_e32 v76, 4, v76
	v_add_u32_e32 v75, 4, v75
	;; [unrolled: 1-line block ×7, first 2 shown]
	s_cmp_lt_u32 s2, 12
	v_add_f32_e32 v51, v51, v78
	v_add_f32_e32 v48, v48, v79
	;; [unrolled: 1-line block ×3, first 2 shown]
	s_cbranch_scc1 .LBB223_11
; %bb.12:                               ;   in Loop: Header=BB223_5 Depth=1
	s_bitset1_b32 s16, 7
	s_cmp_ge_i32 s16, s15
	s_barrier
	s_cbranch_scc1 .LBB223_4
; %bb.13:                               ;   in Loop: Header=BB223_5 Depth=1
	v_add_u32_e32 v5, s21, v55
	v_cmp_gt_i32_e64 s[2:3], s9, v5
	s_and_b64 s[16:17], s[0:1], s[2:3]
	s_and_saveexec_b64 s[2:3], s[16:17]
	s_cbranch_execz .LBB223_15
; %bb.14:                               ;   in Loop: Header=BB223_5 Depth=1
	v_add_u32_e32 v5, v56, v5
	v_mad_i64_i32 v[71:72], s[16:17], v5, 36, v[1:2]
	global_load_dword v5, v[71:72], off offset:4
	s_waitcnt vmcnt(0)
	ds_write_b32 v50, v5
.LBB223_15:                             ;   in Loop: Header=BB223_5 Depth=1
	s_or_b64 exec, exec, s[2:3]
	s_and_saveexec_b64 s[16:17], vcc
	s_cbranch_execz .LBB223_18
; %bb.16:                               ;   in Loop: Header=BB223_5 Depth=1
	v_or_b32_e32 v5, 4, v4
	v_cmp_gt_i32_e64 s[2:3], s9, v5
	s_and_b64 s[2:3], s[0:1], s[2:3]
	s_and_b64 exec, exec, s[2:3]
	s_cbranch_execz .LBB223_18
; %bb.17:                               ;   in Loop: Header=BB223_5 Depth=1
	v_ashrrev_i32_e32 v5, 31, v4
	v_add_co_u32_e64 v4, s[2:3], v56, v4
	v_addc_co_u32_e64 v71, s[2:3], v57, v5, s[2:3]
	v_mad_u64_u32 v[4:5], s[2:3], v4, 36, s[6:7]
	v_mad_i32_i24 v5, v71, 36, v5
	global_load_dword v4, v[4:5], off offset:144
	s_waitcnt vmcnt(0)
	ds_write_b32 v53, v4
.LBB223_18:                             ;   in Loop: Header=BB223_5 Depth=1
	s_or_b64 exec, exec, s[16:17]
	s_mov_b32 s2, 12
	v_mov_b32_e32 v4, v52
	v_mov_b32_e32 v5, v49
	;; [unrolled: 1-line block ×7, first 2 shown]
	s_waitcnt lgkmcnt(0)
	s_barrier
.LBB223_19:                             ;   Parent Loop BB223_5 Depth=1
                                        ; =>  This Inner Loop Header: Depth=2
	v_add_u32_e32 v92, 0x2080, v71
	v_add_u32_e32 v94, 0x2088, v71
	;; [unrolled: 1-line block ×12, first 2 shown]
	ds_read_b128 v[76:79], v5
	ds_read_b32 v116, v4
	ds_read_b128 v[80:83], v5 offset:16
	ds_read2_b32 v[84:85], v71 offset1:1
	ds_read_b32 v117, v72
	ds_read2_b32 v[86:87], v71 offset0:2 offset1:3
	ds_read2_b32 v[88:89], v71 offset0:4 offset1:5
	;; [unrolled: 1-line block ×3, first 2 shown]
	ds_read_b32 v118, v73
	ds_read_b32 v119, v74
	;; [unrolled: 1-line block ×3, first 2 shown]
	ds_read2_b32 v[92:93], v92 offset1:1
	ds_read2_b32 v[94:95], v94 offset1:1
	;; [unrolled: 1-line block ×12, first 2 shown]
	s_waitcnt lgkmcnt(14)
	v_dot4_i32_i8 v84, v84, v76, 0
	v_dot4_i32_i8 v84, v85, v80, v84
	s_waitcnt lgkmcnt(11)
	v_dot4_i32_i8 v85, v92, v76, 0
	s_waitcnt lgkmcnt(7)
	;; [unrolled: 2-line block ×3, first 2 shown]
	v_dot4_i32_i8 v76, v108, v76, 0
	v_dot4_i32_i8 v84, v86, v77, v84
	v_dot4_i32_i8 v85, v93, v80, v85
	v_dot4_i32_i8 v86, v101, v80, v92
	v_dot4_i32_i8 v76, v109, v80, v76
	v_dot4_i32_i8 v80, v87, v81, v84
	v_dot4_i32_i8 v84, v94, v77, v85
	v_dot4_i32_i8 v85, v102, v77, v86
	s_waitcnt lgkmcnt(2)
	v_dot4_i32_i8 v76, v110, v77, v76
	v_dot4_i32_i8 v77, v88, v78, v80
	v_dot4_i32_i8 v80, v95, v81, v84
	v_dot4_i32_i8 v84, v103, v81, v85
	v_dot4_i32_i8 v76, v111, v81, v76
	v_dot4_i32_i8 v77, v89, v82, v77
	v_dot4_i32_i8 v80, v96, v78, v80
	v_dot4_i32_i8 v81, v104, v78, v84
	s_waitcnt lgkmcnt(1)
	;; [unrolled: 9-line block ×3, first 2 shown]
	v_dot4_i32_i8 v76, v114, v79, v76
	v_cvt_f32_i32_e32 v77, v77
	v_dot4_i32_i8 v78, v99, v83, v78
	v_dot4_i32_i8 v79, v107, v83, v80
	;; [unrolled: 1-line block ×3, first 2 shown]
	v_cvt_f32_i32_e32 v78, v78
	v_cvt_f32_i32_e32 v79, v79
	;; [unrolled: 1-line block ×3, first 2 shown]
	v_pk_mul_f16 v117, v116, v117
	v_pk_mul_f16 v118, v116, v118
	;; [unrolled: 1-line block ×4, first 2 shown]
	v_fma_mix_f32 v77, v117, v77, v117 op_sel:[0,0,1] op_sel_hi:[1,0,1]
	s_add_i32 s2, s2, 4
	v_add_f32_e32 v7, v7, v77
	v_fma_mix_f32 v77, v118, v78, v118 op_sel:[0,0,1] op_sel_hi:[1,0,1]
	v_fma_mix_f32 v78, v119, v79, v119 op_sel:[0,0,1] op_sel_hi:[1,0,1]
	;; [unrolled: 1-line block ×3, first 2 shown]
	v_add_u32_e32 v75, 4, v75
	v_add_u32_e32 v74, 4, v74
	;; [unrolled: 1-line block ×7, first 2 shown]
	s_cmp_lt_u32 s2, 28
	v_add_f32_e32 v51, v51, v77
	v_add_f32_e32 v48, v48, v78
	;; [unrolled: 1-line block ×3, first 2 shown]
	s_cbranch_scc1 .LBB223_19
; %bb.20:                               ;   in Loop: Header=BB223_5 Depth=1
	s_barrier
	s_branch .LBB223_4
.LBB223_21:
	s_mul_i32 s0, s11, s8
	s_waitcnt vmcnt(0)
	v_cmp_gt_i32_e32 vcc, s0, v6
	s_and_saveexec_b64 s[0:1], vcc
	s_cbranch_execz .LBB223_30
; %bb.22:
	v_mul_lo_u32 v1, v6, s10
	v_add_u32_e32 v0, s18, v0
	v_cmp_gt_u32_e32 vcc, s10, v0
	s_and_saveexec_b64 s[0:1], vcc
	s_cbranch_execz .LBB223_24
; %bb.23:
	v_bfe_u32 v2, v7, 16, 1
	s_movk_i32 s2, 0x7fff
	v_add3_u32 v2, v7, v2, s2
	v_cmp_o_f32_e32 vcc, v7, v7
	v_mov_b32_e32 v4, 0x7fc0
	v_cndmask_b32_sdwa v2, v4, v2, vcc dst_sel:DWORD dst_unused:UNUSED_PAD src0_sel:DWORD src1_sel:WORD_1
	v_add_u32_e32 v4, v1, v0
	v_mov_b32_e32 v5, 0
	v_lshlrev_b64 v[4:5], 1, v[4:5]
	v_mov_b32_e32 v6, s13
	v_add_co_u32_e32 v4, vcc, s12, v4
	v_addc_co_u32_e32 v5, vcc, v6, v5, vcc
	global_store_short v[4:5], v2, off
.LBB223_24:
	s_or_b64 exec, exec, s[0:1]
	v_add_u32_e32 v2, 32, v0
	v_cmp_gt_u32_e32 vcc, s10, v2
	s_and_saveexec_b64 s[0:1], vcc
	s_cbranch_execz .LBB223_26
; %bb.25:
	v_bfe_u32 v4, v51, 16, 1
	s_movk_i32 s2, 0x7fff
	v_add3_u32 v4, v51, v4, s2
	v_cmp_o_f32_e32 vcc, v51, v51
	v_mov_b32_e32 v5, 0x7fc0
	v_cndmask_b32_sdwa v6, v5, v4, vcc dst_sel:DWORD dst_unused:UNUSED_PAD src0_sel:DWORD src1_sel:WORD_1
	v_add_u32_e32 v4, v1, v2
	v_mov_b32_e32 v5, 0
	v_lshlrev_b64 v[4:5], 1, v[4:5]
	v_mov_b32_e32 v2, s13
	v_add_co_u32_e32 v4, vcc, s12, v4
	v_addc_co_u32_e32 v5, vcc, v2, v5, vcc
	global_store_short v[4:5], v6, off
.LBB223_26:
	s_or_b64 exec, exec, s[0:1]
	;; [unrolled: 20-line block ×3, first 2 shown]
	v_add_u32_e32 v0, 0x60, v0
	v_cmp_gt_u32_e32 vcc, s10, v0
	s_and_b64 exec, exec, vcc
	s_cbranch_execz .LBB223_30
; %bb.29:
	v_add_u32_e32 v0, v1, v0
	v_mov_b32_e32 v1, 0
	v_bfe_u32 v2, v3, 16, 1
	s_movk_i32 s0, 0x7fff
	v_lshlrev_b64 v[0:1], 1, v[0:1]
	v_add3_u32 v2, v3, v2, s0
	v_cmp_o_f32_e32 vcc, v3, v3
	v_mov_b32_e32 v3, 0x7fc0
	v_cndmask_b32_sdwa v2, v3, v2, vcc dst_sel:DWORD dst_unused:UNUSED_PAD src0_sel:DWORD src1_sel:WORD_1
	v_mov_b32_e32 v3, s13
	v_add_co_u32_e32 v0, vcc, s12, v0
	v_addc_co_u32_e32 v1, vcc, v3, v1, vcc
	global_store_short v[0:1], v2, off
.LBB223_30:
	s_endpgm
	.section	.rodata,"a",@progbits
	.p2align	6, 0x0
	.amdhsa_kernel _ZL8moe_q5_1IN3c108BFloat16ELb0EEvPKvS3_PT_PKiS7_S7_iiiiiii
		.amdhsa_group_segment_fixed_size 38656
		.amdhsa_private_segment_fixed_size 0
		.amdhsa_kernarg_size 76
		.amdhsa_user_sgpr_count 6
		.amdhsa_user_sgpr_private_segment_buffer 1
		.amdhsa_user_sgpr_dispatch_ptr 0
		.amdhsa_user_sgpr_queue_ptr 0
		.amdhsa_user_sgpr_kernarg_segment_ptr 1
		.amdhsa_user_sgpr_dispatch_id 0
		.amdhsa_user_sgpr_flat_scratch_init 0
		.amdhsa_user_sgpr_private_segment_size 0
		.amdhsa_uses_dynamic_stack 0
		.amdhsa_system_sgpr_private_segment_wavefront_offset 0
		.amdhsa_system_sgpr_workgroup_id_x 1
		.amdhsa_system_sgpr_workgroup_id_y 1
		.amdhsa_system_sgpr_workgroup_id_z 0
		.amdhsa_system_sgpr_workgroup_info 0
		.amdhsa_system_vgpr_workitem_id 1
		.amdhsa_next_free_vgpr 129
		.amdhsa_next_free_sgpr 98
		.amdhsa_reserve_vcc 1
		.amdhsa_reserve_flat_scratch 0
		.amdhsa_float_round_mode_32 0
		.amdhsa_float_round_mode_16_64 0
		.amdhsa_float_denorm_mode_32 3
		.amdhsa_float_denorm_mode_16_64 3
		.amdhsa_dx10_clamp 1
		.amdhsa_ieee_mode 1
		.amdhsa_fp16_overflow 0
		.amdhsa_exception_fp_ieee_invalid_op 0
		.amdhsa_exception_fp_denorm_src 0
		.amdhsa_exception_fp_ieee_div_zero 0
		.amdhsa_exception_fp_ieee_overflow 0
		.amdhsa_exception_fp_ieee_underflow 0
		.amdhsa_exception_fp_ieee_inexact 0
		.amdhsa_exception_int_div_zero 0
	.end_amdhsa_kernel
	.section	.text._ZL8moe_q5_1IN3c108BFloat16ELb0EEvPKvS3_PT_PKiS7_S7_iiiiiii,"axG",@progbits,_ZL8moe_q5_1IN3c108BFloat16ELb0EEvPKvS3_PT_PKiS7_S7_iiiiiii,comdat
.Lfunc_end223:
	.size	_ZL8moe_q5_1IN3c108BFloat16ELb0EEvPKvS3_PT_PKiS7_S7_iiiiiii, .Lfunc_end223-_ZL8moe_q5_1IN3c108BFloat16ELb0EEvPKvS3_PT_PKiS7_S7_iiiiiii
                                        ; -- End function
	.set _ZL8moe_q5_1IN3c108BFloat16ELb0EEvPKvS3_PT_PKiS7_S7_iiiiiii.num_vgpr, 122
	.set _ZL8moe_q5_1IN3c108BFloat16ELb0EEvPKvS3_PT_PKiS7_S7_iiiiiii.num_agpr, 0
	.set _ZL8moe_q5_1IN3c108BFloat16ELb0EEvPKvS3_PT_PKiS7_S7_iiiiiii.numbered_sgpr, 24
	.set _ZL8moe_q5_1IN3c108BFloat16ELb0EEvPKvS3_PT_PKiS7_S7_iiiiiii.num_named_barrier, 0
	.set _ZL8moe_q5_1IN3c108BFloat16ELb0EEvPKvS3_PT_PKiS7_S7_iiiiiii.private_seg_size, 0
	.set _ZL8moe_q5_1IN3c108BFloat16ELb0EEvPKvS3_PT_PKiS7_S7_iiiiiii.uses_vcc, 1
	.set _ZL8moe_q5_1IN3c108BFloat16ELb0EEvPKvS3_PT_PKiS7_S7_iiiiiii.uses_flat_scratch, 0
	.set _ZL8moe_q5_1IN3c108BFloat16ELb0EEvPKvS3_PT_PKiS7_S7_iiiiiii.has_dyn_sized_stack, 0
	.set _ZL8moe_q5_1IN3c108BFloat16ELb0EEvPKvS3_PT_PKiS7_S7_iiiiiii.has_recursion, 0
	.set _ZL8moe_q5_1IN3c108BFloat16ELb0EEvPKvS3_PT_PKiS7_S7_iiiiiii.has_indirect_call, 0
	.section	.AMDGPU.csdata,"",@progbits
; Kernel info:
; codeLenInByte = 6540
; TotalNumSgprs: 28
; NumVgprs: 122
; ScratchSize: 0
; MemoryBound: 0
; FloatMode: 240
; IeeeMode: 1
; LDSByteSize: 38656 bytes/workgroup (compile time only)
; SGPRBlocks: 12
; VGPRBlocks: 32
; NumSGPRsForWavesPerEU: 102
; NumVGPRsForWavesPerEU: 129
; Occupancy: 1
; WaveLimiterHint : 1
; COMPUTE_PGM_RSRC2:SCRATCH_EN: 0
; COMPUTE_PGM_RSRC2:USER_SGPR: 6
; COMPUTE_PGM_RSRC2:TRAP_HANDLER: 0
; COMPUTE_PGM_RSRC2:TGID_X_EN: 1
; COMPUTE_PGM_RSRC2:TGID_Y_EN: 1
; COMPUTE_PGM_RSRC2:TGID_Z_EN: 0
; COMPUTE_PGM_RSRC2:TIDIG_COMP_CNT: 1
	.section	.text._ZL8moe_q5_1IN3c108BFloat16ELb1EEvPKvS3_PT_PKiS7_S7_iiiiiii,"axG",@progbits,_ZL8moe_q5_1IN3c108BFloat16ELb1EEvPKvS3_PT_PKiS7_S7_iiiiiii,comdat
	.globl	_ZL8moe_q5_1IN3c108BFloat16ELb1EEvPKvS3_PT_PKiS7_S7_iiiiiii ; -- Begin function _ZL8moe_q5_1IN3c108BFloat16ELb1EEvPKvS3_PT_PKiS7_S7_iiiiiii
	.p2align	8
	.type	_ZL8moe_q5_1IN3c108BFloat16ELb1EEvPKvS3_PT_PKiS7_S7_iiiiiii,@function
_ZL8moe_q5_1IN3c108BFloat16ELb1EEvPKvS3_PT_PKiS7_S7_iiiiiii: ; @_ZL8moe_q5_1IN3c108BFloat16ELb1EEvPKvS3_PT_PKiS7_S7_iiiiiii
; %bb.0:
	s_load_dwordx4 s[0:3], s[4:5], 0x18
	s_mov_b32 s8, s7
	s_mov_b32 s9, 0
	s_lshl_b64 s[10:11], s[8:9], 2
	s_waitcnt lgkmcnt(0)
	s_add_u32 s2, s2, s10
	s_addc_u32 s3, s3, s11
	s_load_dword s2, s[2:3], 0x0
	s_waitcnt lgkmcnt(0)
	s_cmpk_gt_u32 s2, 0xff
	s_cbranch_scc1 .LBB224_30
; %bb.1:
	s_load_dwordx2 s[10:11], s[4:5], 0x28
	s_lshl_b32 s3, s8, 3
	s_waitcnt lgkmcnt(0)
	s_load_dword s7, s[10:11], 0x0
	s_waitcnt lgkmcnt(0)
	s_cmp_gt_u32 s3, s7
	s_cbranch_scc1 .LBB224_30
; %bb.2:
	v_add_u32_e32 v17, s3, v1
	v_mov_b32_e32 v18, 0
	v_lshlrev_b64 v[2:3], 2, v[17:18]
	v_mov_b32_e32 v4, s1
	v_add_co_u32_e32 v2, vcc, s0, v2
	v_addc_co_u32_e32 v3, vcc, v4, v3, vcc
	global_load_dword v23, v[2:3], off
	s_load_dwordx8 s[8:15], s[4:5], 0x30
	s_load_dwordx2 s[16:17], s[4:5], 0x10
	s_waitcnt lgkmcnt(0)
	s_lshl_b32 s15, s6, 7
	v_mov_b32_e32 v49, v18
	v_mov_b32_e32 v52, v18
	s_cmp_lt_i32 s9, 32
	v_mov_b32_e32 v24, v18
	s_cbranch_scc1 .LBB224_21
; %bb.3:
	s_ashr_i32 s0, s9, 31
	s_lshr_b32 s0, s0, 27
	s_load_dwordx4 s[4:7], s[4:5], 0x0
	s_add_i32 s0, s9, s0
	s_ashr_i32 s20, s0, 5
	s_ashr_i32 s0, s12, 31
	s_lshr_b32 s0, s0, 27
	s_add_i32 s0, s12, s0
	s_mul_i32 s2, s2, s8
	s_ashr_i32 s12, s0, 5
	s_ashr_i32 s0, s2, 31
	s_waitcnt lgkmcnt(0)
	s_add_u32 s1, s4, s2
	s_mul_i32 s2, s20, s15
	s_addc_u32 s0, s5, s0
	s_mul_hi_i32 s3, s2, 24
	s_mul_i32 s2, s2, 24
	s_add_u32 s8, s1, s2
	s_addc_u32 s21, s0, s3
	s_not_b32 s0, s15
	s_add_i32 s2, s10, s0
	v_lshlrev_b32_e32 v19, 2, v0
	v_min_i32_e32 v2, s2, v1
	v_lshlrev_b32_e32 v18, 3, v0
	s_movk_i32 s18, 0x104
	v_mul_lo_u32 v27, v2, s20
	v_mad_u64_u32 v[2:3], s[0:1], v2, s18, v[18:19]
	v_add_u32_e32 v3, 8, v1
	v_min_i32_e32 v3, s2, v3
	v_mul_lo_u32 v28, v3, s20
	v_mad_u64_u32 v[3:4], s[0:1], v3, s18, v[18:19]
	v_add_u32_e32 v4, 16, v1
	v_min_i32_e32 v4, s2, v4
	;; [unrolled: 4-line block ×15, first 2 shown]
	v_mul_lo_u32 v42, v17, s20
	v_mad_u64_u32 v[17:18], s[0:1], v17, s18, v[18:19]
	v_lshrrev_b32_e32 v44, 3, v0
	v_lshl_add_u32 v18, v1, 2, v44
	v_min_i32_e32 v20, s2, v18
	v_ashrrev_i32_e32 v21, 31, v20
	v_lshrrev_b32_e32 v21, 30, v21
	v_mul_lo_u32 v45, v20, s20
	v_add_u32_e32 v21, v20, v21
	v_lshlrev_b32_e32 v49, 5, v20
	v_add_u32_e32 v20, 32, v18
	v_min_i32_e32 v20, s2, v20
	v_ashrrev_i32_e32 v47, 31, v20
	v_lshrrev_b32_e32 v47, 30, v47
	v_mul_lo_u32 v46, v20, s20
	v_add_u32_e32 v47, v20, v47
	v_lshlrev_b32_e32 v68, 5, v20
	v_add_u32_e32 v20, 64, v18
	v_min_i32_e32 v20, s2, v20
	v_and_b32_e32 v43, 7, v0
	v_ashrrev_i32_e32 v48, 31, v20
	v_add_u32_e32 v18, 0x60, v18
	v_lshlrev_b32_e32 v22, 2, v43
	s_mov_b32 s0, 0x8200
	v_and_b32_e32 v47, -4, v47
	v_lshrrev_b32_e32 v48, 30, v48
	v_min_i32_e32 v18, s2, v18
	v_add3_u32 v52, v47, v22, s0
	v_mul_lo_u32 v47, v20, s20
	v_add_u32_e32 v48, v20, v48
	v_lshlrev_b32_e32 v70, 5, v20
	v_ashrrev_i32_e32 v20, 31, v18
	v_lshrrev_b32_e32 v20, 30, v20
	v_add_u32_e32 v20, v18, v20
	v_and_b32_e32 v21, -4, v21
	v_and_b32_e32 v48, -4, v48
	;; [unrolled: 1-line block ×3, first 2 shown]
	s_abs_i32 s2, s14
	v_add3_u32 v21, v21, v22, s0
	v_add3_u32 v69, v48, v22, s0
	;; [unrolled: 1-line block ×3, first 2 shown]
	v_cvt_f32_u32_e32 v20, s2
	s_sub_i32 s0, 0, s2
	v_mov_b32_e32 v50, 0x9280
	v_mov_b32_e32 v53, 0x9680
	v_rcp_iflag_f32_e32 v20, v20
	v_lshl_add_u32 v50, v1, 7, v50
	v_lshl_add_u32 v1, v1, 4, v53
	v_and_b32_e32 v26, 12, v19
	v_mul_f32_e32 v20, 0x4f7ffffe, v20
	v_cvt_u32_f32_e32 v20, v20
	v_and_b32_e32 v57, 28, v19
	v_add_u32_e32 v53, v1, v19
	s_waitcnt vmcnt(0)
	v_xor_b32_e32 v61, s14, v23
	v_mul_lo_u32 v54, s0, v20
	v_ashrrev_i32_e32 v61, 31, v61
	v_mul_lo_u32 v48, v18, s20
	v_add_u32_e32 v60, 32, v0
	v_mul_hi_u32 v19, v20, v54
	v_sub_u32_e32 v54, 0, v23
	v_max_i32_e32 v56, v23, v54
	v_add_u32_e32 v59, 64, v0
	v_add_u32_e32 v19, v20, v19
	v_mul_hi_u32 v19, v56, v19
	v_add_u32_e32 v58, 0x60, v0
	v_lshrrev_b32_e32 v55, 3, v60
	v_and_b32_e32 v58, 0x1fc, v58
	v_mul_lo_u32 v20, v19, s2
	v_and_b32_e32 v59, 0x1fc, v59
	v_and_b32_e32 v60, 0x1fc, v60
	;; [unrolled: 1-line block ×3, first 2 shown]
	v_sub_u32_e32 v20, v56, v20
	v_add_u32_e32 v56, 1, v19
	v_cmp_le_u32_e64 s[0:1], s2, v20
	v_cndmask_b32_e64 v19, v19, v56, s[0:1]
	v_subrev_u32_e32 v56, s2, v20
	v_cndmask_b32_e64 v20, v20, v56, s[0:1]
	v_add_u32_e32 v56, 1, v19
	v_cmp_le_u32_e64 s[0:1], s2, v20
	v_cndmask_b32_e64 v19, v19, v56, s[0:1]
	v_xor_b32_e32 v19, v19, v61
	v_sub_u32_e32 v19, v19, v61
	v_mul_lo_u32 v56, v19, s12
	v_lshlrev_b32_e32 v61, 5, v0
	v_lshlrev_b32_e32 v18, 5, v18
	v_and_b32_e32 v51, 31, v0
	v_cmp_gt_u32_e32 vcc, 4, v0
	v_cmp_gt_i32_e64 s[0:1], s11, v19
	v_mov_b32_e32 v20, s7
	v_add_co_u32_e64 v19, s[2:3], s6, v57
	v_add_u32_e32 v62, v61, v58
	v_add_u32_e32 v63, v61, v59
	;; [unrolled: 1-line block ×4, first 2 shown]
	v_mov_b32_e32 v66, 0x80
	v_lshrrev_b32_e32 v25, 2, v0
	v_mov_b32_e32 v24, 0
	v_lshl_or_b32 v51, v51, 2, v50
	v_mul_u32_u24_e32 v54, 0x104, v0
	s_mov_b32 s10, 0
	v_addc_co_u32_e64 v20, s[2:3], 0, v20, s[2:3]
	s_and_b64 s[4:5], vcc, s[0:1]
	v_ashrrev_i32_e32 v57, 31, v56
	v_add_u32_e32 v58, 0x8e00, v62
	v_add_u32_e32 v59, 0x8a00, v63
	;; [unrolled: 1-line block ×8, first 2 shown]
	v_mad_u32_u24 v66, v0, s18, v66
	v_add_u32_e32 v67, v21, v49
	v_add_u32_e32 v68, v52, v68
	;; [unrolled: 1-line block ×4, first 2 shown]
	v_mov_b32_e32 v52, 0
	v_mov_b32_e32 v49, 0
	;; [unrolled: 1-line block ×3, first 2 shown]
	s_branch .LBB224_5
.LBB224_4:                              ;   in Loop: Header=BB224_5 Depth=1
	s_add_i32 s10, s10, 8
	s_cmp_ge_i32 s10, s20
	s_cbranch_scc1 .LBB224_21
.LBB224_5:                              ; =>This Loop Header: Depth=1
                                        ;     Child Loop BB224_11 Depth 2
                                        ;     Child Loop BB224_19 Depth 2
	s_mul_i32 s3, s10, 24
	s_mul_hi_u32 s2, s10, 24
	s_add_u32 s18, s8, s3
	s_addc_u32 s19, s21, s2
	v_mad_u64_u32 v[21:22], s[2:3], v25, 24, s[18:19]
	v_mad_i64_i32 v[71:72], s[2:3], v27, 24, v[21:22]
	v_add_co_u32_e64 v73, s[2:3], v71, v26
	v_addc_co_u32_e64 v74, s[2:3], 0, v72, s[2:3]
	v_mad_i64_i32 v[77:78], s[2:3], v30, 24, v[21:22]
	v_mad_i64_i32 v[75:76], s[2:3], v29, 24, v[21:22]
	;; [unrolled: 1-line block ×3, first 2 shown]
	global_load_dword v87, v[73:74], off offset:8
	global_load_dword v88, v[77:78], off offset:4
	;; [unrolled: 1-line block ×5, first 2 shown]
	v_add_co_u32_e64 v71, s[2:3], v79, v26
	v_addc_co_u32_e64 v72, s[2:3], 0, v80, s[2:3]
	global_load_dword v92, v[71:72], off offset:8
	v_add_co_u32_e64 v71, s[2:3], v75, v26
	v_addc_co_u32_e64 v72, s[2:3], 0, v76, s[2:3]
	v_add_co_u32_e64 v73, s[2:3], v77, v26
	v_addc_co_u32_e64 v74, s[2:3], 0, v78, s[2:3]
	global_load_dword v93, v[71:72], off offset:8
	global_load_dword v94, v[73:74], off offset:8
	v_mad_i64_i32 v[71:72], s[2:3], v31, 24, v[21:22]
	v_mad_i64_i32 v[73:74], s[2:3], v32, 24, v[21:22]
	v_mad_i64_i32 v[75:76], s[2:3], v33, 24, v[21:22]
	v_mad_i64_i32 v[77:78], s[2:3], v34, 24, v[21:22]
	v_add_co_u32_e64 v79, s[2:3], v71, v26
	v_addc_co_u32_e64 v80, s[2:3], 0, v72, s[2:3]
	v_add_co_u32_e64 v81, s[2:3], v73, v26
	v_addc_co_u32_e64 v82, s[2:3], 0, v74, s[2:3]
	;; [unrolled: 2-line block ×4, first 2 shown]
	global_load_dword v95, v[79:80], off offset:8
	global_load_dword v96, v[81:82], off offset:8
	;; [unrolled: 1-line block ×8, first 2 shown]
	s_waitcnt vmcnt(15)
	v_lshrrev_b32_e32 v73, 4, v87
	v_and_b32_e32 v72, 0xf0f0f0f, v87
	v_and_b32_e32 v73, 0xf0f0f0f, v73
	s_waitcnt vmcnt(12)
	v_ashrrev_i32_e32 v74, v26, v90
	s_waitcnt vmcnt(11)
	v_ashrrev_i32_e32 v71, v26, v91
	v_lshlrev_b32_e32 v76, 4, v71
	v_lshlrev_b32_e32 v77, 11, v71
	v_lshrrev_b32_e32 v80, 12, v71
	v_lshrrev_b32_e32 v81, 5, v71
	v_lshlrev_b32_e32 v78, 18, v71
	v_lshlrev_b32_e32 v79, 25, v71
	v_lshlrev_b32_e32 v82, 2, v71
	v_lshlrev_b32_e32 v71, 9, v71
	v_and_b32_e32 v76, 16, v76
	v_and_b32_e32 v77, 0x1000, v77
	;; [unrolled: 1-line block ×8, first 2 shown]
	v_or3_b32 v72, v76, v72, v77
	v_or3_b32 v73, v80, v73, v81
	v_or3_b32 v72, v72, v78, v79
	v_or3_b32 v71, v73, v82, v71
	v_lshlrev_b32_e32 v83, 4, v74
	ds_write2_b32 v2, v72, v71 offset1:1
	v_lshlrev_b32_e32 v72, 11, v74
	s_waitcnt vmcnt(10)
	v_and_b32_e32 v75, 0xf0f0f0f, v92
	v_and_b32_e32 v71, 16, v83
	;; [unrolled: 1-line block ×3, first 2 shown]
	v_or3_b32 v71, v71, v75, v72
	v_lshlrev_b32_e32 v72, 18, v74
	v_lshlrev_b32_e32 v73, 25, v74
	v_and_b32_e32 v72, 0x100000, v72
	v_and_b32_e32 v73, 0x10000000, v73
	v_or3_b32 v71, v71, v72, v73
	v_lshrrev_b32_e32 v72, 4, v92
	v_lshrrev_b32_e32 v73, 12, v74
	;; [unrolled: 1-line block ×3, first 2 shown]
	v_and_b32_e32 v72, 0xf0f0f0f, v72
	v_and_b32_e32 v73, 16, v73
	;; [unrolled: 1-line block ×3, first 2 shown]
	v_or3_b32 v72, v73, v72, v75
	v_lshlrev_b32_e32 v73, 2, v74
	v_lshlrev_b32_e32 v74, 9, v74
	v_and_b32_e32 v73, 0x100000, v73
	v_and_b32_e32 v74, 0x10000000, v74
	v_or3_b32 v72, v72, v73, v74
	ds_write2_b32 v3, v71, v72 offset1:1
	v_ashrrev_i32_e32 v71, v26, v89
	v_lshlrev_b32_e32 v73, 4, v71
	v_lshlrev_b32_e32 v74, 11, v71
	s_waitcnt vmcnt(9)
	v_and_b32_e32 v72, 0xf0f0f0f, v93
	v_and_b32_e32 v73, 16, v73
	;; [unrolled: 1-line block ×3, first 2 shown]
	v_or3_b32 v72, v73, v72, v74
	v_lshlrev_b32_e32 v73, 18, v71
	v_lshlrev_b32_e32 v74, 25, v71
	v_and_b32_e32 v73, 0x100000, v73
	v_and_b32_e32 v74, 0x10000000, v74
	v_or3_b32 v72, v72, v73, v74
	v_lshrrev_b32_e32 v73, 4, v93
	v_lshrrev_b32_e32 v74, 12, v71
	;; [unrolled: 1-line block ×3, first 2 shown]
	v_and_b32_e32 v73, 0xf0f0f0f, v73
	v_and_b32_e32 v74, 16, v74
	v_and_b32_e32 v75, 0x1000, v75
	v_or3_b32 v73, v74, v73, v75
	v_lshlrev_b32_e32 v74, 2, v71
	v_lshlrev_b32_e32 v71, 9, v71
	v_and_b32_e32 v74, 0x100000, v74
	v_and_b32_e32 v71, 0x10000000, v71
	v_or3_b32 v71, v73, v74, v71
	ds_write2_b32 v4, v72, v71 offset1:1
	v_ashrrev_i32_e32 v71, v26, v88
	v_lshlrev_b32_e32 v73, 4, v71
	v_lshlrev_b32_e32 v74, 11, v71
	s_waitcnt vmcnt(8)
	v_and_b32_e32 v72, 0xf0f0f0f, v94
	v_and_b32_e32 v73, 16, v73
	;; [unrolled: 1-line block ×3, first 2 shown]
	v_or3_b32 v72, v73, v72, v74
	v_lshlrev_b32_e32 v73, 18, v71
	v_lshlrev_b32_e32 v74, 25, v71
	v_and_b32_e32 v73, 0x100000, v73
	v_and_b32_e32 v74, 0x10000000, v74
	v_or3_b32 v72, v72, v73, v74
	v_lshrrev_b32_e32 v73, 4, v94
	v_lshrrev_b32_e32 v74, 12, v71
	;; [unrolled: 1-line block ×3, first 2 shown]
	v_and_b32_e32 v73, 0xf0f0f0f, v73
	v_and_b32_e32 v74, 16, v74
	;; [unrolled: 1-line block ×3, first 2 shown]
	v_or3_b32 v73, v74, v73, v75
	v_lshlrev_b32_e32 v74, 2, v71
	v_lshlrev_b32_e32 v71, 9, v71
	v_and_b32_e32 v74, 0x100000, v74
	v_and_b32_e32 v71, 0x10000000, v71
	v_or3_b32 v71, v73, v74, v71
	s_waitcnt vmcnt(0)
	v_ashrrev_i32_e32 v87, v26, v102
	ds_write2_b32 v5, v72, v71 offset1:1
	v_lshlrev_b32_e32 v72, 4, v87
	v_lshlrev_b32_e32 v73, 11, v87
	v_and_b32_e32 v71, 0xf0f0f0f, v95
	v_and_b32_e32 v72, 16, v72
	;; [unrolled: 1-line block ×3, first 2 shown]
	v_or3_b32 v71, v72, v71, v73
	v_lshlrev_b32_e32 v72, 18, v87
	v_lshlrev_b32_e32 v73, 25, v87
	v_and_b32_e32 v72, 0x100000, v72
	v_and_b32_e32 v73, 0x10000000, v73
	v_or3_b32 v88, v71, v72, v73
	v_lshrrev_b32_e32 v71, 4, v95
	v_lshrrev_b32_e32 v72, 12, v87
	;; [unrolled: 1-line block ×3, first 2 shown]
	v_and_b32_e32 v71, 0xf0f0f0f, v71
	v_and_b32_e32 v72, 16, v72
	;; [unrolled: 1-line block ×3, first 2 shown]
	v_or3_b32 v89, v72, v71, v73
	v_lshlrev_b32_e32 v71, 2, v87
	v_and_b32_e32 v90, 0x100000, v71
	v_mad_i64_i32 v[71:72], s[2:3], v35, 24, v[21:22]
	v_mad_i64_i32 v[73:74], s[2:3], v36, 24, v[21:22]
	v_add_co_u32_e64 v75, s[2:3], v71, v26
	v_addc_co_u32_e64 v76, s[2:3], 0, v72, s[2:3]
	v_add_co_u32_e64 v77, s[2:3], v73, v26
	v_addc_co_u32_e64 v78, s[2:3], 0, v74, s[2:3]
	v_mad_i64_i32 v[79:80], s[2:3], v37, 24, v[21:22]
	v_mad_i64_i32 v[81:82], s[2:3], v38, 24, v[21:22]
	v_add_co_u32_e64 v83, s[2:3], v79, v26
	v_addc_co_u32_e64 v84, s[2:3], 0, v80, s[2:3]
	v_add_co_u32_e64 v85, s[2:3], v81, v26
	v_addc_co_u32_e64 v86, s[2:3], 0, v82, s[2:3]
	global_load_dword v91, v[75:76], off offset:8
	global_load_dword v92, v[77:78], off offset:8
	;; [unrolled: 1-line block ×8, first 2 shown]
	v_lshlrev_b32_e32 v71, 9, v87
	v_and_b32_e32 v71, 0x10000000, v71
	v_or3_b32 v71, v89, v90, v71
	ds_write2_b32 v6, v88, v71 offset1:1
	v_ashrrev_i32_e32 v71, v26, v101
	v_lshlrev_b32_e32 v73, 4, v71
	v_lshlrev_b32_e32 v74, 11, v71
	v_and_b32_e32 v72, 0xf0f0f0f, v96
	v_and_b32_e32 v73, 16, v73
	v_and_b32_e32 v74, 0x1000, v74
	v_or3_b32 v72, v73, v72, v74
	v_lshlrev_b32_e32 v73, 18, v71
	v_lshlrev_b32_e32 v74, 25, v71
	v_and_b32_e32 v73, 0x100000, v73
	v_and_b32_e32 v74, 0x10000000, v74
	v_or3_b32 v72, v72, v73, v74
	v_lshrrev_b32_e32 v73, 4, v96
	v_lshrrev_b32_e32 v74, 12, v71
	v_lshrrev_b32_e32 v75, 5, v71
	v_and_b32_e32 v73, 0xf0f0f0f, v73
	v_and_b32_e32 v74, 16, v74
	v_and_b32_e32 v75, 0x1000, v75
	v_or3_b32 v73, v74, v73, v75
	v_lshlrev_b32_e32 v74, 2, v71
	v_lshlrev_b32_e32 v71, 9, v71
	v_and_b32_e32 v74, 0x100000, v74
	v_and_b32_e32 v71, 0x10000000, v71
	v_or3_b32 v71, v73, v74, v71
	ds_write2_b32 v7, v72, v71 offset1:1
	v_ashrrev_i32_e32 v71, v26, v100
	v_lshlrev_b32_e32 v73, 4, v71
	v_lshlrev_b32_e32 v74, 11, v71
	v_and_b32_e32 v72, 0xf0f0f0f, v97
	v_and_b32_e32 v73, 16, v73
	v_and_b32_e32 v74, 0x1000, v74
	v_or3_b32 v72, v73, v72, v74
	v_lshlrev_b32_e32 v73, 18, v71
	v_lshlrev_b32_e32 v74, 25, v71
	v_and_b32_e32 v73, 0x100000, v73
	v_and_b32_e32 v74, 0x10000000, v74
	v_or3_b32 v72, v72, v73, v74
	v_lshrrev_b32_e32 v73, 4, v97
	v_lshrrev_b32_e32 v74, 12, v71
	v_lshrrev_b32_e32 v75, 5, v71
	v_and_b32_e32 v73, 0xf0f0f0f, v73
	v_and_b32_e32 v74, 16, v74
	v_and_b32_e32 v75, 0x1000, v75
	v_or3_b32 v73, v74, v73, v75
	v_lshlrev_b32_e32 v74, 2, v71
	v_lshlrev_b32_e32 v71, 9, v71
	v_and_b32_e32 v74, 0x100000, v74
	;; [unrolled: 25-line block ×3, first 2 shown]
	v_and_b32_e32 v71, 0x10000000, v71
	v_or3_b32 v71, v73, v74, v71
	ds_write2_b32 v9, v72, v71 offset1:1
	s_waitcnt vmcnt(0)
	v_ashrrev_i32_e32 v85, v26, v104
	v_lshlrev_b32_e32 v72, 4, v85
	v_lshlrev_b32_e32 v73, 11, v85
	v_and_b32_e32 v71, 0xf0f0f0f, v91
	v_and_b32_e32 v72, 16, v72
	;; [unrolled: 1-line block ×3, first 2 shown]
	v_or3_b32 v71, v72, v71, v73
	v_lshlrev_b32_e32 v72, 18, v85
	v_lshlrev_b32_e32 v73, 25, v85
	v_and_b32_e32 v72, 0x100000, v72
	v_and_b32_e32 v73, 0x10000000, v73
	v_or3_b32 v86, v71, v72, v73
	v_lshrrev_b32_e32 v71, 4, v91
	v_lshrrev_b32_e32 v72, 12, v85
	;; [unrolled: 1-line block ×3, first 2 shown]
	v_and_b32_e32 v71, 0xf0f0f0f, v71
	v_and_b32_e32 v72, 16, v72
	;; [unrolled: 1-line block ×3, first 2 shown]
	v_or3_b32 v87, v72, v71, v73
	v_lshlrev_b32_e32 v71, 2, v85
	v_and_b32_e32 v88, 0x100000, v71
	v_mad_i64_i32 v[71:72], s[2:3], v39, 24, v[21:22]
	v_mad_i64_i32 v[73:74], s[2:3], v40, 24, v[21:22]
	v_add_co_u32_e64 v75, s[2:3], v71, v26
	v_addc_co_u32_e64 v76, s[2:3], 0, v72, s[2:3]
	v_add_co_u32_e64 v77, s[2:3], v73, v26
	v_addc_co_u32_e64 v78, s[2:3], 0, v74, s[2:3]
	v_mad_i64_i32 v[79:80], s[2:3], v41, 24, v[21:22]
	v_mad_i64_i32 v[21:22], s[2:3], v42, 24, v[21:22]
	v_add_co_u32_e64 v81, s[2:3], v79, v26
	v_addc_co_u32_e64 v82, s[2:3], 0, v80, s[2:3]
	v_add_co_u32_e64 v83, s[2:3], v21, v26
	v_addc_co_u32_e64 v84, s[2:3], 0, v22, s[2:3]
	global_load_dword v89, v[75:76], off offset:8
	global_load_dword v90, v[77:78], off offset:8
	;; [unrolled: 1-line block ×8, first 2 shown]
	v_lshlrev_b32_e32 v21, 9, v85
	v_and_b32_e32 v21, 0x10000000, v21
	v_or3_b32 v21, v87, v88, v21
	ds_write2_b32 v10, v86, v21 offset1:1
	v_ashrrev_i32_e32 v21, v26, v103
	v_lshlrev_b32_e32 v71, 4, v21
	v_lshlrev_b32_e32 v72, 11, v21
	v_and_b32_e32 v22, 0xf0f0f0f, v92
	v_and_b32_e32 v71, 16, v71
	v_and_b32_e32 v72, 0x1000, v72
	v_or3_b32 v22, v71, v22, v72
	v_lshlrev_b32_e32 v71, 18, v21
	v_lshlrev_b32_e32 v72, 25, v21
	v_and_b32_e32 v71, 0x100000, v71
	v_and_b32_e32 v72, 0x10000000, v72
	v_or3_b32 v22, v22, v71, v72
	v_lshrrev_b32_e32 v71, 4, v92
	v_lshrrev_b32_e32 v72, 12, v21
	v_lshrrev_b32_e32 v73, 5, v21
	v_and_b32_e32 v71, 0xf0f0f0f, v71
	v_and_b32_e32 v72, 16, v72
	v_and_b32_e32 v73, 0x1000, v73
	v_or3_b32 v71, v72, v71, v73
	v_lshlrev_b32_e32 v72, 2, v21
	v_lshlrev_b32_e32 v21, 9, v21
	v_and_b32_e32 v72, 0x100000, v72
	v_and_b32_e32 v21, 0x10000000, v21
	v_or3_b32 v21, v71, v72, v21
	ds_write2_b32 v11, v22, v21 offset1:1
	v_ashrrev_i32_e32 v21, v26, v102
	v_lshlrev_b32_e32 v71, 4, v21
	v_lshlrev_b32_e32 v72, 11, v21
	v_and_b32_e32 v22, 0xf0f0f0f, v93
	v_and_b32_e32 v71, 16, v71
	v_and_b32_e32 v72, 0x1000, v72
	v_or3_b32 v22, v71, v22, v72
	v_lshlrev_b32_e32 v71, 18, v21
	v_lshlrev_b32_e32 v72, 25, v21
	v_and_b32_e32 v71, 0x100000, v71
	v_and_b32_e32 v72, 0x10000000, v72
	v_or3_b32 v22, v22, v71, v72
	v_lshrrev_b32_e32 v71, 4, v93
	v_lshrrev_b32_e32 v72, 12, v21
	v_lshrrev_b32_e32 v73, 5, v21
	v_and_b32_e32 v71, 0xf0f0f0f, v71
	v_and_b32_e32 v72, 16, v72
	v_and_b32_e32 v73, 0x1000, v73
	v_or3_b32 v71, v72, v71, v73
	v_lshlrev_b32_e32 v72, 2, v21
	v_lshlrev_b32_e32 v21, 9, v21
	v_and_b32_e32 v72, 0x100000, v72
	v_and_b32_e32 v21, 0x10000000, v21
	v_or3_b32 v21, v71, v72, v21
	ds_write2_b32 v12, v22, v21 offset1:1
	v_ashrrev_i32_e32 v21, v26, v95
	v_lshlrev_b32_e32 v71, 4, v21
	v_lshlrev_b32_e32 v72, 11, v21
	v_and_b32_e32 v22, 0xf0f0f0f, v94
	v_and_b32_e32 v71, 16, v71
	v_and_b32_e32 v72, 0x1000, v72
	v_or3_b32 v22, v71, v22, v72
	v_lshlrev_b32_e32 v71, 18, v21
	v_lshlrev_b32_e32 v72, 25, v21
	v_and_b32_e32 v71, 0x100000, v71
	v_and_b32_e32 v72, 0x10000000, v72
	v_or3_b32 v22, v22, v71, v72
	v_lshrrev_b32_e32 v71, 4, v94
	v_lshrrev_b32_e32 v72, 12, v21
	v_lshrrev_b32_e32 v73, 5, v21
	v_and_b32_e32 v71, 0xf0f0f0f, v71
	v_and_b32_e32 v72, 16, v72
	v_and_b32_e32 v73, 0x1000, v73
	v_or3_b32 v71, v72, v71, v73
	v_lshlrev_b32_e32 v72, 2, v21
	v_lshlrev_b32_e32 v21, 9, v21
	v_and_b32_e32 v72, 0x100000, v72
	v_and_b32_e32 v21, 0x10000000, v21
	v_or3_b32 v21, v71, v72, v21
	ds_write2_b32 v13, v22, v21 offset1:1
	s_waitcnt vmcnt(0)
	v_ashrrev_i32_e32 v21, v26, v100
	v_lshlrev_b32_e32 v71, 4, v21
	v_lshlrev_b32_e32 v72, 11, v21
	v_and_b32_e32 v22, 0xf0f0f0f, v89
	v_and_b32_e32 v71, 16, v71
	;; [unrolled: 1-line block ×3, first 2 shown]
	v_or3_b32 v22, v71, v22, v72
	v_lshlrev_b32_e32 v71, 18, v21
	v_lshlrev_b32_e32 v72, 25, v21
	v_and_b32_e32 v71, 0x100000, v71
	v_and_b32_e32 v72, 0x10000000, v72
	v_or3_b32 v77, v22, v71, v72
	v_lshrrev_b32_e32 v22, 4, v89
	v_lshrrev_b32_e32 v71, 12, v21
	;; [unrolled: 1-line block ×3, first 2 shown]
	v_and_b32_e32 v22, 0xf0f0f0f, v22
	v_and_b32_e32 v71, 16, v71
	;; [unrolled: 1-line block ×3, first 2 shown]
	v_or3_b32 v71, v71, v22, v72
	v_lshlrev_b32_e32 v22, 2, v21
	v_and_b32_e32 v72, 0x100000, v22
	v_lshlrev_b32_e32 v73, 9, v21
	v_mad_u64_u32 v[21:22], s[2:3], v43, 24, s[18:19]
	v_and_b32_e32 v73, 0x10000000, v73
	v_or3_b32 v78, v71, v72, v73
	v_mad_i64_i32 v[71:72], s[2:3], v45, 24, v[21:22]
	v_mad_i64_i32 v[73:74], s[2:3], v46, 24, v[21:22]
	;; [unrolled: 1-line block ×4, first 2 shown]
	global_load_dword v79, v[71:72], off
	global_load_dword v80, v[73:74], off
	;; [unrolled: 1-line block ×3, first 2 shown]
	v_ashrrev_i32_e32 v71, v26, v99
	global_load_dword v21, v[21:22], off
	v_lshlrev_b32_e32 v72, 4, v71
	v_lshlrev_b32_e32 v73, 11, v71
	v_and_b32_e32 v22, 0xf0f0f0f, v90
	v_and_b32_e32 v72, 16, v72
	;; [unrolled: 1-line block ×3, first 2 shown]
	v_or3_b32 v22, v72, v22, v73
	v_lshlrev_b32_e32 v72, 18, v71
	v_lshlrev_b32_e32 v73, 25, v71
	v_and_b32_e32 v72, 0x100000, v72
	v_and_b32_e32 v73, 0x10000000, v73
	v_or3_b32 v22, v22, v72, v73
	v_lshrrev_b32_e32 v72, 4, v90
	v_lshrrev_b32_e32 v73, 12, v71
	;; [unrolled: 1-line block ×3, first 2 shown]
	v_and_b32_e32 v72, 0xf0f0f0f, v72
	v_and_b32_e32 v73, 16, v73
	;; [unrolled: 1-line block ×3, first 2 shown]
	v_or3_b32 v72, v73, v72, v74
	v_lshlrev_b32_e32 v73, 2, v71
	v_lshlrev_b32_e32 v71, 9, v71
	v_and_b32_e32 v73, 0x100000, v73
	v_and_b32_e32 v71, 0x10000000, v71
	v_or3_b32 v71, v72, v73, v71
	ds_write2_b32 v14, v77, v78 offset1:1
	ds_write2_b32 v15, v22, v71 offset1:1
	v_ashrrev_i32_e32 v22, v26, v98
	v_lshlrev_b32_e32 v72, 4, v22
	v_lshlrev_b32_e32 v73, 11, v22
	v_and_b32_e32 v71, 0xf0f0f0f, v91
	v_and_b32_e32 v72, 16, v72
	;; [unrolled: 1-line block ×3, first 2 shown]
	v_or3_b32 v71, v72, v71, v73
	v_lshlrev_b32_e32 v72, 18, v22
	v_lshlrev_b32_e32 v73, 25, v22
	v_and_b32_e32 v72, 0x100000, v72
	v_and_b32_e32 v73, 0x10000000, v73
	v_or3_b32 v71, v71, v72, v73
	v_lshrrev_b32_e32 v72, 4, v91
	v_lshrrev_b32_e32 v73, 12, v22
	;; [unrolled: 1-line block ×3, first 2 shown]
	v_and_b32_e32 v72, 0xf0f0f0f, v72
	v_and_b32_e32 v73, 16, v73
	;; [unrolled: 1-line block ×3, first 2 shown]
	v_or3_b32 v72, v73, v72, v74
	v_lshlrev_b32_e32 v73, 2, v22
	v_lshlrev_b32_e32 v22, 9, v22
	v_and_b32_e32 v73, 0x100000, v73
	v_and_b32_e32 v22, 0x10000000, v22
	v_or3_b32 v22, v72, v73, v22
	ds_write2_b32 v16, v71, v22 offset1:1
	v_ashrrev_i32_e32 v22, v26, v97
	v_lshlrev_b32_e32 v72, 4, v22
	v_lshlrev_b32_e32 v73, 11, v22
	v_and_b32_e32 v71, 0xf0f0f0f, v96
	v_and_b32_e32 v72, 16, v72
	v_and_b32_e32 v73, 0x1000, v73
	v_or3_b32 v71, v72, v71, v73
	v_lshlrev_b32_e32 v72, 18, v22
	v_lshlrev_b32_e32 v73, 25, v22
	v_and_b32_e32 v72, 0x100000, v72
	v_and_b32_e32 v73, 0x10000000, v73
	v_or3_b32 v71, v71, v72, v73
	v_lshrrev_b32_e32 v72, 4, v96
	v_lshrrev_b32_e32 v73, 12, v22
	v_lshrrev_b32_e32 v74, 5, v22
	v_and_b32_e32 v72, 0xf0f0f0f, v72
	v_and_b32_e32 v73, 16, v73
	;; [unrolled: 1-line block ×3, first 2 shown]
	v_or3_b32 v72, v73, v72, v74
	v_lshlrev_b32_e32 v73, 2, v22
	v_lshlrev_b32_e32 v22, 9, v22
	v_and_b32_e32 v73, 0x100000, v73
	v_and_b32_e32 v22, 0x10000000, v22
	s_lshl_b32 s18, s10, 5
	v_or3_b32 v22, v72, v73, v22
	s_cmp_lt_i32 s18, s9
	ds_write2_b32 v17, v71, v22 offset1:1
	s_waitcnt vmcnt(3)
	ds_write_b32 v67, v79
	s_waitcnt vmcnt(2)
	ds_write_b32 v68, v80
	;; [unrolled: 2-line block ×4, first 2 shown]
	s_cbranch_scc0 .LBB224_4
; %bb.6:                                ;   in Loop: Header=BB224_5 Depth=1
	v_add_u32_e32 v21, s10, v44
	v_cmp_gt_i32_e64 s[2:3], s12, v21
	s_and_b64 s[22:23], s[0:1], s[2:3]
	s_and_saveexec_b64 s[2:3], s[22:23]
	s_cbranch_execz .LBB224_8
; %bb.7:                                ;   in Loop: Header=BB224_5 Depth=1
	v_add_u32_e32 v21, v56, v21
	v_mad_i64_i32 v[21:22], s[22:23], v21, 36, v[19:20]
	global_load_dword v21, v[21:22], off offset:4
	s_waitcnt vmcnt(0)
	ds_write_b32 v51, v21
.LBB224_8:                              ;   in Loop: Header=BB224_5 Depth=1
	s_or_b64 exec, exec, s[2:3]
	v_add_u32_e32 v21, s10, v0
	v_cmp_gt_i32_e64 s[2:3], s12, v21
	s_and_b64 s[22:23], s[4:5], s[2:3]
	s_and_saveexec_b64 s[2:3], s[22:23]
	s_cbranch_execz .LBB224_10
; %bb.9:                                ;   in Loop: Header=BB224_5 Depth=1
	v_add_u32_e32 v22, v56, v21
	v_mad_i64_i32 v[71:72], s[22:23], v22, 36, s[6:7]
	global_load_dword v22, v[71:72], off
	s_waitcnt vmcnt(0)
	ds_write_b32 v53, v22
.LBB224_10:                             ;   in Loop: Header=BB224_5 Depth=1
	s_or_b64 exec, exec, s[2:3]
	s_mov_b32 s2, -4
	v_mov_b32_e32 v22, v50
	v_mov_b32_e32 v71, v54
	;; [unrolled: 1-line block ×7, first 2 shown]
	s_waitcnt lgkmcnt(0)
	s_barrier
.LBB224_11:                             ;   Parent Loop BB224_5 Depth=1
                                        ; =>  This Inner Loop Header: Depth=2
	ds_read_b128 v[77:80], v22
	ds_read_b128 v[81:84], v22 offset:16
	ds_read2_b32 v[85:86], v71 offset1:1
	ds_read2_b32 v[87:88], v71 offset0:2 offset1:3
	ds_read2_b32 v[89:90], v71 offset0:4 offset1:5
	ds_read2_b32 v[91:92], v71 offset0:6 offset1:7
	v_add_u32_e32 v93, 0x2080, v71
	v_add_u32_e32 v95, 0x2088, v71
	;; [unrolled: 1-line block ×12, first 2 shown]
	ds_read_b32 v117, v72
	ds_read_b32 v118, v73
	;; [unrolled: 1-line block ×5, first 2 shown]
	ds_read2_b32 v[93:94], v93 offset1:1
	ds_read2_b32 v[95:96], v95 offset1:1
	;; [unrolled: 1-line block ×12, first 2 shown]
	s_waitcnt lgkmcnt(14)
	v_dot4_i32_i8 v85, v85, v77, 0
	v_dot4_i32_i8 v85, v86, v81, v85
	s_waitcnt lgkmcnt(11)
	v_dot4_i32_i8 v86, v93, v77, 0
	s_waitcnt lgkmcnt(7)
	;; [unrolled: 2-line block ×3, first 2 shown]
	v_dot4_i32_i8 v77, v109, v77, 0
	v_dot4_i32_i8 v85, v87, v78, v85
	v_dot4_i32_i8 v86, v94, v81, v86
	v_dot4_i32_i8 v87, v102, v81, v93
	v_dot4_i32_i8 v77, v110, v81, v77
	v_dot4_i32_i8 v81, v88, v82, v85
	v_dot4_i32_i8 v85, v95, v78, v86
	v_dot4_i32_i8 v86, v103, v78, v87
	s_waitcnt lgkmcnt(2)
	v_dot4_i32_i8 v77, v111, v78, v77
	v_dot4_i32_i8 v78, v89, v79, v81
	v_dot4_i32_i8 v81, v96, v82, v85
	v_dot4_i32_i8 v85, v104, v82, v86
	v_dot4_i32_i8 v77, v112, v82, v77
	v_dot4_i32_i8 v78, v90, v83, v78
	v_dot4_i32_i8 v81, v97, v79, v81
	v_dot4_i32_i8 v82, v105, v79, v85
	s_waitcnt lgkmcnt(1)
	;; [unrolled: 9-line block ×3, first 2 shown]
	v_dot4_i32_i8 v77, v115, v80, v77
	v_cvt_f32_i32_e32 v78, v78
	v_dot4_i32_i8 v79, v100, v84, v79
	v_dot4_i32_i8 v80, v108, v84, v81
	;; [unrolled: 1-line block ×3, first 2 shown]
	v_cvt_f32_i32_e32 v79, v79
	v_cvt_f32_i32_e32 v80, v80
	;; [unrolled: 1-line block ×3, first 2 shown]
	v_pk_mul_f16 v118, v117, v118
	v_pk_mul_f16 v119, v117, v119
	;; [unrolled: 1-line block ×4, first 2 shown]
	v_fma_mix_f32 v78, v118, v78, v118 op_sel:[0,0,1] op_sel_hi:[1,0,1]
	s_add_i32 s2, s2, 4
	v_add_f32_e32 v24, v24, v78
	v_fma_mix_f32 v78, v119, v79, v119 op_sel:[0,0,1] op_sel_hi:[1,0,1]
	v_fma_mix_f32 v79, v120, v80, v120 op_sel:[0,0,1] op_sel_hi:[1,0,1]
	;; [unrolled: 1-line block ×3, first 2 shown]
	v_add_u32_e32 v76, 4, v76
	v_add_u32_e32 v75, 4, v75
	;; [unrolled: 1-line block ×7, first 2 shown]
	s_cmp_lt_u32 s2, 12
	v_add_f32_e32 v52, v52, v78
	v_add_f32_e32 v49, v49, v79
	;; [unrolled: 1-line block ×3, first 2 shown]
	s_cbranch_scc1 .LBB224_11
; %bb.12:                               ;   in Loop: Header=BB224_5 Depth=1
	s_bitset1_b32 s18, 7
	s_cmp_ge_i32 s18, s9
	s_barrier
	s_cbranch_scc1 .LBB224_4
; %bb.13:                               ;   in Loop: Header=BB224_5 Depth=1
	v_add_u32_e32 v22, s10, v55
	v_cmp_gt_i32_e64 s[2:3], s12, v22
	s_and_b64 s[18:19], s[0:1], s[2:3]
	s_and_saveexec_b64 s[2:3], s[18:19]
	s_cbranch_execz .LBB224_15
; %bb.14:                               ;   in Loop: Header=BB224_5 Depth=1
	v_add_u32_e32 v22, v56, v22
	v_mad_i64_i32 v[71:72], s[18:19], v22, 36, v[19:20]
	global_load_dword v22, v[71:72], off offset:4
	s_waitcnt vmcnt(0)
	ds_write_b32 v51, v22
.LBB224_15:                             ;   in Loop: Header=BB224_5 Depth=1
	s_or_b64 exec, exec, s[2:3]
	s_and_saveexec_b64 s[18:19], vcc
	s_cbranch_execz .LBB224_18
; %bb.16:                               ;   in Loop: Header=BB224_5 Depth=1
	v_or_b32_e32 v22, 4, v21
	v_cmp_gt_i32_e64 s[2:3], s12, v22
	s_and_b64 s[2:3], s[0:1], s[2:3]
	s_and_b64 exec, exec, s[2:3]
	s_cbranch_execz .LBB224_18
; %bb.17:                               ;   in Loop: Header=BB224_5 Depth=1
	v_ashrrev_i32_e32 v22, 31, v21
	v_add_co_u32_e64 v21, s[2:3], v56, v21
	v_addc_co_u32_e64 v71, s[2:3], v57, v22, s[2:3]
	v_mad_u64_u32 v[21:22], s[2:3], v21, 36, s[6:7]
	v_mad_i32_i24 v22, v71, 36, v22
	global_load_dword v21, v[21:22], off offset:144
	s_waitcnt vmcnt(0)
	ds_write_b32 v53, v21
.LBB224_18:                             ;   in Loop: Header=BB224_5 Depth=1
	s_or_b64 exec, exec, s[18:19]
	s_mov_b32 s2, 12
	v_mov_b32_e32 v21, v1
	v_mov_b32_e32 v22, v50
	;; [unrolled: 1-line block ×7, first 2 shown]
	s_waitcnt lgkmcnt(0)
	s_barrier
.LBB224_19:                             ;   Parent Loop BB224_5 Depth=1
                                        ; =>  This Inner Loop Header: Depth=2
	v_add_u32_e32 v92, 0x2080, v71
	v_add_u32_e32 v94, 0x2088, v71
	v_add_u32_e32 v96, 0x2090, v71
	v_add_u32_e32 v98, 0x2098, v71
	v_add_u32_e32 v100, 0x4100, v71
	v_add_u32_e32 v102, 0x4108, v71
	v_add_u32_e32 v104, 0x4110, v71
	v_add_u32_e32 v106, 0x4118, v71
	v_add_u32_e32 v108, 0x6180, v71
	v_add_u32_e32 v110, 0x6188, v71
	v_add_u32_e32 v112, 0x6190, v71
	v_add_u32_e32 v114, 0x6198, v71
	ds_read_b128 v[76:79], v22
	ds_read_b32 v116, v21
	ds_read_b128 v[80:83], v22 offset:16
	ds_read2_b32 v[84:85], v71 offset1:1
	ds_read_b32 v117, v72
	ds_read2_b32 v[86:87], v71 offset0:2 offset1:3
	ds_read2_b32 v[88:89], v71 offset0:4 offset1:5
	;; [unrolled: 1-line block ×3, first 2 shown]
	ds_read_b32 v118, v73
	ds_read_b32 v119, v74
	;; [unrolled: 1-line block ×3, first 2 shown]
	ds_read2_b32 v[92:93], v92 offset1:1
	ds_read2_b32 v[94:95], v94 offset1:1
	;; [unrolled: 1-line block ×12, first 2 shown]
	s_waitcnt lgkmcnt(14)
	v_dot4_i32_i8 v84, v84, v76, 0
	v_dot4_i32_i8 v84, v85, v80, v84
	s_waitcnt lgkmcnt(11)
	v_dot4_i32_i8 v85, v92, v76, 0
	s_waitcnt lgkmcnt(7)
	;; [unrolled: 2-line block ×3, first 2 shown]
	v_dot4_i32_i8 v76, v108, v76, 0
	v_dot4_i32_i8 v84, v86, v77, v84
	v_dot4_i32_i8 v85, v93, v80, v85
	v_dot4_i32_i8 v86, v101, v80, v92
	v_dot4_i32_i8 v76, v109, v80, v76
	v_dot4_i32_i8 v80, v87, v81, v84
	v_dot4_i32_i8 v84, v94, v77, v85
	v_dot4_i32_i8 v85, v102, v77, v86
	s_waitcnt lgkmcnt(2)
	v_dot4_i32_i8 v76, v110, v77, v76
	v_dot4_i32_i8 v77, v88, v78, v80
	v_dot4_i32_i8 v80, v95, v81, v84
	v_dot4_i32_i8 v84, v103, v81, v85
	v_dot4_i32_i8 v76, v111, v81, v76
	v_dot4_i32_i8 v77, v89, v82, v77
	v_dot4_i32_i8 v80, v96, v78, v80
	v_dot4_i32_i8 v81, v104, v78, v84
	s_waitcnt lgkmcnt(1)
	;; [unrolled: 9-line block ×3, first 2 shown]
	v_dot4_i32_i8 v76, v114, v79, v76
	v_cvt_f32_i32_e32 v77, v77
	v_dot4_i32_i8 v78, v99, v83, v78
	v_dot4_i32_i8 v79, v107, v83, v80
	;; [unrolled: 1-line block ×3, first 2 shown]
	v_cvt_f32_i32_e32 v78, v78
	v_cvt_f32_i32_e32 v79, v79
	;; [unrolled: 1-line block ×3, first 2 shown]
	v_pk_mul_f16 v117, v116, v117
	v_pk_mul_f16 v118, v116, v118
	;; [unrolled: 1-line block ×4, first 2 shown]
	v_fma_mix_f32 v77, v117, v77, v117 op_sel:[0,0,1] op_sel_hi:[1,0,1]
	s_add_i32 s2, s2, 4
	v_add_f32_e32 v24, v24, v77
	v_fma_mix_f32 v77, v118, v78, v118 op_sel:[0,0,1] op_sel_hi:[1,0,1]
	v_fma_mix_f32 v78, v119, v79, v119 op_sel:[0,0,1] op_sel_hi:[1,0,1]
	;; [unrolled: 1-line block ×3, first 2 shown]
	v_add_u32_e32 v75, 4, v75
	v_add_u32_e32 v74, 4, v74
	v_add_u32_e32 v73, 4, v73
	v_add_u32_e32 v72, 4, v72
	v_add_u32_e32 v71, 32, v71
	v_add_u32_e32 v22, 32, v22
	v_add_u32_e32 v21, 4, v21
	s_cmp_lt_u32 s2, 28
	v_add_f32_e32 v52, v52, v77
	v_add_f32_e32 v49, v49, v78
	;; [unrolled: 1-line block ×3, first 2 shown]
	s_cbranch_scc1 .LBB224_19
; %bb.20:                               ;   in Loop: Header=BB224_5 Depth=1
	s_barrier
	s_branch .LBB224_4
.LBB224_21:
	s_mul_i32 s0, s14, s11
	s_waitcnt vmcnt(0)
	v_cmp_gt_i32_e32 vcc, s0, v23
	s_and_saveexec_b64 s[0:1], vcc
	s_cbranch_execz .LBB224_30
; %bb.22:
	v_mul_lo_u32 v1, v23, s13
	v_add_u32_e32 v0, s15, v0
	v_cmp_gt_u32_e32 vcc, s13, v0
	s_and_saveexec_b64 s[0:1], vcc
	s_cbranch_execz .LBB224_24
; %bb.23:
	v_bfe_u32 v2, v24, 16, 1
	s_movk_i32 s2, 0x7fff
	v_add3_u32 v2, v24, v2, s2
	v_cmp_o_f32_e32 vcc, v24, v24
	v_mov_b32_e32 v3, 0x7fc0
	v_cndmask_b32_sdwa v4, v3, v2, vcc dst_sel:DWORD dst_unused:UNUSED_PAD src0_sel:DWORD src1_sel:WORD_1
	v_add_u32_e32 v2, v1, v0
	v_mov_b32_e32 v3, 0
	v_lshlrev_b64 v[2:3], 1, v[2:3]
	v_mov_b32_e32 v5, s17
	v_add_co_u32_e32 v2, vcc, s16, v2
	v_addc_co_u32_e32 v3, vcc, v5, v3, vcc
	global_store_short v[2:3], v4, off
.LBB224_24:
	s_or_b64 exec, exec, s[0:1]
	v_add_u32_e32 v2, 32, v0
	v_cmp_gt_u32_e32 vcc, s13, v2
	s_and_saveexec_b64 s[0:1], vcc
	s_cbranch_execz .LBB224_26
; %bb.25:
	v_bfe_u32 v3, v52, 16, 1
	s_movk_i32 s2, 0x7fff
	v_add3_u32 v3, v52, v3, s2
	v_cmp_o_f32_e32 vcc, v52, v52
	v_mov_b32_e32 v4, 0x7fc0
	v_cndmask_b32_sdwa v4, v4, v3, vcc dst_sel:DWORD dst_unused:UNUSED_PAD src0_sel:DWORD src1_sel:WORD_1
	v_add_u32_e32 v2, v1, v2
	v_mov_b32_e32 v3, 0
	v_lshlrev_b64 v[2:3], 1, v[2:3]
	v_mov_b32_e32 v5, s17
	v_add_co_u32_e32 v2, vcc, s16, v2
	v_addc_co_u32_e32 v3, vcc, v5, v3, vcc
	global_store_short v[2:3], v4, off
.LBB224_26:
	s_or_b64 exec, exec, s[0:1]
	;; [unrolled: 20-line block ×3, first 2 shown]
	v_add_u32_e32 v0, 0x60, v0
	v_cmp_gt_u32_e32 vcc, s13, v0
	s_and_b64 exec, exec, vcc
	s_cbranch_execz .LBB224_30
; %bb.29:
	v_add_u32_e32 v0, v1, v0
	v_mov_b32_e32 v1, 0
	v_bfe_u32 v2, v18, 16, 1
	s_movk_i32 s0, 0x7fff
	v_lshlrev_b64 v[0:1], 1, v[0:1]
	v_add3_u32 v2, v18, v2, s0
	v_cmp_o_f32_e32 vcc, v18, v18
	v_mov_b32_e32 v3, 0x7fc0
	v_cndmask_b32_sdwa v2, v3, v2, vcc dst_sel:DWORD dst_unused:UNUSED_PAD src0_sel:DWORD src1_sel:WORD_1
	v_mov_b32_e32 v3, s17
	v_add_co_u32_e32 v0, vcc, s16, v0
	v_addc_co_u32_e32 v1, vcc, v3, v1, vcc
	global_store_short v[0:1], v2, off
.LBB224_30:
	s_endpgm
	.section	.rodata,"a",@progbits
	.p2align	6, 0x0
	.amdhsa_kernel _ZL8moe_q5_1IN3c108BFloat16ELb1EEvPKvS3_PT_PKiS7_S7_iiiiiii
		.amdhsa_group_segment_fixed_size 38656
		.amdhsa_private_segment_fixed_size 0
		.amdhsa_kernarg_size 76
		.amdhsa_user_sgpr_count 6
		.amdhsa_user_sgpr_private_segment_buffer 1
		.amdhsa_user_sgpr_dispatch_ptr 0
		.amdhsa_user_sgpr_queue_ptr 0
		.amdhsa_user_sgpr_kernarg_segment_ptr 1
		.amdhsa_user_sgpr_dispatch_id 0
		.amdhsa_user_sgpr_flat_scratch_init 0
		.amdhsa_user_sgpr_private_segment_size 0
		.amdhsa_uses_dynamic_stack 0
		.amdhsa_system_sgpr_private_segment_wavefront_offset 0
		.amdhsa_system_sgpr_workgroup_id_x 1
		.amdhsa_system_sgpr_workgroup_id_y 1
		.amdhsa_system_sgpr_workgroup_id_z 0
		.amdhsa_system_sgpr_workgroup_info 0
		.amdhsa_system_vgpr_workitem_id 1
		.amdhsa_next_free_vgpr 129
		.amdhsa_next_free_sgpr 98
		.amdhsa_reserve_vcc 1
		.amdhsa_reserve_flat_scratch 0
		.amdhsa_float_round_mode_32 0
		.amdhsa_float_round_mode_16_64 0
		.amdhsa_float_denorm_mode_32 3
		.amdhsa_float_denorm_mode_16_64 3
		.amdhsa_dx10_clamp 1
		.amdhsa_ieee_mode 1
		.amdhsa_fp16_overflow 0
		.amdhsa_exception_fp_ieee_invalid_op 0
		.amdhsa_exception_fp_denorm_src 0
		.amdhsa_exception_fp_ieee_div_zero 0
		.amdhsa_exception_fp_ieee_overflow 0
		.amdhsa_exception_fp_ieee_underflow 0
		.amdhsa_exception_fp_ieee_inexact 0
		.amdhsa_exception_int_div_zero 0
	.end_amdhsa_kernel
	.section	.text._ZL8moe_q5_1IN3c108BFloat16ELb1EEvPKvS3_PT_PKiS7_S7_iiiiiii,"axG",@progbits,_ZL8moe_q5_1IN3c108BFloat16ELb1EEvPKvS3_PT_PKiS7_S7_iiiiiii,comdat
.Lfunc_end224:
	.size	_ZL8moe_q5_1IN3c108BFloat16ELb1EEvPKvS3_PT_PKiS7_S7_iiiiiii, .Lfunc_end224-_ZL8moe_q5_1IN3c108BFloat16ELb1EEvPKvS3_PT_PKiS7_S7_iiiiiii
                                        ; -- End function
	.set _ZL8moe_q5_1IN3c108BFloat16ELb1EEvPKvS3_PT_PKiS7_S7_iiiiiii.num_vgpr, 122
	.set _ZL8moe_q5_1IN3c108BFloat16ELb1EEvPKvS3_PT_PKiS7_S7_iiiiiii.num_agpr, 0
	.set _ZL8moe_q5_1IN3c108BFloat16ELb1EEvPKvS3_PT_PKiS7_S7_iiiiiii.numbered_sgpr, 24
	.set _ZL8moe_q5_1IN3c108BFloat16ELb1EEvPKvS3_PT_PKiS7_S7_iiiiiii.num_named_barrier, 0
	.set _ZL8moe_q5_1IN3c108BFloat16ELb1EEvPKvS3_PT_PKiS7_S7_iiiiiii.private_seg_size, 0
	.set _ZL8moe_q5_1IN3c108BFloat16ELb1EEvPKvS3_PT_PKiS7_S7_iiiiiii.uses_vcc, 1
	.set _ZL8moe_q5_1IN3c108BFloat16ELb1EEvPKvS3_PT_PKiS7_S7_iiiiiii.uses_flat_scratch, 0
	.set _ZL8moe_q5_1IN3c108BFloat16ELb1EEvPKvS3_PT_PKiS7_S7_iiiiiii.has_dyn_sized_stack, 0
	.set _ZL8moe_q5_1IN3c108BFloat16ELb1EEvPKvS3_PT_PKiS7_S7_iiiiiii.has_recursion, 0
	.set _ZL8moe_q5_1IN3c108BFloat16ELb1EEvPKvS3_PT_PKiS7_S7_iiiiiii.has_indirect_call, 0
	.section	.AMDGPU.csdata,"",@progbits
; Kernel info:
; codeLenInByte = 6804
; TotalNumSgprs: 28
; NumVgprs: 122
; ScratchSize: 0
; MemoryBound: 0
; FloatMode: 240
; IeeeMode: 1
; LDSByteSize: 38656 bytes/workgroup (compile time only)
; SGPRBlocks: 12
; VGPRBlocks: 32
; NumSGPRsForWavesPerEU: 102
; NumVGPRsForWavesPerEU: 129
; Occupancy: 1
; WaveLimiterHint : 1
; COMPUTE_PGM_RSRC2:SCRATCH_EN: 0
; COMPUTE_PGM_RSRC2:USER_SGPR: 6
; COMPUTE_PGM_RSRC2:TRAP_HANDLER: 0
; COMPUTE_PGM_RSRC2:TGID_X_EN: 1
; COMPUTE_PGM_RSRC2:TGID_Y_EN: 1
; COMPUTE_PGM_RSRC2:TGID_Z_EN: 0
; COMPUTE_PGM_RSRC2:TIDIG_COMP_CNT: 1
	.section	.text._ZL8moe_q8_0IN3c108BFloat16ELb0EEvPKvS3_PT_PKiS7_S7_iiiiiii,"axG",@progbits,_ZL8moe_q8_0IN3c108BFloat16ELb0EEvPKvS3_PT_PKiS7_S7_iiiiiii,comdat
	.globl	_ZL8moe_q8_0IN3c108BFloat16ELb0EEvPKvS3_PT_PKiS7_S7_iiiiiii ; -- Begin function _ZL8moe_q8_0IN3c108BFloat16ELb0EEvPKvS3_PT_PKiS7_S7_iiiiiii
	.p2align	8
	.type	_ZL8moe_q8_0IN3c108BFloat16ELb0EEvPKvS3_PT_PKiS7_S7_iiiiiii,@function
_ZL8moe_q8_0IN3c108BFloat16ELb0EEvPKvS3_PT_PKiS7_S7_iiiiiii: ; @_ZL8moe_q8_0IN3c108BFloat16ELb0EEvPKvS3_PT_PKiS7_S7_iiiiiii
; %bb.0:
	s_load_dwordx4 s[0:3], s[4:5], 0x18
	s_mov_b32 s8, s7
	s_mov_b32 s9, 0
	s_lshl_b64 s[10:11], s[8:9], 2
	s_waitcnt lgkmcnt(0)
	s_add_u32 s2, s2, s10
	s_addc_u32 s3, s3, s11
	s_load_dword s2, s[2:3], 0x0
	s_waitcnt lgkmcnt(0)
	s_cmpk_gt_u32 s2, 0xff
	s_cbranch_scc1 .LBB225_22
; %bb.1:
	s_load_dwordx2 s[10:11], s[4:5], 0x28
	s_lshl_b32 s3, s8, 3
	s_waitcnt lgkmcnt(0)
	s_load_dword s7, s[10:11], 0x0
	s_waitcnt lgkmcnt(0)
	s_cmp_gt_u32 s3, s7
	s_cbranch_scc1 .LBB225_22
; %bb.2:
	v_add_u32_e32 v2, s3, v1
	v_mov_b32_e32 v3, 0
	v_lshlrev_b64 v[4:5], 2, v[2:3]
	v_mov_b32_e32 v2, s1
	v_add_co_u32_e32 v4, vcc, s0, v4
	v_addc_co_u32_e32 v5, vcc, v2, v5, vcc
	global_load_dword v4, v[4:5], off
	s_load_dwordx2 s[14:15], s[4:5], 0x30
	s_load_dwordx2 s[12:13], s[4:5], 0x10
	s_load_dwordx4 s[8:11], s[4:5], 0x3c
	s_lshl_b32 s16, s6, 7
	v_mov_b32_e32 v42, v3
	s_waitcnt lgkmcnt(0)
	s_cmp_lt_i32 s15, 32
	v_mov_b32_e32 v44, v3
	v_mov_b32_e32 v5, v3
	s_cbranch_scc1 .LBB225_13
; %bb.3:
	s_ashr_i32 s0, s15, 31
	s_lshr_b32 s0, s0, 27
	s_load_dwordx4 s[4:7], s[4:5], 0x0
	s_add_i32 s0, s15, s0
	s_ashr_i32 s17, s0, 5
	s_ashr_i32 s0, s9, 31
	s_lshr_b32 s0, s0, 27
	s_add_i32 s0, s9, s0
	s_mul_i32 s2, s2, s14
	s_ashr_i32 s9, s0, 5
	s_ashr_i32 s0, s2, 31
	s_waitcnt lgkmcnt(0)
	s_add_u32 s1, s4, s2
	s_mul_i32 s2, s17, s16
	s_addc_u32 s0, s5, s0
	s_mul_hi_i32 s3, s2, 34
	s_mul_i32 s2, s2, 34
	v_mul_lo_u32 v8, s17, v1
	s_add_u32 s14, s1, s2
	s_addc_u32 s18, s0, s3
	v_lshlrev_b32_e32 v2, 2, v0
	s_movk_i32 s0, 0x84
	v_mad_u32_u24 v9, v1, s0, v2
	s_lshl_b32 s0, s17, 3
	v_add_u32_e32 v10, s0, v8
	v_add_u32_e32 v12, s0, v10
	s_abs_i32 s2, s11
	v_add_u32_e32 v14, s0, v12
	v_cvt_f32_u32_e32 v46, s2
	v_add_u32_e32 v16, s0, v14
	v_add_u32_e32 v18, s0, v16
	;; [unrolled: 1-line block ×4, first 2 shown]
	v_lshlrev_b32_e32 v3, 3, v1
	v_lshrrev_b32_e32 v42, 2, v0
	v_rcp_iflag_f32_e32 v46, v46
	v_add_u32_e32 v24, s0, v22
	v_add_u32_e32 v43, v42, v3
	;; [unrolled: 1-line block ×3, first 2 shown]
	v_add_u16_e32 v3, v42, v3
	v_add_u32_e32 v45, 64, v43
	v_add_u32_e32 v28, s0, v26
	v_and_b32_e32 v40, 3, v0
	v_lshrrev_b16_e32 v3, 1, v3
	v_lshrrev_b32_e32 v47, 1, v45
	v_add_u32_e32 v30, s0, v28
	v_and_b32_e32 v3, 0x7fc, v3
	v_lshlrev_b32_e32 v42, 2, v40
	s_movk_i32 s4, 0x4200
	v_and_b32_e32 v47, 0xffc, v47
	v_lshlrev_b32_e32 v55, 4, v45
	v_mul_f32_e32 v45, 0x4f7ffffe, v46
	v_add_u32_e32 v32, s0, v30
	v_add3_u32 v3, v3, v42, s4
	v_add3_u32 v42, v47, v42, s4
	v_cvt_u32_f32_e32 v47, v45
	v_add_u32_e32 v34, s0, v32
	v_add_u32_e32 v36, s0, v34
	;; [unrolled: 1-line block ×3, first 2 shown]
	s_sub_i32 s0, 0, s2
	v_mul_lo_u32 v48, s0, v47
	v_mov_b32_e32 v45, 0x4a40
	v_lshl_add_u32 v45, v1, 7, v45
	v_lshlrev_b32_e32 v57, 4, v1
	v_mul_hi_u32 v1, v47, v48
	v_and_b32_e32 v7, 28, v2
	v_add_u32_e32 v56, 0x4e40, v2
	v_and_b32_e32 v2, 31, v0
	v_lshl_add_u32 v46, v2, 2, v45
	s_waitcnt vmcnt(0)
	v_sub_u32_e32 v2, 0, v4
	v_max_i32_e32 v2, v4, v2
	v_add_u32_e32 v1, v47, v1
	v_mul_hi_u32 v1, v2, v1
	v_xor_b32_e32 v52, s11, v4
	v_ashrrev_i32_e32 v52, 31, v52
	v_add_u32_e32 v49, 0x60, v0
	v_mul_lo_u32 v48, v1, s2
	v_mul_lo_u32 v41, s17, v43
	v_cmp_gt_u32_e64 s[0:1], 4, v0
	v_add_u32_e32 v50, 64, v0
	v_sub_u32_e32 v2, v2, v48
	v_add_u32_e32 v48, 1, v1
	v_cmp_le_u32_e32 vcc, s2, v2
	v_cndmask_b32_e32 v1, v1, v48, vcc
	v_subrev_u32_e32 v48, s2, v2
	v_cndmask_b32_e32 v2, v2, v48, vcc
	v_add_u32_e32 v48, 1, v1
	v_cmp_le_u32_e32 vcc, s2, v2
	v_cndmask_b32_e32 v1, v1, v48, vcc
	v_xor_b32_e32 v1, v1, v52
	v_sub_u32_e32 v1, v1, v52
	v_cmp_gt_i32_e32 vcc, s8, v1
	v_mul_lo_u32 v48, v1, s9
	v_mov_b32_e32 v2, s7
	v_add_co_u32_e64 v1, s[2:3], s6, v7
	v_addc_co_u32_e64 v2, s[2:3], 0, v2, s[2:3]
	v_lshrrev_b32_e32 v49, 1, v49
	v_add_u32_e32 v51, 32, v0
	s_and_b64 s[2:3], s[0:1], vcc
	v_lshlrev_b32_e32 v52, 4, v0
	v_and_b32_e32 v49, 0xfc, v49
	s_movk_i32 s0, 0x4800
	v_lshrrev_b32_e32 v50, 1, v50
	v_lshrrev_b32_e32 v6, 3, v0
	v_add3_u32 v49, v52, v49, s0
	v_and_b32_e32 v50, 0xfc, v50
	s_movk_i32 s0, 0x4600
	v_lshrrev_b32_e32 v51, 1, v51
	v_lshlrev_b32_e32 v44, 4, v43
	v_add3_u32 v50, v52, v50, s0
	v_and_b32_e32 v51, 0xfc, v51
	s_movk_i32 s0, 0x4400
	v_lshlrev_b32_e32 v53, 2, v6
	v_mov_b32_e32 v5, 0
	v_add_u32_e32 v11, 0x420, v9
	v_add_u32_e32 v13, 0x840, v9
	;; [unrolled: 1-line block ×15, first 2 shown]
	v_lshl_add_u32 v43, s17, 6, v41
	v_mul_u32_u24_e32 v47, 0x84, v0
	s_mov_b32 s19, 0
	v_add3_u32 v51, v52, v51, s0
	v_add3_u32 v52, v52, v53, s4
	v_add_u32_e32 v53, 0x4e40, v57
	v_add_u32_e32 v54, v3, v44
	;; [unrolled: 1-line block ×4, first 2 shown]
	v_mov_b32_e32 v44, 0
	v_mov_b32_e32 v42, 0
	;; [unrolled: 1-line block ×3, first 2 shown]
	s_branch .LBB225_5
.LBB225_4:                              ;   in Loop: Header=BB225_5 Depth=1
	s_add_i32 s19, s19, 4
	s_cmp_ge_i32 s19, s17
	s_cbranch_scc1 .LBB225_13
.LBB225_5:                              ; =>This Loop Header: Depth=1
                                        ;     Child Loop BB225_11 Depth 2
	s_mul_i32 s1, s19, 34
	s_mul_hi_u32 s0, s19, 34
	s_add_u32 s4, s14, s1
	s_addc_u32 s5, s18, s0
	v_mad_u64_u32 v[57:58], s[0:1], v6, 34, s[4:5]
	v_mad_u64_u32 v[59:60], s[0:1], v8, 34, v[57:58]
	v_mad_u64_u32 v[61:62], s[0:1], v10, 34, v[57:58]
	v_add_co_u32_e64 v59, s[0:1], v59, v7
	v_addc_co_u32_e64 v60, s[0:1], 0, v60, s[0:1]
	v_add_co_u32_e64 v61, s[0:1], v61, v7
	v_addc_co_u32_e64 v62, s[0:1], 0, v62, s[0:1]
	v_mad_u64_u32 v[63:64], s[0:1], v12, 34, v[57:58]
	v_mad_u64_u32 v[65:66], s[0:1], v14, 34, v[57:58]
	v_add_co_u32_e64 v63, s[0:1], v63, v7
	v_addc_co_u32_e64 v64, s[0:1], 0, v64, s[0:1]
	v_add_co_u32_e64 v65, s[0:1], v65, v7
	v_addc_co_u32_e64 v66, s[0:1], 0, v66, s[0:1]
	v_mad_u64_u32 v[67:68], s[0:1], v16, 34, v[57:58]
	v_mad_u64_u32 v[69:70], s[0:1], v18, 34, v[57:58]
	;; [unrolled: 6-line block ×3, first 2 shown]
	v_add_co_u32_e64 v71, s[0:1], v71, v7
	v_addc_co_u32_e64 v72, s[0:1], 0, v72, s[0:1]
	v_add_co_u32_e64 v73, s[0:1], v73, v7
	v_addc_co_u32_e64 v74, s[0:1], 0, v74, s[0:1]
	global_load_dword v75, v[59:60], off offset:2
	global_load_dword v76, v[61:62], off offset:2
	;; [unrolled: 1-line block ×7, first 2 shown]
	s_nop 0
	global_load_dword v73, v[73:74], off offset:2
	v_mad_u64_u32 v[59:60], s[0:1], v24, 34, v[57:58]
	v_mad_u64_u32 v[61:62], s[0:1], v26, 34, v[57:58]
	v_add_co_u32_e64 v59, s[0:1], v59, v7
	v_addc_co_u32_e64 v60, s[0:1], 0, v60, s[0:1]
	v_add_co_u32_e64 v61, s[0:1], v61, v7
	v_addc_co_u32_e64 v62, s[0:1], 0, v62, s[0:1]
	v_mad_u64_u32 v[63:64], s[0:1], v28, 34, v[57:58]
	v_mad_u64_u32 v[65:66], s[0:1], v30, 34, v[57:58]
	v_add_co_u32_e64 v63, s[0:1], v63, v7
	v_addc_co_u32_e64 v64, s[0:1], 0, v64, s[0:1]
	v_add_co_u32_e64 v65, s[0:1], v65, v7
	v_addc_co_u32_e64 v66, s[0:1], 0, v66, s[0:1]
	;; [unrolled: 6-line block ×3, first 2 shown]
	v_mad_u64_u32 v[71:72], s[0:1], v36, 34, v[57:58]
	global_load_dword v74, v[59:60], off offset:2
	global_load_dword v82, v[61:62], off offset:2
	global_load_dword v83, v[63:64], off offset:2
	s_nop 0
	global_load_dword v65, v[65:66], off offset:2
	s_nop 0
	global_load_dword v66, v[67:68], off offset:2
	;; [unrolled: 2-line block ×3, first 2 shown]
	v_add_co_u32_e64 v59, s[0:1], v71, v7
	v_addc_co_u32_e64 v60, s[0:1], 0, v72, s[0:1]
	v_mad_u64_u32 v[61:62], s[0:1], v40, 34, s[4:5]
	v_mad_u64_u32 v[57:58], s[0:1], v38, 34, v[57:58]
	;; [unrolled: 1-line block ×3, first 2 shown]
	v_add_co_u32_e64 v57, s[0:1], v57, v7
	v_addc_co_u32_e64 v58, s[0:1], 0, v58, s[0:1]
	v_mad_u64_u32 v[61:62], s[0:1], v43, 34, v[61:62]
	global_load_ushort v63, v[63:64], off
	s_nop 0
	global_load_dword v59, v[59:60], off offset:2
	s_nop 0
	global_load_dword v57, v[57:58], off offset:2
	s_nop 0
	global_load_ushort v58, v[61:62], off
	s_lshl_b32 s0, s19, 5
	s_cmp_ge_i32 s0, s15
	s_waitcnt vmcnt(17)
	ds_write_b32 v9, v75
	s_waitcnt vmcnt(16)
	ds_write_b32 v11, v76
	;; [unrolled: 2-line block ×16, first 2 shown]
	v_cvt_f32_f16_e32 v60, v63
	s_waitcnt vmcnt(0)
	v_cvt_f32_f16_e32 v57, v58
	ds_write_b32 v54, v60
	ds_write_b32 v55, v57
	s_cbranch_scc1 .LBB225_4
; %bb.6:                                ;   in Loop: Header=BB225_5 Depth=1
	v_add_u32_e32 v57, s19, v6
	v_cmp_gt_i32_e64 s[0:1], s9, v57
	s_and_b64 s[4:5], vcc, s[0:1]
	s_and_saveexec_b64 s[0:1], s[4:5]
	s_cbranch_execz .LBB225_8
; %bb.7:                                ;   in Loop: Header=BB225_5 Depth=1
	v_add_u32_e32 v57, v48, v57
	v_mad_i64_i32 v[57:58], s[4:5], v57, 36, v[1:2]
	global_load_dword v57, v[57:58], off offset:4
	s_waitcnt vmcnt(0)
	ds_write_b32 v46, v57
.LBB225_8:                              ;   in Loop: Header=BB225_5 Depth=1
	s_or_b64 exec, exec, s[0:1]
	v_or_b32_e32 v57, s19, v0
	v_cmp_gt_i32_e64 s[0:1], s9, v57
	s_and_b64 s[4:5], s[2:3], s[0:1]
	s_and_saveexec_b64 s[0:1], s[4:5]
	s_cbranch_execz .LBB225_10
; %bb.9:                                ;   in Loop: Header=BB225_5 Depth=1
	v_add_u32_e32 v57, v48, v57
	v_mad_i64_i32 v[57:58], s[4:5], v57, 36, s[6:7]
	global_load_dword v57, v[57:58], off
	s_waitcnt vmcnt(0)
	v_cvt_f32_f16_e32 v57, v57
	ds_write_b32 v56, v57
.LBB225_10:                             ;   in Loop: Header=BB225_5 Depth=1
	s_or_b64 exec, exec, s[0:1]
	s_mov_b32 s0, -8
	v_mov_b32_e32 v57, v45
	v_mov_b32_e32 v58, v53
	;; [unrolled: 1-line block ×7, first 2 shown]
	s_waitcnt lgkmcnt(0)
	s_barrier
.LBB225_11:                             ;   Parent Loop BB225_5 Depth=1
                                        ; =>  This Inner Loop Header: Depth=2
	ds_read_b32 v74, v58
	ds_read_b128 v[64:67], v57
	ds_read_b128 v[68:71], v57 offset:16
	ds_read_b32 v75, v59
	ds_read2_b32 v[72:73], v63 offset1:1
	s_add_i32 s0, s0, 8
	v_add_u32_e32 v59, 4, v59
	v_add_u32_e32 v58, 4, v58
	;; [unrolled: 1-line block ×3, first 2 shown]
	s_waitcnt lgkmcnt(0)
	v_dot4_i32_i8 v72, v72, v64, 0
	v_dot4_i32_i8 v76, v73, v65, v72
	ds_read2_b32 v[72:73], v63 offset0:2 offset1:3
	s_cmp_lt_u32 s0, 24
	s_waitcnt lgkmcnt(0)
	v_dot4_i32_i8 v72, v72, v66, v76
	v_dot4_i32_i8 v76, v73, v67, v72
	ds_read2_b32 v[72:73], v63 offset0:4 offset1:5
	s_waitcnt lgkmcnt(0)
	v_dot4_i32_i8 v72, v72, v68, v76
	v_dot4_i32_i8 v76, v73, v69, v72
	ds_read2_b32 v[72:73], v63 offset0:6 offset1:7
	s_waitcnt lgkmcnt(0)
	v_dot4_i32_i8 v72, v72, v70, v76
	v_dot4_i32_i8 v72, v73, v71, v72
	v_cvt_f32_i32_e32 v72, v72
	v_mul_f32_e32 v73, v74, v75
	v_fmac_f32_e32 v5, v73, v72
	v_add_u32_e32 v72, 0x1080, v63
	ds_read_b32 v75, v60
	ds_read2_b32 v[72:73], v72 offset1:1
	v_add_u32_e32 v60, 4, v60
	s_waitcnt lgkmcnt(0)
	v_dot4_i32_i8 v72, v72, v64, 0
	v_dot4_i32_i8 v76, v73, v65, v72
	v_add_u32_e32 v72, 0x1088, v63
	ds_read2_b32 v[72:73], v72 offset1:1
	s_waitcnt lgkmcnt(0)
	v_dot4_i32_i8 v72, v72, v66, v76
	v_dot4_i32_i8 v76, v73, v67, v72
	v_add_u32_e32 v72, 0x1090, v63
	ds_read2_b32 v[72:73], v72 offset1:1
	s_waitcnt lgkmcnt(0)
	v_dot4_i32_i8 v72, v72, v68, v76
	v_dot4_i32_i8 v76, v73, v69, v72
	v_add_u32_e32 v72, 0x1098, v63
	ds_read2_b32 v[72:73], v72 offset1:1
	s_waitcnt lgkmcnt(0)
	v_dot4_i32_i8 v72, v72, v70, v76
	v_dot4_i32_i8 v72, v73, v71, v72
	v_cvt_f32_i32_e32 v72, v72
	v_mul_f32_e32 v73, v74, v75
	v_fmac_f32_e32 v44, v73, v72
	v_add_u32_e32 v72, 0x2100, v63
	ds_read_b32 v75, v61
	ds_read2_b32 v[72:73], v72 offset1:1
	v_add_u32_e32 v61, 4, v61
	s_waitcnt lgkmcnt(0)
	v_dot4_i32_i8 v72, v72, v64, 0
	v_dot4_i32_i8 v76, v73, v65, v72
	v_add_u32_e32 v72, 0x2108, v63
	ds_read2_b32 v[72:73], v72 offset1:1
	s_waitcnt lgkmcnt(0)
	v_dot4_i32_i8 v72, v72, v66, v76
	v_dot4_i32_i8 v76, v73, v67, v72
	v_add_u32_e32 v72, 0x2110, v63
	ds_read2_b32 v[72:73], v72 offset1:1
	s_waitcnt lgkmcnt(0)
	v_dot4_i32_i8 v72, v72, v68, v76
	v_dot4_i32_i8 v76, v73, v69, v72
	v_add_u32_e32 v72, 0x2118, v63
	ds_read2_b32 v[72:73], v72 offset1:1
	;; [unrolled: 25-line block ×3, first 2 shown]
	v_add_u32_e32 v63, 32, v63
	s_waitcnt lgkmcnt(0)
	v_dot4_i32_i8 v64, v64, v70, v66
	v_dot4_i32_i8 v64, v65, v71, v64
	v_cvt_f32_i32_e32 v64, v64
	v_mul_f32_e32 v65, v74, v75
	v_fmac_f32_e32 v3, v65, v64
	s_cbranch_scc1 .LBB225_11
; %bb.12:                               ;   in Loop: Header=BB225_5 Depth=1
	s_barrier
	s_branch .LBB225_4
.LBB225_13:
	s_mul_i32 s0, s11, s8
	s_waitcnt vmcnt(0)
	v_cmp_gt_i32_e32 vcc, s0, v4
	s_and_saveexec_b64 s[0:1], vcc
	s_cbranch_execz .LBB225_22
; %bb.14:
	v_mul_lo_u32 v1, v4, s10
	v_add_u32_e32 v0, s16, v0
	v_cmp_gt_u32_e32 vcc, s10, v0
	s_and_saveexec_b64 s[0:1], vcc
	s_cbranch_execz .LBB225_16
; %bb.15:
	v_bfe_u32 v2, v5, 16, 1
	s_movk_i32 s2, 0x7fff
	v_add3_u32 v2, v5, v2, s2
	v_cmp_o_f32_e32 vcc, v5, v5
	v_mov_b32_e32 v4, 0x7fc0
	v_cndmask_b32_sdwa v2, v4, v2, vcc dst_sel:DWORD dst_unused:UNUSED_PAD src0_sel:DWORD src1_sel:WORD_1
	v_add_u32_e32 v4, v1, v0
	v_mov_b32_e32 v5, 0
	v_lshlrev_b64 v[4:5], 1, v[4:5]
	v_mov_b32_e32 v6, s13
	v_add_co_u32_e32 v4, vcc, s12, v4
	v_addc_co_u32_e32 v5, vcc, v6, v5, vcc
	global_store_short v[4:5], v2, off
.LBB225_16:
	s_or_b64 exec, exec, s[0:1]
	v_add_u32_e32 v2, 32, v0
	v_cmp_gt_u32_e32 vcc, s10, v2
	s_and_saveexec_b64 s[0:1], vcc
	s_cbranch_execz .LBB225_18
; %bb.17:
	v_bfe_u32 v4, v44, 16, 1
	s_movk_i32 s2, 0x7fff
	v_add3_u32 v4, v44, v4, s2
	v_cmp_o_f32_e32 vcc, v44, v44
	v_mov_b32_e32 v5, 0x7fc0
	v_cndmask_b32_sdwa v6, v5, v4, vcc dst_sel:DWORD dst_unused:UNUSED_PAD src0_sel:DWORD src1_sel:WORD_1
	v_add_u32_e32 v4, v1, v2
	v_mov_b32_e32 v5, 0
	v_lshlrev_b64 v[4:5], 1, v[4:5]
	v_mov_b32_e32 v2, s13
	v_add_co_u32_e32 v4, vcc, s12, v4
	v_addc_co_u32_e32 v5, vcc, v2, v5, vcc
	global_store_short v[4:5], v6, off
.LBB225_18:
	s_or_b64 exec, exec, s[0:1]
	;; [unrolled: 20-line block ×3, first 2 shown]
	v_add_u32_e32 v0, 0x60, v0
	v_cmp_gt_u32_e32 vcc, s10, v0
	s_and_b64 exec, exec, vcc
	s_cbranch_execz .LBB225_22
; %bb.21:
	v_add_u32_e32 v0, v1, v0
	v_mov_b32_e32 v1, 0
	v_bfe_u32 v2, v3, 16, 1
	s_movk_i32 s0, 0x7fff
	v_lshlrev_b64 v[0:1], 1, v[0:1]
	v_add3_u32 v2, v3, v2, s0
	v_cmp_o_f32_e32 vcc, v3, v3
	v_mov_b32_e32 v3, 0x7fc0
	v_cndmask_b32_sdwa v2, v3, v2, vcc dst_sel:DWORD dst_unused:UNUSED_PAD src0_sel:DWORD src1_sel:WORD_1
	v_mov_b32_e32 v3, s13
	v_add_co_u32_e32 v0, vcc, s12, v0
	v_addc_co_u32_e32 v1, vcc, v3, v1, vcc
	global_store_short v[0:1], v2, off
.LBB225_22:
	s_endpgm
	.section	.rodata,"a",@progbits
	.p2align	6, 0x0
	.amdhsa_kernel _ZL8moe_q8_0IN3c108BFloat16ELb0EEvPKvS3_PT_PKiS7_S7_iiiiiii
		.amdhsa_group_segment_fixed_size 20160
		.amdhsa_private_segment_fixed_size 0
		.amdhsa_kernarg_size 76
		.amdhsa_user_sgpr_count 6
		.amdhsa_user_sgpr_private_segment_buffer 1
		.amdhsa_user_sgpr_dispatch_ptr 0
		.amdhsa_user_sgpr_queue_ptr 0
		.amdhsa_user_sgpr_kernarg_segment_ptr 1
		.amdhsa_user_sgpr_dispatch_id 0
		.amdhsa_user_sgpr_flat_scratch_init 0
		.amdhsa_user_sgpr_private_segment_size 0
		.amdhsa_uses_dynamic_stack 0
		.amdhsa_system_sgpr_private_segment_wavefront_offset 0
		.amdhsa_system_sgpr_workgroup_id_x 1
		.amdhsa_system_sgpr_workgroup_id_y 1
		.amdhsa_system_sgpr_workgroup_id_z 0
		.amdhsa_system_sgpr_workgroup_info 0
		.amdhsa_system_vgpr_workitem_id 1
		.amdhsa_next_free_vgpr 84
		.amdhsa_next_free_sgpr 98
		.amdhsa_reserve_vcc 1
		.amdhsa_reserve_flat_scratch 0
		.amdhsa_float_round_mode_32 0
		.amdhsa_float_round_mode_16_64 0
		.amdhsa_float_denorm_mode_32 3
		.amdhsa_float_denorm_mode_16_64 3
		.amdhsa_dx10_clamp 1
		.amdhsa_ieee_mode 1
		.amdhsa_fp16_overflow 0
		.amdhsa_exception_fp_ieee_invalid_op 0
		.amdhsa_exception_fp_denorm_src 0
		.amdhsa_exception_fp_ieee_div_zero 0
		.amdhsa_exception_fp_ieee_overflow 0
		.amdhsa_exception_fp_ieee_underflow 0
		.amdhsa_exception_fp_ieee_inexact 0
		.amdhsa_exception_int_div_zero 0
	.end_amdhsa_kernel
	.section	.text._ZL8moe_q8_0IN3c108BFloat16ELb0EEvPKvS3_PT_PKiS7_S7_iiiiiii,"axG",@progbits,_ZL8moe_q8_0IN3c108BFloat16ELb0EEvPKvS3_PT_PKiS7_S7_iiiiiii,comdat
.Lfunc_end225:
	.size	_ZL8moe_q8_0IN3c108BFloat16ELb0EEvPKvS3_PT_PKiS7_S7_iiiiiii, .Lfunc_end225-_ZL8moe_q8_0IN3c108BFloat16ELb0EEvPKvS3_PT_PKiS7_S7_iiiiiii
                                        ; -- End function
	.set _ZL8moe_q8_0IN3c108BFloat16ELb0EEvPKvS3_PT_PKiS7_S7_iiiiiii.num_vgpr, 84
	.set _ZL8moe_q8_0IN3c108BFloat16ELb0EEvPKvS3_PT_PKiS7_S7_iiiiiii.num_agpr, 0
	.set _ZL8moe_q8_0IN3c108BFloat16ELb0EEvPKvS3_PT_PKiS7_S7_iiiiiii.numbered_sgpr, 20
	.set _ZL8moe_q8_0IN3c108BFloat16ELb0EEvPKvS3_PT_PKiS7_S7_iiiiiii.num_named_barrier, 0
	.set _ZL8moe_q8_0IN3c108BFloat16ELb0EEvPKvS3_PT_PKiS7_S7_iiiiiii.private_seg_size, 0
	.set _ZL8moe_q8_0IN3c108BFloat16ELb0EEvPKvS3_PT_PKiS7_S7_iiiiiii.uses_vcc, 1
	.set _ZL8moe_q8_0IN3c108BFloat16ELb0EEvPKvS3_PT_PKiS7_S7_iiiiiii.uses_flat_scratch, 0
	.set _ZL8moe_q8_0IN3c108BFloat16ELb0EEvPKvS3_PT_PKiS7_S7_iiiiiii.has_dyn_sized_stack, 0
	.set _ZL8moe_q8_0IN3c108BFloat16ELb0EEvPKvS3_PT_PKiS7_S7_iiiiiii.has_recursion, 0
	.set _ZL8moe_q8_0IN3c108BFloat16ELb0EEvPKvS3_PT_PKiS7_S7_iiiiiii.has_indirect_call, 0
	.section	.AMDGPU.csdata,"",@progbits
; Kernel info:
; codeLenInByte = 3060
; TotalNumSgprs: 24
; NumVgprs: 84
; ScratchSize: 0
; MemoryBound: 0
; FloatMode: 240
; IeeeMode: 1
; LDSByteSize: 20160 bytes/workgroup (compile time only)
; SGPRBlocks: 12
; VGPRBlocks: 20
; NumSGPRsForWavesPerEU: 102
; NumVGPRsForWavesPerEU: 84
; Occupancy: 3
; WaveLimiterHint : 1
; COMPUTE_PGM_RSRC2:SCRATCH_EN: 0
; COMPUTE_PGM_RSRC2:USER_SGPR: 6
; COMPUTE_PGM_RSRC2:TRAP_HANDLER: 0
; COMPUTE_PGM_RSRC2:TGID_X_EN: 1
; COMPUTE_PGM_RSRC2:TGID_Y_EN: 1
; COMPUTE_PGM_RSRC2:TGID_Z_EN: 0
; COMPUTE_PGM_RSRC2:TIDIG_COMP_CNT: 1
	.section	.text._ZL8moe_q8_0IN3c108BFloat16ELb1EEvPKvS3_PT_PKiS7_S7_iiiiiii,"axG",@progbits,_ZL8moe_q8_0IN3c108BFloat16ELb1EEvPKvS3_PT_PKiS7_S7_iiiiiii,comdat
	.globl	_ZL8moe_q8_0IN3c108BFloat16ELb1EEvPKvS3_PT_PKiS7_S7_iiiiiii ; -- Begin function _ZL8moe_q8_0IN3c108BFloat16ELb1EEvPKvS3_PT_PKiS7_S7_iiiiiii
	.p2align	8
	.type	_ZL8moe_q8_0IN3c108BFloat16ELb1EEvPKvS3_PT_PKiS7_S7_iiiiiii,@function
_ZL8moe_q8_0IN3c108BFloat16ELb1EEvPKvS3_PT_PKiS7_S7_iiiiiii: ; @_ZL8moe_q8_0IN3c108BFloat16ELb1EEvPKvS3_PT_PKiS7_S7_iiiiiii
; %bb.0:
	s_load_dwordx4 s[0:3], s[4:5], 0x18
	s_mov_b32 s8, s7
	s_mov_b32 s9, 0
	s_lshl_b64 s[10:11], s[8:9], 2
	s_waitcnt lgkmcnt(0)
	s_add_u32 s2, s2, s10
	s_addc_u32 s3, s3, s11
	s_load_dword s2, s[2:3], 0x0
	s_waitcnt lgkmcnt(0)
	s_cmpk_gt_u32 s2, 0xff
	s_cbranch_scc1 .LBB226_22
; %bb.1:
	s_load_dwordx2 s[10:11], s[4:5], 0x28
	s_lshl_b32 s3, s8, 3
	s_waitcnt lgkmcnt(0)
	s_load_dword s7, s[10:11], 0x0
	s_waitcnt lgkmcnt(0)
	s_cmp_gt_u32 s3, s7
	s_cbranch_scc1 .LBB226_22
; %bb.2:
	v_add_u32_e32 v11, s3, v1
	v_mov_b32_e32 v12, 0
	v_lshlrev_b64 v[2:3], 2, v[11:12]
	v_mov_b32_e32 v4, s1
	v_add_co_u32_e32 v2, vcc, s0, v2
	v_addc_co_u32_e32 v3, vcc, v4, v3, vcc
	global_load_dword v21, v[2:3], off
	s_load_dwordx8 s[8:15], s[4:5], 0x30
	s_load_dwordx2 s[16:17], s[4:5], 0x10
	s_waitcnt lgkmcnt(0)
	s_lshl_b32 s15, s6, 7
	v_mov_b32_e32 v44, v12
	v_mov_b32_e32 v45, v12
	s_cmp_lt_i32 s9, 32
	v_mov_b32_e32 v22, v12
	s_cbranch_scc1 .LBB226_13
; %bb.3:
	s_ashr_i32 s0, s9, 31
	s_lshr_b32 s0, s0, 27
	s_load_dwordx4 s[4:7], s[4:5], 0x0
	s_add_i32 s0, s9, s0
	s_ashr_i32 s18, s0, 5
	s_ashr_i32 s0, s12, 31
	s_lshr_b32 s0, s0, 27
	s_add_i32 s0, s12, s0
	s_mul_i32 s2, s2, s8
	s_ashr_i32 s12, s0, 5
	s_ashr_i32 s0, s2, 31
	s_waitcnt lgkmcnt(0)
	s_add_u32 s1, s4, s2
	s_mul_i32 s2, s18, s15
	s_addc_u32 s0, s5, s0
	s_mul_hi_i32 s3, s2, 34
	s_mul_i32 s2, s2, 34
	s_add_u32 s8, s1, s2
	s_addc_u32 s19, s0, s3
	s_not_b32 s0, s15
	s_add_i32 s2, s10, s0
	v_lshlrev_b32_e32 v20, 2, v0
	v_min_i32_e32 v2, s2, v1
	s_movk_i32 s3, 0x84
	v_mul_lo_u32 v25, v2, s18
	s_waitcnt vmcnt(0)
	v_mad_u64_u32 v[2:3], s[0:1], v2, s3, v[20:21]
	v_add_u32_e32 v3, 8, v1
	v_min_i32_e32 v3, s2, v3
	v_mul_lo_u32 v26, v3, s18
	v_mad_u64_u32 v[3:4], s[0:1], v3, s3, v[20:21]
	v_add_u32_e32 v4, 16, v1
	v_min_i32_e32 v4, s2, v4
	v_mul_lo_u32 v27, v4, s18
	;; [unrolled: 4-line block ×15, first 2 shown]
	v_mad_u64_u32 v[18:19], s[0:1], v12, s3, v[20:21]
	v_lshrrev_b32_e32 v12, 2, v0
	v_lshl_add_u32 v12, v1, 3, v12
	v_min_i32_e32 v19, s2, v12
	v_ashrrev_i32_e32 v43, 31, v19
	v_add_u32_e32 v12, 64, v12
	v_lshrrev_b32_e32 v43, 29, v43
	v_min_i32_e32 v12, s2, v12
	v_mul_lo_u32 v42, v19, s18
	v_add_u32_e32 v43, v19, v43
	v_lshlrev_b32_e32 v54, 4, v19
	v_ashrrev_i32_e32 v19, 31, v12
	s_abs_i32 s2, s14
	v_lshrrev_b32_e32 v19, 29, v19
	v_cvt_f32_u32_e32 v46, s2
	v_add_u32_e32 v19, v12, v19
	v_and_b32_e32 v41, 3, v0
	v_ashrrev_i32_e32 v43, 3, v43
	v_ashrrev_i32_e32 v19, 3, v19
	v_lshlrev_b32_e32 v43, 2, v43
	v_lshlrev_b32_e32 v44, 2, v41
	s_movk_i32 s4, 0x4200
	v_lshlrev_b32_e32 v19, 2, v19
	v_add3_u32 v45, v43, v44, s4
	v_add3_u32 v44, v19, v44, s4
	v_rcp_iflag_f32_e32 v19, v46
	s_sub_i32 s0, 0, s2
	v_mov_b32_e32 v46, 0x4a40
	v_lshl_add_u32 v46, v1, 7, v46
	v_mul_f32_e32 v19, 0x4f7ffffe, v19
	v_cvt_u32_f32_e32 v19, v19
	v_lshlrev_b32_e32 v57, 4, v1
	v_and_b32_e32 v24, 28, v20
	v_add_u32_e32 v56, 0x4e40, v20
	v_mul_lo_u32 v48, s0, v19
	v_and_b32_e32 v20, 31, v0
	v_lshl_add_u32 v47, v20, 2, v46
	v_sub_u32_e32 v20, 0, v21
	v_mul_hi_u32 v1, v19, v48
	v_max_i32_e32 v20, v21, v20
	v_xor_b32_e32 v52, s14, v21
	v_ashrrev_i32_e32 v52, 31, v52
	v_add_u32_e32 v1, v19, v1
	v_mul_hi_u32 v19, v20, v1
	v_add_u32_e32 v49, 0x60, v0
	v_cmp_gt_u32_e64 s[0:1], 4, v0
	v_add_u32_e32 v50, 64, v0
	v_mul_lo_u32 v48, v19, s2
	v_lshrrev_b32_e32 v49, 1, v49
	v_mul_lo_u32 v43, v12, s18
	v_add_u32_e32 v51, 32, v0
	v_sub_u32_e32 v20, v20, v48
	v_add_u32_e32 v48, 1, v19
	v_cmp_le_u32_e32 vcc, s2, v20
	v_cndmask_b32_e32 v19, v19, v48, vcc
	v_subrev_u32_e32 v48, s2, v20
	v_cndmask_b32_e32 v20, v20, v48, vcc
	v_add_u32_e32 v48, 1, v19
	v_cmp_le_u32_e32 vcc, s2, v20
	v_cndmask_b32_e32 v19, v19, v48, vcc
	v_xor_b32_e32 v19, v19, v52
	v_sub_u32_e32 v19, v19, v52
	v_cmp_gt_i32_e32 vcc, s11, v19
	v_mul_lo_u32 v48, v19, s12
	v_mov_b32_e32 v20, s7
	v_add_co_u32_e64 v19, s[2:3], s6, v24
	v_addc_co_u32_e64 v20, s[2:3], 0, v20, s[2:3]
	s_and_b64 s[2:3], s[0:1], vcc
	v_lshlrev_b32_e32 v52, 4, v0
	v_and_b32_e32 v49, 0xfc, v49
	s_movk_i32 s0, 0x4800
	v_lshrrev_b32_e32 v50, 1, v50
	v_lshrrev_b32_e32 v23, 3, v0
	v_add3_u32 v49, v52, v49, s0
	v_and_b32_e32 v50, 0xfc, v50
	s_movk_i32 s0, 0x4600
	v_lshrrev_b32_e32 v51, 1, v51
	v_lshlrev_b32_e32 v12, 4, v12
	v_add3_u32 v50, v52, v50, s0
	v_and_b32_e32 v51, 0xfc, v51
	s_movk_i32 s0, 0x4400
	v_lshlrev_b32_e32 v53, 2, v23
	v_mov_b32_e32 v22, 0
	v_mul_u32_u24_e32 v1, 0x84, v0
	s_mov_b32 s10, 0
	v_add3_u32 v51, v52, v51, s0
	v_add3_u32 v52, v52, v53, s4
	v_add_u32_e32 v53, 0x4e40, v57
	v_add_u32_e32 v54, v45, v54
	;; [unrolled: 1-line block ×4, first 2 shown]
	v_mov_b32_e32 v45, 0
	v_mov_b32_e32 v44, 0
	;; [unrolled: 1-line block ×3, first 2 shown]
	s_branch .LBB226_5
.LBB226_4:                              ;   in Loop: Header=BB226_5 Depth=1
	s_add_i32 s10, s10, 4
	s_cmp_ge_i32 s10, s18
	s_cbranch_scc1 .LBB226_13
.LBB226_5:                              ; =>This Loop Header: Depth=1
                                        ;     Child Loop BB226_11 Depth 2
	s_mul_i32 s1, s10, 34
	s_mul_hi_u32 s0, s10, 34
	s_add_u32 s4, s8, s1
	s_addc_u32 s5, s19, s0
	v_mad_u64_u32 v[57:58], s[0:1], v23, 34, s[4:5]
	v_mad_i64_i32 v[59:60], s[0:1], v25, 34, v[57:58]
	v_mad_i64_i32 v[61:62], s[0:1], v26, 34, v[57:58]
	v_add_co_u32_e64 v59, s[0:1], v59, v24
	v_addc_co_u32_e64 v60, s[0:1], 0, v60, s[0:1]
	v_add_co_u32_e64 v61, s[0:1], v61, v24
	v_addc_co_u32_e64 v62, s[0:1], 0, v62, s[0:1]
	v_mad_i64_i32 v[63:64], s[0:1], v27, 34, v[57:58]
	v_mad_i64_i32 v[65:66], s[0:1], v28, 34, v[57:58]
	v_add_co_u32_e64 v63, s[0:1], v63, v24
	v_addc_co_u32_e64 v64, s[0:1], 0, v64, s[0:1]
	v_add_co_u32_e64 v65, s[0:1], v65, v24
	v_addc_co_u32_e64 v66, s[0:1], 0, v66, s[0:1]
	;; [unrolled: 6-line block ×4, first 2 shown]
	global_load_dword v75, v[59:60], off offset:2
	global_load_dword v76, v[61:62], off offset:2
	;; [unrolled: 1-line block ×7, first 2 shown]
	s_nop 0
	global_load_dword v73, v[73:74], off offset:2
	v_mad_i64_i32 v[59:60], s[0:1], v33, 34, v[57:58]
	v_mad_i64_i32 v[61:62], s[0:1], v34, 34, v[57:58]
	v_add_co_u32_e64 v59, s[0:1], v59, v24
	v_addc_co_u32_e64 v60, s[0:1], 0, v60, s[0:1]
	v_add_co_u32_e64 v61, s[0:1], v61, v24
	v_addc_co_u32_e64 v62, s[0:1], 0, v62, s[0:1]
	v_mad_i64_i32 v[63:64], s[0:1], v35, 34, v[57:58]
	v_mad_i64_i32 v[65:66], s[0:1], v36, 34, v[57:58]
	v_add_co_u32_e64 v63, s[0:1], v63, v24
	v_addc_co_u32_e64 v64, s[0:1], 0, v64, s[0:1]
	v_add_co_u32_e64 v65, s[0:1], v65, v24
	v_addc_co_u32_e64 v66, s[0:1], 0, v66, s[0:1]
	;; [unrolled: 6-line block ×3, first 2 shown]
	v_mad_i64_i32 v[71:72], s[0:1], v39, 34, v[57:58]
	global_load_dword v74, v[59:60], off offset:2
	global_load_dword v82, v[61:62], off offset:2
	;; [unrolled: 1-line block ×3, first 2 shown]
	s_nop 0
	global_load_dword v65, v[65:66], off offset:2
	s_nop 0
	global_load_dword v66, v[67:68], off offset:2
	;; [unrolled: 2-line block ×3, first 2 shown]
	v_add_co_u32_e64 v59, s[0:1], v71, v24
	v_addc_co_u32_e64 v60, s[0:1], 0, v72, s[0:1]
	v_mad_u64_u32 v[61:62], s[0:1], v41, 34, s[4:5]
	v_mad_i64_i32 v[57:58], s[0:1], v40, 34, v[57:58]
	v_mad_i64_i32 v[63:64], s[0:1], v42, 34, v[61:62]
	v_add_co_u32_e64 v57, s[0:1], v57, v24
	v_addc_co_u32_e64 v58, s[0:1], 0, v58, s[0:1]
	v_mad_i64_i32 v[61:62], s[0:1], v43, 34, v[61:62]
	global_load_ushort v63, v[63:64], off
	s_nop 0
	global_load_dword v59, v[59:60], off offset:2
	s_nop 0
	global_load_dword v57, v[57:58], off offset:2
	s_nop 0
	global_load_ushort v58, v[61:62], off
	s_lshl_b32 s0, s10, 5
	s_cmp_ge_i32 s0, s9
	s_waitcnt vmcnt(17)
	ds_write_b32 v2, v75
	s_waitcnt vmcnt(16)
	ds_write_b32 v3, v76
	;; [unrolled: 2-line block ×16, first 2 shown]
	v_cvt_f32_f16_e32 v60, v63
	s_waitcnt vmcnt(0)
	v_cvt_f32_f16_e32 v57, v58
	ds_write_b32 v54, v60
	ds_write_b32 v55, v57
	s_cbranch_scc1 .LBB226_4
; %bb.6:                                ;   in Loop: Header=BB226_5 Depth=1
	v_add_u32_e32 v57, s10, v23
	v_cmp_gt_i32_e64 s[0:1], s12, v57
	s_and_b64 s[4:5], vcc, s[0:1]
	s_and_saveexec_b64 s[0:1], s[4:5]
	s_cbranch_execz .LBB226_8
; %bb.7:                                ;   in Loop: Header=BB226_5 Depth=1
	v_add_u32_e32 v57, v48, v57
	v_mad_i64_i32 v[57:58], s[4:5], v57, 36, v[19:20]
	global_load_dword v57, v[57:58], off offset:4
	s_waitcnt vmcnt(0)
	ds_write_b32 v47, v57
.LBB226_8:                              ;   in Loop: Header=BB226_5 Depth=1
	s_or_b64 exec, exec, s[0:1]
	v_or_b32_e32 v57, s10, v0
	v_cmp_gt_i32_e64 s[0:1], s12, v57
	s_and_b64 s[4:5], s[2:3], s[0:1]
	s_and_saveexec_b64 s[0:1], s[4:5]
	s_cbranch_execz .LBB226_10
; %bb.9:                                ;   in Loop: Header=BB226_5 Depth=1
	v_add_u32_e32 v57, v48, v57
	v_mad_i64_i32 v[57:58], s[4:5], v57, 36, s[6:7]
	global_load_dword v57, v[57:58], off
	s_waitcnt vmcnt(0)
	v_cvt_f32_f16_e32 v57, v57
	ds_write_b32 v56, v57
.LBB226_10:                             ;   in Loop: Header=BB226_5 Depth=1
	s_or_b64 exec, exec, s[0:1]
	s_mov_b32 s0, -8
	v_mov_b32_e32 v57, v46
	v_mov_b32_e32 v58, v53
	;; [unrolled: 1-line block ×7, first 2 shown]
	s_waitcnt lgkmcnt(0)
	s_barrier
.LBB226_11:                             ;   Parent Loop BB226_5 Depth=1
                                        ; =>  This Inner Loop Header: Depth=2
	ds_read_b32 v74, v58
	ds_read_b128 v[64:67], v57
	ds_read_b128 v[68:71], v57 offset:16
	ds_read_b32 v75, v59
	ds_read2_b32 v[72:73], v63 offset1:1
	s_add_i32 s0, s0, 8
	v_add_u32_e32 v59, 4, v59
	v_add_u32_e32 v58, 4, v58
	;; [unrolled: 1-line block ×3, first 2 shown]
	s_waitcnt lgkmcnt(0)
	v_dot4_i32_i8 v72, v72, v64, 0
	v_dot4_i32_i8 v76, v73, v65, v72
	ds_read2_b32 v[72:73], v63 offset0:2 offset1:3
	s_cmp_lt_u32 s0, 24
	s_waitcnt lgkmcnt(0)
	v_dot4_i32_i8 v72, v72, v66, v76
	v_dot4_i32_i8 v76, v73, v67, v72
	ds_read2_b32 v[72:73], v63 offset0:4 offset1:5
	s_waitcnt lgkmcnt(0)
	v_dot4_i32_i8 v72, v72, v68, v76
	v_dot4_i32_i8 v76, v73, v69, v72
	ds_read2_b32 v[72:73], v63 offset0:6 offset1:7
	s_waitcnt lgkmcnt(0)
	v_dot4_i32_i8 v72, v72, v70, v76
	v_dot4_i32_i8 v72, v73, v71, v72
	v_cvt_f32_i32_e32 v72, v72
	v_mul_f32_e32 v73, v74, v75
	v_fmac_f32_e32 v22, v73, v72
	v_add_u32_e32 v72, 0x1080, v63
	ds_read_b32 v75, v60
	ds_read2_b32 v[72:73], v72 offset1:1
	v_add_u32_e32 v60, 4, v60
	s_waitcnt lgkmcnt(0)
	v_dot4_i32_i8 v72, v72, v64, 0
	v_dot4_i32_i8 v76, v73, v65, v72
	v_add_u32_e32 v72, 0x1088, v63
	ds_read2_b32 v[72:73], v72 offset1:1
	s_waitcnt lgkmcnt(0)
	v_dot4_i32_i8 v72, v72, v66, v76
	v_dot4_i32_i8 v76, v73, v67, v72
	v_add_u32_e32 v72, 0x1090, v63
	ds_read2_b32 v[72:73], v72 offset1:1
	s_waitcnt lgkmcnt(0)
	v_dot4_i32_i8 v72, v72, v68, v76
	v_dot4_i32_i8 v76, v73, v69, v72
	v_add_u32_e32 v72, 0x1098, v63
	ds_read2_b32 v[72:73], v72 offset1:1
	s_waitcnt lgkmcnt(0)
	v_dot4_i32_i8 v72, v72, v70, v76
	v_dot4_i32_i8 v72, v73, v71, v72
	v_cvt_f32_i32_e32 v72, v72
	v_mul_f32_e32 v73, v74, v75
	v_fmac_f32_e32 v45, v73, v72
	v_add_u32_e32 v72, 0x2100, v63
	ds_read_b32 v75, v61
	ds_read2_b32 v[72:73], v72 offset1:1
	v_add_u32_e32 v61, 4, v61
	s_waitcnt lgkmcnt(0)
	v_dot4_i32_i8 v72, v72, v64, 0
	v_dot4_i32_i8 v76, v73, v65, v72
	v_add_u32_e32 v72, 0x2108, v63
	ds_read2_b32 v[72:73], v72 offset1:1
	s_waitcnt lgkmcnt(0)
	v_dot4_i32_i8 v72, v72, v66, v76
	v_dot4_i32_i8 v76, v73, v67, v72
	v_add_u32_e32 v72, 0x2110, v63
	ds_read2_b32 v[72:73], v72 offset1:1
	s_waitcnt lgkmcnt(0)
	v_dot4_i32_i8 v72, v72, v68, v76
	v_dot4_i32_i8 v76, v73, v69, v72
	v_add_u32_e32 v72, 0x2118, v63
	ds_read2_b32 v[72:73], v72 offset1:1
	s_waitcnt lgkmcnt(0)
	v_dot4_i32_i8 v72, v72, v70, v76
	v_dot4_i32_i8 v72, v73, v71, v72
	v_cvt_f32_i32_e32 v72, v72
	v_mul_f32_e32 v73, v74, v75
	v_fmac_f32_e32 v44, v73, v72
	v_add_u32_e32 v72, 0x3180, v63
	ds_read_b32 v75, v62
	ds_read2_b32 v[72:73], v72 offset1:1
	v_add_u32_e32 v62, 4, v62
	s_waitcnt lgkmcnt(0)
	v_dot4_i32_i8 v64, v72, v64, 0
	v_dot4_i32_i8 v72, v73, v65, v64
	v_add_u32_e32 v64, 0x3188, v63
	ds_read2_b32 v[64:65], v64 offset1:1
	s_waitcnt lgkmcnt(0)
	v_dot4_i32_i8 v64, v64, v66, v72
	v_dot4_i32_i8 v66, v65, v67, v64
	v_add_u32_e32 v64, 0x3190, v63
	ds_read2_b32 v[64:65], v64 offset1:1
	s_waitcnt lgkmcnt(0)
	v_dot4_i32_i8 v64, v64, v68, v66
	v_dot4_i32_i8 v66, v65, v69, v64
	v_add_u32_e32 v64, 0x3198, v63
	ds_read2_b32 v[64:65], v64 offset1:1
	v_add_u32_e32 v63, 32, v63
	s_waitcnt lgkmcnt(0)
	v_dot4_i32_i8 v64, v64, v70, v66
	v_dot4_i32_i8 v64, v65, v71, v64
	v_cvt_f32_i32_e32 v64, v64
	v_mul_f32_e32 v65, v74, v75
	v_fmac_f32_e32 v12, v65, v64
	s_cbranch_scc1 .LBB226_11
; %bb.12:                               ;   in Loop: Header=BB226_5 Depth=1
	s_barrier
	s_branch .LBB226_4
.LBB226_13:
	s_mul_i32 s0, s14, s11
	s_waitcnt vmcnt(0)
	v_cmp_gt_i32_e32 vcc, s0, v21
	s_and_saveexec_b64 s[0:1], vcc
	s_cbranch_execz .LBB226_22
; %bb.14:
	v_mul_lo_u32 v1, v21, s13
	v_add_u32_e32 v0, s15, v0
	v_cmp_gt_u32_e32 vcc, s13, v0
	s_and_saveexec_b64 s[0:1], vcc
	s_cbranch_execz .LBB226_16
; %bb.15:
	v_bfe_u32 v2, v22, 16, 1
	s_movk_i32 s2, 0x7fff
	v_add3_u32 v2, v22, v2, s2
	v_cmp_o_f32_e32 vcc, v22, v22
	v_mov_b32_e32 v3, 0x7fc0
	v_cndmask_b32_sdwa v4, v3, v2, vcc dst_sel:DWORD dst_unused:UNUSED_PAD src0_sel:DWORD src1_sel:WORD_1
	v_add_u32_e32 v2, v1, v0
	v_mov_b32_e32 v3, 0
	v_lshlrev_b64 v[2:3], 1, v[2:3]
	v_mov_b32_e32 v5, s17
	v_add_co_u32_e32 v2, vcc, s16, v2
	v_addc_co_u32_e32 v3, vcc, v5, v3, vcc
	global_store_short v[2:3], v4, off
.LBB226_16:
	s_or_b64 exec, exec, s[0:1]
	v_add_u32_e32 v2, 32, v0
	v_cmp_gt_u32_e32 vcc, s13, v2
	s_and_saveexec_b64 s[0:1], vcc
	s_cbranch_execz .LBB226_18
; %bb.17:
	v_bfe_u32 v3, v45, 16, 1
	s_movk_i32 s2, 0x7fff
	v_add3_u32 v3, v45, v3, s2
	v_cmp_o_f32_e32 vcc, v45, v45
	v_mov_b32_e32 v4, 0x7fc0
	v_cndmask_b32_sdwa v4, v4, v3, vcc dst_sel:DWORD dst_unused:UNUSED_PAD src0_sel:DWORD src1_sel:WORD_1
	v_add_u32_e32 v2, v1, v2
	v_mov_b32_e32 v3, 0
	v_lshlrev_b64 v[2:3], 1, v[2:3]
	v_mov_b32_e32 v5, s17
	v_add_co_u32_e32 v2, vcc, s16, v2
	v_addc_co_u32_e32 v3, vcc, v5, v3, vcc
	global_store_short v[2:3], v4, off
.LBB226_18:
	s_or_b64 exec, exec, s[0:1]
	v_add_u32_e32 v2, 64, v0
	v_cmp_gt_u32_e32 vcc, s13, v2
	s_and_saveexec_b64 s[0:1], vcc
	s_cbranch_execz .LBB226_20
; %bb.19:
	v_bfe_u32 v3, v44, 16, 1
	s_movk_i32 s2, 0x7fff
	v_add3_u32 v3, v44, v3, s2
	v_cmp_o_f32_e32 vcc, v44, v44
	v_mov_b32_e32 v4, 0x7fc0
	v_cndmask_b32_sdwa v4, v4, v3, vcc dst_sel:DWORD dst_unused:UNUSED_PAD src0_sel:DWORD src1_sel:WORD_1
	v_add_u32_e32 v2, v1, v2
	v_mov_b32_e32 v3, 0
	v_lshlrev_b64 v[2:3], 1, v[2:3]
	v_mov_b32_e32 v5, s17
	v_add_co_u32_e32 v2, vcc, s16, v2
	v_addc_co_u32_e32 v3, vcc, v5, v3, vcc
	global_store_short v[2:3], v4, off
.LBB226_20:
	s_or_b64 exec, exec, s[0:1]
	v_add_u32_e32 v0, 0x60, v0
	v_cmp_gt_u32_e32 vcc, s13, v0
	s_and_b64 exec, exec, vcc
	s_cbranch_execz .LBB226_22
; %bb.21:
	v_add_u32_e32 v0, v1, v0
	v_mov_b32_e32 v1, 0
	v_bfe_u32 v2, v12, 16, 1
	s_movk_i32 s0, 0x7fff
	v_lshlrev_b64 v[0:1], 1, v[0:1]
	v_add3_u32 v2, v12, v2, s0
	v_cmp_o_f32_e32 vcc, v12, v12
	v_mov_b32_e32 v3, 0x7fc0
	v_cndmask_b32_sdwa v2, v3, v2, vcc dst_sel:DWORD dst_unused:UNUSED_PAD src0_sel:DWORD src1_sel:WORD_1
	v_mov_b32_e32 v3, s17
	v_add_co_u32_e32 v0, vcc, s16, v0
	v_addc_co_u32_e32 v1, vcc, v3, v1, vcc
	global_store_short v[0:1], v2, off
.LBB226_22:
	s_endpgm
	.section	.rodata,"a",@progbits
	.p2align	6, 0x0
	.amdhsa_kernel _ZL8moe_q8_0IN3c108BFloat16ELb1EEvPKvS3_PT_PKiS7_S7_iiiiiii
		.amdhsa_group_segment_fixed_size 20160
		.amdhsa_private_segment_fixed_size 0
		.amdhsa_kernarg_size 76
		.amdhsa_user_sgpr_count 6
		.amdhsa_user_sgpr_private_segment_buffer 1
		.amdhsa_user_sgpr_dispatch_ptr 0
		.amdhsa_user_sgpr_queue_ptr 0
		.amdhsa_user_sgpr_kernarg_segment_ptr 1
		.amdhsa_user_sgpr_dispatch_id 0
		.amdhsa_user_sgpr_flat_scratch_init 0
		.amdhsa_user_sgpr_private_segment_size 0
		.amdhsa_uses_dynamic_stack 0
		.amdhsa_system_sgpr_private_segment_wavefront_offset 0
		.amdhsa_system_sgpr_workgroup_id_x 1
		.amdhsa_system_sgpr_workgroup_id_y 1
		.amdhsa_system_sgpr_workgroup_id_z 0
		.amdhsa_system_sgpr_workgroup_info 0
		.amdhsa_system_vgpr_workitem_id 1
		.amdhsa_next_free_vgpr 84
		.amdhsa_next_free_sgpr 98
		.amdhsa_reserve_vcc 1
		.amdhsa_reserve_flat_scratch 0
		.amdhsa_float_round_mode_32 0
		.amdhsa_float_round_mode_16_64 0
		.amdhsa_float_denorm_mode_32 3
		.amdhsa_float_denorm_mode_16_64 3
		.amdhsa_dx10_clamp 1
		.amdhsa_ieee_mode 1
		.amdhsa_fp16_overflow 0
		.amdhsa_exception_fp_ieee_invalid_op 0
		.amdhsa_exception_fp_denorm_src 0
		.amdhsa_exception_fp_ieee_div_zero 0
		.amdhsa_exception_fp_ieee_overflow 0
		.amdhsa_exception_fp_ieee_underflow 0
		.amdhsa_exception_fp_ieee_inexact 0
		.amdhsa_exception_int_div_zero 0
	.end_amdhsa_kernel
	.section	.text._ZL8moe_q8_0IN3c108BFloat16ELb1EEvPKvS3_PT_PKiS7_S7_iiiiiii,"axG",@progbits,_ZL8moe_q8_0IN3c108BFloat16ELb1EEvPKvS3_PT_PKiS7_S7_iiiiiii,comdat
.Lfunc_end226:
	.size	_ZL8moe_q8_0IN3c108BFloat16ELb1EEvPKvS3_PT_PKiS7_S7_iiiiiii, .Lfunc_end226-_ZL8moe_q8_0IN3c108BFloat16ELb1EEvPKvS3_PT_PKiS7_S7_iiiiiii
                                        ; -- End function
	.set _ZL8moe_q8_0IN3c108BFloat16ELb1EEvPKvS3_PT_PKiS7_S7_iiiiiii.num_vgpr, 84
	.set _ZL8moe_q8_0IN3c108BFloat16ELb1EEvPKvS3_PT_PKiS7_S7_iiiiiii.num_agpr, 0
	.set _ZL8moe_q8_0IN3c108BFloat16ELb1EEvPKvS3_PT_PKiS7_S7_iiiiiii.numbered_sgpr, 20
	.set _ZL8moe_q8_0IN3c108BFloat16ELb1EEvPKvS3_PT_PKiS7_S7_iiiiiii.num_named_barrier, 0
	.set _ZL8moe_q8_0IN3c108BFloat16ELb1EEvPKvS3_PT_PKiS7_S7_iiiiiii.private_seg_size, 0
	.set _ZL8moe_q8_0IN3c108BFloat16ELb1EEvPKvS3_PT_PKiS7_S7_iiiiiii.uses_vcc, 1
	.set _ZL8moe_q8_0IN3c108BFloat16ELb1EEvPKvS3_PT_PKiS7_S7_iiiiiii.uses_flat_scratch, 0
	.set _ZL8moe_q8_0IN3c108BFloat16ELb1EEvPKvS3_PT_PKiS7_S7_iiiiiii.has_dyn_sized_stack, 0
	.set _ZL8moe_q8_0IN3c108BFloat16ELb1EEvPKvS3_PT_PKiS7_S7_iiiiiii.has_recursion, 0
	.set _ZL8moe_q8_0IN3c108BFloat16ELb1EEvPKvS3_PT_PKiS7_S7_iiiiiii.has_indirect_call, 0
	.section	.AMDGPU.csdata,"",@progbits
; Kernel info:
; codeLenInByte = 3288
; TotalNumSgprs: 24
; NumVgprs: 84
; ScratchSize: 0
; MemoryBound: 0
; FloatMode: 240
; IeeeMode: 1
; LDSByteSize: 20160 bytes/workgroup (compile time only)
; SGPRBlocks: 12
; VGPRBlocks: 20
; NumSGPRsForWavesPerEU: 102
; NumVGPRsForWavesPerEU: 84
; Occupancy: 3
; WaveLimiterHint : 1
; COMPUTE_PGM_RSRC2:SCRATCH_EN: 0
; COMPUTE_PGM_RSRC2:USER_SGPR: 6
; COMPUTE_PGM_RSRC2:TRAP_HANDLER: 0
; COMPUTE_PGM_RSRC2:TGID_X_EN: 1
; COMPUTE_PGM_RSRC2:TGID_Y_EN: 1
; COMPUTE_PGM_RSRC2:TGID_Z_EN: 0
; COMPUTE_PGM_RSRC2:TIDIG_COMP_CNT: 1
	.section	.text._ZL8moe_q2_KIN3c108BFloat16ELb0EEvPKvS3_PT_PKiS7_S7_iiiiiii,"axG",@progbits,_ZL8moe_q2_KIN3c108BFloat16ELb0EEvPKvS3_PT_PKiS7_S7_iiiiiii,comdat
	.globl	_ZL8moe_q2_KIN3c108BFloat16ELb0EEvPKvS3_PT_PKiS7_S7_iiiiiii ; -- Begin function _ZL8moe_q2_KIN3c108BFloat16ELb0EEvPKvS3_PT_PKiS7_S7_iiiiiii
	.p2align	8
	.type	_ZL8moe_q2_KIN3c108BFloat16ELb0EEvPKvS3_PT_PKiS7_S7_iiiiiii,@function
_ZL8moe_q2_KIN3c108BFloat16ELb0EEvPKvS3_PT_PKiS7_S7_iiiiiii: ; @_ZL8moe_q2_KIN3c108BFloat16ELb0EEvPKvS3_PT_PKiS7_S7_iiiiiii
; %bb.0:
	s_load_dwordx4 s[0:3], s[4:5], 0x18
	s_mov_b32 s8, s7
	s_mov_b32 s9, 0
	s_lshl_b64 s[10:11], s[8:9], 2
	s_waitcnt lgkmcnt(0)
	s_add_u32 s2, s2, s10
	s_addc_u32 s3, s3, s11
	s_load_dword s2, s[2:3], 0x0
	s_waitcnt lgkmcnt(0)
	s_cmpk_gt_u32 s2, 0xff
	s_cbranch_scc1 .LBB227_46
; %bb.1:
	s_load_dwordx2 s[10:11], s[4:5], 0x28
	s_lshl_b32 s3, s8, 3
	s_waitcnt lgkmcnt(0)
	s_load_dword s7, s[10:11], 0x0
	s_waitcnt lgkmcnt(0)
	s_cmp_gt_u32 s3, s7
	s_cbranch_scc1 .LBB227_46
; %bb.2:
	v_add_u32_e32 v8, s3, v1
	v_mov_b32_e32 v9, 0
	v_lshlrev_b64 v[2:3], 2, v[8:9]
	v_mov_b32_e32 v4, s1
	v_add_co_u32_e32 v2, vcc, s0, v2
	v_addc_co_u32_e32 v3, vcc, v4, v3, vcc
	global_load_dword v12, v[2:3], off
	s_load_dwordx2 s[14:15], s[4:5], 0x30
	s_load_dwordx2 s[12:13], s[4:5], 0x10
	s_load_dwordx4 s[8:11], s[4:5], 0x3c
	s_lshl_b32 s18, s6, 7
	v_mov_b32_e32 v60, v9
	s_waitcnt lgkmcnt(0)
	s_cmpk_lt_i32 s15, 0x100
	v_mov_b32_e32 v63, v9
	v_mov_b32_e32 v13, v9
	s_cbranch_scc1 .LBB227_37
; %bb.3:
	s_ashr_i32 s0, s15, 31
	s_lshr_b32 s0, s0, 24
	s_load_dwordx4 s[4:7], s[4:5], 0x0
	s_add_i32 s0, s15, s0
	s_ashr_i32 s19, s0, 8
	s_ashr_i32 s0, s9, 31
	s_lshr_b32 s0, s0, 27
	s_add_i32 s0, s9, s0
	s_mul_i32 s2, s2, s14
	s_ashr_i32 s9, s0, 5
	s_ashr_i32 s0, s2, 31
	s_waitcnt lgkmcnt(0)
	s_add_u32 s1, s4, s2
	s_mul_i32 s2, s19, s18
	s_addc_u32 s0, s5, s0
	s_mul_hi_i32 s3, s2, 0x54
	s_mulk_i32 s2, 0x54
	s_add_u32 s20, s1, s2
	s_addc_u32 s21, s0, s3
	v_lshlrev_b32_e32 v2, 2, v0
	s_movk_i32 s0, 0x84
	v_mad_u32_u24 v17, v1, s0, v2
	s_lshl_b32 s0, s19, 3
	v_mov_b32_e32 v3, s0
	v_mad_i32_i24 v18, s19, v1, v3
	v_add_u32_e32 v20, s0, v18
	v_add_u32_e32 v22, s0, v20
	;; [unrolled: 1-line block ×11, first 2 shown]
	v_lshlrev_b32_e32 v3, 4, v1
	v_lshrrev_b32_e32 v4, 1, v0
	v_add_u32_e32 v42, s0, v40
	v_and_b32_e32 v48, 1, v0
	v_add_u32_e32 v4, v4, v3
	v_add_u32_e32 v44, s0, v42
	v_and_b32_e32 v5, 0x7f, v4
	v_lshlrev_b32_e32 v6, 2, v48
	v_lshrrev_b32_e32 v4, 2, v4
	v_add_u32_e32 v46, s0, v44
	v_mul_i32_i24_e32 v49, s19, v5
	v_lshl_or_b32 v5, v5, 3, v6
	v_and_b32_e32 v4, 28, v4
	s_movk_i32 s0, 0x5280
	v_lshrrev_b32_e32 v51, 3, v0
	v_mov_b32_e32 v58, 0x56a0
	s_abs_i32 s2, s11
	v_mul_i32_i24_e32 v16, s19, v1
	v_add3_u32 v50, v5, v4, s0
	v_lshl_add_u32 v4, v1, 2, v51
	v_lshl_add_u32 v58, v1, 7, v58
	v_cvt_f32_u32_e32 v1, s2
	s_lshl_b32 s1, s19, 5
	v_mov_b32_e32 v9, s1
	v_and_b32_e32 v5, 7, v0
	v_rcp_iflag_f32_e32 v1, v1
	v_mul_i32_i24_e32 v54, s19, v4
	v_and_b32_e32 v6, 0x7fc, v4
	v_lshlrev_b32_e32 v7, 5, v4
	v_mul_f32_e32 v1, 0x4f7ffffe, v1
	v_cvt_u32_f32_e32 v1, v1
	v_add_u32_e32 v8, 32, v4
	v_mad_i32_i24 v55, s19, v4, v9
	v_add_u32_e32 v10, 64, v4
	v_add_u32_e32 v4, 0x60, v4
	v_cmp_lt_u32_e32 vcc, 3, v5
	v_lshlrev_b32_e32 v5, 2, v5
	s_movk_i32 s0, 0x4200
	v_and_b32_e32 v9, 0xffc, v8
	v_and_b32_e32 v11, 0xffc, v10
	v_lshlrev_b32_e32 v63, 5, v10
	v_and_b32_e32 v10, 0xffc, v4
	v_add3_u32 v6, v6, v5, s0
	v_add3_u32 v9, v9, v5, s0
	;; [unrolled: 1-line block ×4, first 2 shown]
	v_and_b32_e32 v10, 31, v0
	s_sub_i32 s0, 0, s2
	v_lshl_add_u32 v59, v10, 2, v58
	v_mul_lo_u32 v10, s0, v1
	s_waitcnt vmcnt(0)
	v_sub_u32_e32 v64, 0, v12
	v_max_i32_e32 v67, v12, v64
	v_add_u32_e32 v56, s1, v55
	v_mul_hi_u32 v10, v1, v10
	v_add_u32_e32 v57, s1, v56
	v_xor_b32_e32 v68, s11, v12
	v_ashrrev_i32_e32 v68, 31, v68
	v_add_u32_e32 v1, v1, v10
	v_mul_hi_u32 v1, v67, v1
	v_and_b32_e32 v11, 28, v2
	v_add_u32_e32 v61, 0x5aa0, v3
	v_and_b32_e32 v15, 60, v2
	v_mul_lo_u32 v10, v1, s2
	v_and_b32_e32 v53, 12, v2
	v_add_u32_e32 v62, v61, v2
	v_mul_u32_u24_e32 v2, 33, v0
	v_sub_u32_e32 v10, v67, v10
	v_add_u32_e32 v67, 1, v1
	v_cmp_le_u32_e64 s[0:1], s2, v10
	v_cndmask_b32_e64 v1, v1, v67, s[0:1]
	v_subrev_u32_e32 v67, s2, v10
	v_cndmask_b32_e64 v10, v10, v67, s[0:1]
	v_add_u32_e32 v67, 1, v1
	v_cmp_le_u32_e64 s[0:1], s2, v10
	v_cndmask_b32_e64 v1, v1, v67, s[0:1]
	v_xor_b32_e32 v1, v1, v68
	v_sub_u32_e32 v1, v1, v68
	v_add_u32_e32 v70, 0x60, v0
	v_cmp_gt_i32_e64 s[0:1], s8, v1
	v_mul_lo_u32 v67, v1, s9
	v_mov_b32_e32 v1, s7
	v_add_co_u32_e64 v10, s[2:3], s6, v11
	v_addc_co_u32_e64 v11, s[2:3], 0, v1, s[2:3]
	v_lshlrev_b32_e32 v68, 2, v2
	v_lshlrev_b32_e32 v1, 5, v0
	v_and_b32_e32 v2, 0x1fc, v70
	v_add_u32_e32 v73, 32, v0
	v_lshlrev_b32_e32 v87, 1, v70
	v_lshrrev_b32_e32 v86, 4, v70
	v_lshrrev_b32_e32 v66, 3, v70
	v_add_u32_e32 v70, v1, v2
	v_and_b32_e32 v2, 0xfc, v0
	v_add_u32_e32 v74, 64, v0
	v_add_u32_e32 v71, v1, v2
	v_and_b32_e32 v2, 0x1fc, v73
	v_cndmask_b32_e64 v52, 0, 1, vcc
	v_lshlrev_b32_e32 v8, 5, v8
	v_lshlrev_b32_e32 v4, 5, v4
	v_cmp_gt_u32_e32 vcc, 4, v0
	v_lshlrev_b32_e32 v3, 1, v0
	v_lshlrev_b32_e32 v83, 1, v73
	v_lshrrev_b32_e32 v82, 4, v73
	v_lshlrev_b32_e32 v85, 1, v74
	v_lshrrev_b32_e32 v84, 4, v74
	v_lshrrev_b32_e32 v64, 3, v73
	v_add_u32_e32 v73, v1, v2
	v_and_b32_e32 v2, 0x1fc, v74
	s_movk_i32 s14, 0x54
	v_lshrrev_b32_e32 v14, 4, v0
	s_mov_b32 s22, 0
	v_mov_b32_e32 v13, 0
	v_add_u32_e32 v19, 0x420, v17
	v_add_u32_e32 v21, 0x840, v17
	;; [unrolled: 1-line block ×15, first 2 shown]
	v_lshrrev_b32_e32 v65, 3, v74
	s_and_b64 s[4:5], vcc, s[0:1]
	v_ashrrev_i32_e32 v69, 31, v67
	v_add_u32_e32 v72, 0x4200, v71
	v_add_u32_e32 v74, v1, v2
	;; [unrolled: 1-line block ×6, first 2 shown]
	s_mov_b32 s23, 0x1010101
	v_lshlrev_b32_e32 v79, 2, v3
	v_mov_b32_e32 v80, 4
	v_mov_b32_e32 v81, 15
	v_lshlrev_b32_e32 v82, 2, v82
	v_lshlrev_b32_e32 v83, 2, v83
	;; [unrolled: 1-line block ×6, first 2 shown]
	v_mov_b32_e32 v63, 0
	v_mov_b32_e32 v60, 0
	;; [unrolled: 1-line block ×3, first 2 shown]
	s_branch .LBB227_5
.LBB227_4:                              ;   in Loop: Header=BB227_5 Depth=1
	s_add_i32 s22, s22, 2
	s_cmp_ge_i32 s22, s19
	s_cbranch_scc1 .LBB227_37
.LBB227_5:                              ; =>This Loop Header: Depth=1
                                        ;     Child Loop BB227_11 Depth 2
                                        ;     Child Loop BB227_19 Depth 2
	;; [unrolled: 1-line block ×4, first 2 shown]
	s_mul_i32 s2, s22, 0x54
	s_mul_hi_u32 s3, s22, 0x54
	s_add_u32 s2, s20, s2
	s_addc_u32 s3, s21, s3
	v_mov_b32_e32 v1, s2
	v_mov_b32_e32 v2, s3
	v_mad_u64_u32 v[3:4], s[2:3], v14, s14, v[1:2]
	s_lshl_b32 s24, s22, 8
	s_cmp_lt_i32 s24, s15
	v_mad_u64_u32 v[5:6], s[2:3], v16, s14, v[3:4]
	v_mad_u64_u32 v[7:8], s[2:3], v18, s14, v[3:4]
	v_add_co_u32_e64 v5, s[2:3], v5, v15
	v_addc_co_u32_e64 v6, s[2:3], 0, v6, s[2:3]
	v_add_co_u32_e64 v7, s[2:3], v7, v15
	v_addc_co_u32_e64 v8, s[2:3], 0, v8, s[2:3]
	v_mad_u64_u32 v[88:89], s[2:3], v20, s14, v[3:4]
	v_mad_u64_u32 v[90:91], s[2:3], v22, s14, v[3:4]
	v_add_co_u32_e64 v88, s[2:3], v88, v15
	v_addc_co_u32_e64 v89, s[2:3], 0, v89, s[2:3]
	v_add_co_u32_e64 v90, s[2:3], v90, v15
	v_addc_co_u32_e64 v91, s[2:3], 0, v91, s[2:3]
	;; [unrolled: 6-line block ×4, first 2 shown]
	global_load_dword v100, v[5:6], off offset:16
	global_load_dword v101, v[7:8], off offset:16
	;; [unrolled: 1-line block ×7, first 2 shown]
	s_nop 0
	global_load_dword v98, v[98:99], off offset:16
	v_mad_u64_u32 v[5:6], s[2:3], v32, s14, v[3:4]
	v_mad_u64_u32 v[7:8], s[2:3], v34, s14, v[3:4]
	v_add_co_u32_e64 v5, s[2:3], v5, v15
	v_addc_co_u32_e64 v6, s[2:3], 0, v6, s[2:3]
	v_add_co_u32_e64 v7, s[2:3], v7, v15
	v_addc_co_u32_e64 v8, s[2:3], 0, v8, s[2:3]
	v_mad_u64_u32 v[88:89], s[2:3], v36, s14, v[3:4]
	v_mad_u64_u32 v[90:91], s[2:3], v38, s14, v[3:4]
	v_add_co_u32_e64 v88, s[2:3], v88, v15
	v_addc_co_u32_e64 v89, s[2:3], 0, v89, s[2:3]
	v_add_co_u32_e64 v90, s[2:3], v90, v15
	v_addc_co_u32_e64 v91, s[2:3], 0, v91, s[2:3]
	;; [unrolled: 6-line block ×4, first 2 shown]
	global_load_dword v99, v[5:6], off offset:16
	global_load_dword v107, v[7:8], off offset:16
	;; [unrolled: 1-line block ×3, first 2 shown]
	s_nop 0
	global_load_dword v90, v[90:91], off offset:16
	s_nop 0
	global_load_dword v91, v[92:93], off offset:16
	;; [unrolled: 2-line block ×3, first 2 shown]
	global_load_dword v93, v[96:97], off offset:16
	s_nop 0
	global_load_dword v94, v[3:4], off offset:16
	v_mad_u64_u32 v[3:4], s[2:3], v49, s14, v[1:2]
	v_mad_u64_u32 v[1:2], s[2:3], v52, s14, v[1:2]
	;; [unrolled: 1-line block ×3, first 2 shown]
	v_add_co_u32_e64 v1, s[2:3], v1, v53
	v_addc_co_u32_e64 v2, s[2:3], 0, v2, s[2:3]
	v_mad_u64_u32 v[5:6], s[2:3], v54, s14, v[1:2]
	v_mad_u64_u32 v[7:8], s[2:3], v55, s14, v[1:2]
	v_mad_u64_u32 v[88:89], s[2:3], v56, s14, v[1:2]
	v_mad_u64_u32 v[1:2], s[2:3], v57, s14, v[1:2]
	global_load_dword v3, v[3:4], off offset:80
	s_nop 0
	global_load_dword v4, v[5:6], off
	s_nop 0
	global_load_dword v5, v[7:8], off
	global_load_dword v6, v[88:89], off
	s_nop 0
	global_load_dword v1, v[1:2], off
	s_waitcnt vmcnt(20)
	ds_write_b32 v17, v100
	s_waitcnt vmcnt(19)
	ds_write_b32 v19, v101
	s_waitcnt vmcnt(18)
	ds_write_b32 v21, v102
	s_waitcnt vmcnt(17)
	ds_write_b32 v23, v103
	s_waitcnt vmcnt(16)
	ds_write_b32 v25, v104
	s_waitcnt vmcnt(15)
	ds_write_b32 v27, v105
	s_waitcnt vmcnt(14)
	ds_write_b32 v29, v106
	s_waitcnt vmcnt(13)
	ds_write_b32 v31, v98
	s_waitcnt vmcnt(12)
	ds_write_b32 v33, v99
	s_waitcnt vmcnt(11)
	ds_write_b32 v35, v107
	s_waitcnt vmcnt(10)
	ds_write_b32 v37, v108
	s_waitcnt vmcnt(9)
	ds_write_b32 v39, v90
	s_waitcnt vmcnt(8)
	ds_write_b32 v41, v91
	s_waitcnt vmcnt(7)
	ds_write_b32 v43, v92
	s_waitcnt vmcnt(6)
	ds_write_b32 v45, v93
	s_waitcnt vmcnt(5)
	ds_write_b32 v47, v94
	s_waitcnt vmcnt(4)
	ds_write_b32 v50, v3
	s_waitcnt vmcnt(3)
	ds_write_b32 v75, v4
	s_waitcnt vmcnt(2)
	ds_write_b32 v76, v5
	s_waitcnt vmcnt(1)
	ds_write_b32 v77, v6
	s_waitcnt vmcnt(0)
	ds_write_b32 v78, v1
	s_cbranch_scc0 .LBB227_4
; %bb.6:                                ;   in Loop: Header=BB227_5 Depth=1
	s_lshl_b32 s25, s22, 3
	v_add_u32_e32 v1, s25, v51
	v_cmp_gt_i32_e64 s[2:3], s9, v1
	s_and_b64 s[16:17], s[0:1], s[2:3]
	s_and_saveexec_b64 s[2:3], s[16:17]
	s_cbranch_execz .LBB227_8
; %bb.7:                                ;   in Loop: Header=BB227_5 Depth=1
	v_add_u32_e32 v1, v67, v1
	v_mad_i64_i32 v[1:2], s[16:17], v1, 36, v[10:11]
	global_load_dword v1, v[1:2], off offset:4
	s_waitcnt vmcnt(0)
	ds_write_b32 v59, v1
.LBB227_8:                              ;   in Loop: Header=BB227_5 Depth=1
	s_or_b64 exec, exec, s[2:3]
	v_add_u32_e32 v89, s25, v0
	v_cmp_gt_i32_e64 s[2:3], s9, v89
	s_and_b64 s[16:17], s[4:5], s[2:3]
	s_and_saveexec_b64 s[2:3], s[16:17]
	s_cbranch_execz .LBB227_10
; %bb.9:                                ;   in Loop: Header=BB227_5 Depth=1
	v_add_u32_e32 v1, v67, v89
	v_mad_i64_i32 v[1:2], s[16:17], v1, 36, s[6:7]
	global_load_dword v1, v[1:2], off
	s_waitcnt vmcnt(0)
	v_cvt_f32_f16_e32 v1, v1
	ds_write_b32 v62, v1
.LBB227_10:                             ;   in Loop: Header=BB227_5 Depth=1
	s_or_b64 exec, exec, s[2:3]
	s_mov_b32 s2, 0
	v_mov_b32_e32 v90, v61
	v_mov_b32_e32 v91, v58
	s_waitcnt lgkmcnt(0)
	s_barrier
.LBB227_11:                             ;   Parent Loop BB227_5 Depth=1
                                        ; =>  This Inner Loop Header: Depth=2
	s_and_b32 s16, s2, 0x3ffffff8
	v_lshl_add_u32 v93, s16, 2, v68
	ds_read_b32 v92, v90
	ds_read_b128 v[5:8], v91
	ds_read_b128 v[1:4], v91 offset:16
	ds_read2_b32 v[94:95], v93 offset1:1
	s_lshr_b32 s16, s2, 2
	s_and_b32 s16, s16, 0x3ffffffc
	s_and_b32 s3, s2, -16
	s_addk_i32 s16, 0x5280
	s_waitcnt lgkmcnt(0)
	v_ashrrev_i32_e32 v88, s2, v94
	v_and_b32_e32 v96, 0x3030303, v88
	v_ashrrev_i32_e32 v88, s2, v95
	ds_read2_b32 v[94:95], v93 offset0:2 offset1:3
	v_and_b32_e32 v97, 0x3030303, v88
	s_add_i32 s3, s2, s3
	v_dot4_i32_i8 v96, v96, v5, 0
	v_dot4_i32_i8 v96, v97, v6, v96
	s_waitcnt lgkmcnt(0)
	v_ashrrev_i32_e32 v88, s2, v94
	v_and_b32_e32 v98, 0x3030303, v88
	v_ashrrev_i32_e32 v88, s2, v95
	ds_read2_b32 v[94:95], v93 offset0:4 offset1:5
	v_and_b32_e32 v99, 0x3030303, v88
	v_dot4_i32_i8 v96, v98, v7, v96
	v_dot4_i32_i8 v96, v99, v8, v96
	v_add_u32_e32 v91, 32, v91
	s_waitcnt lgkmcnt(0)
	v_ashrrev_i32_e32 v88, s2, v94
	v_and_b32_e32 v100, 0x3030303, v88
	v_ashrrev_i32_e32 v88, s2, v95
	ds_read2_b32 v[94:95], v93 offset0:6 offset1:7
	v_and_b32_e32 v101, 0x3030303, v88
	v_dot4_i32_i8 v98, v100, v1, 0
	v_dot4_i32_i8 v98, v101, v2, v98
	v_add_u32_e32 v90, 4, v90
	s_waitcnt lgkmcnt(0)
	v_ashrrev_i32_e32 v88, s2, v94
	v_and_b32_e32 v102, 0x3030303, v88
	v_ashrrev_i32_e32 v88, s2, v95
	v_and_b32_e32 v95, 0x3030303, v88
	v_lshlrev_b32_e32 v88, 2, v14
	v_add3_u32 v103, s16, v88, v79
	v_add_u32_e32 v94, s3, v72
	ds_read_b32 v103, v103
	ds_read_u16 v104, v94
	v_dot4_i32_i8 v98, v102, v3, v98
	v_dot4_i32_i8 v95, v95, v4, v98
	s_waitcnt lgkmcnt(0)
	v_bfe_u32 v94, v104, 4, 4
	v_mul_lo_u32 v94, v94, s23
	v_dot4_i32_i8 v105, v94, v5, 0
	v_dot4_i32_i8 v97, v94, v6, v105
	;; [unrolled: 1-line block ×4, first 2 shown]
	v_and_b32_e32 v94, 15, v104
	v_mul_lo_u32 v94, v94, v96
	v_lshrrev_b32_sdwa v96, v80, v104 dst_sel:DWORD dst_unused:UNUSED_PAD src0_sel:DWORD src1_sel:BYTE_1
	v_mul_lo_u32 v96, v96, s23
	v_dot4_i32_i8 v97, v96, v1, v97
	v_dot4_i32_i8 v97, v96, v2, v97
	;; [unrolled: 1-line block ×4, first 2 shown]
	v_and_b32_sdwa v97, v104, v81 dst_sel:DWORD dst_unused:UNUSED_PAD src0_sel:BYTE_1 src1_sel:DWORD
	v_mad_u64_u32 v[94:95], s[26:27], v97, v95, v[94:95]
	v_cvt_f32_f16_sdwa v95, v103 dst_sel:DWORD dst_unused:UNUSED_PAD src0_sel:WORD_1
	v_cvt_f32_i32_e32 v96, v96
	v_cvt_f32_i32_e32 v94, v94
	v_mul_f32_e32 v95, v95, v96
	v_fma_mix_f32 v94, v103, v94, -v95 op_sel_hi:[1,0,0]
	v_fmac_f32_e32 v13, v92, v94
	v_add_u32_e32 v94, 0x1080, v93
	ds_read2_b32 v[94:95], v94 offset1:1
	v_add3_u32 v103, s16, v82, v83
	s_waitcnt lgkmcnt(0)
	v_ashrrev_i32_e32 v94, s2, v94
	v_and_b32_e32 v96, 0x3030303, v94
	v_ashrrev_i32_e32 v94, s2, v95
	v_and_b32_e32 v97, 0x3030303, v94
	v_add_u32_e32 v94, 0x1088, v93
	ds_read2_b32 v[94:95], v94 offset1:1
	v_dot4_i32_i8 v96, v96, v5, 0
	v_dot4_i32_i8 v96, v97, v6, v96
	s_waitcnt lgkmcnt(0)
	v_ashrrev_i32_e32 v94, s2, v94
	v_and_b32_e32 v98, 0x3030303, v94
	v_ashrrev_i32_e32 v94, s2, v95
	v_and_b32_e32 v99, 0x3030303, v94
	v_add_u32_e32 v94, 0x1090, v93
	ds_read2_b32 v[94:95], v94 offset1:1
	v_dot4_i32_i8 v96, v98, v7, v96
	v_dot4_i32_i8 v96, v99, v8, v96
	;; [unrolled: 9-line block ×3, first 2 shown]
	s_waitcnt lgkmcnt(0)
	v_ashrrev_i32_e32 v94, s2, v94
	v_and_b32_e32 v102, 0x3030303, v94
	v_ashrrev_i32_e32 v94, s2, v95
	v_and_b32_e32 v95, 0x3030303, v94
	v_add_u32_e32 v94, s3, v73
	ds_read_b32 v103, v103
	ds_read_u16 v104, v94 offset:17920
	v_dot4_i32_i8 v98, v102, v3, v98
	v_dot4_i32_i8 v95, v95, v4, v98
	s_waitcnt lgkmcnt(0)
	v_bfe_u32 v94, v104, 4, 4
	v_mul_lo_u32 v94, v94, s23
	v_dot4_i32_i8 v105, v94, v5, 0
	v_dot4_i32_i8 v97, v94, v6, v105
	;; [unrolled: 1-line block ×4, first 2 shown]
	v_and_b32_e32 v94, 15, v104
	v_mul_lo_u32 v94, v94, v96
	v_lshrrev_b32_sdwa v96, v80, v104 dst_sel:DWORD dst_unused:UNUSED_PAD src0_sel:DWORD src1_sel:BYTE_1
	v_mul_lo_u32 v96, v96, s23
	v_dot4_i32_i8 v97, v96, v1, v97
	v_dot4_i32_i8 v97, v96, v2, v97
	v_dot4_i32_i8 v97, v96, v3, v97
	v_dot4_i32_i8 v96, v96, v4, v97
	v_and_b32_sdwa v97, v104, v81 dst_sel:DWORD dst_unused:UNUSED_PAD src0_sel:BYTE_1 src1_sel:DWORD
	v_mad_u64_u32 v[94:95], s[26:27], v97, v95, v[94:95]
	v_cvt_f32_f16_sdwa v95, v103 dst_sel:DWORD dst_unused:UNUSED_PAD src0_sel:WORD_1
	v_cvt_f32_i32_e32 v96, v96
	v_cvt_f32_i32_e32 v94, v94
	v_mul_f32_e32 v95, v95, v96
	v_fma_mix_f32 v94, v103, v94, -v95 op_sel_hi:[1,0,0]
	v_fmac_f32_e32 v63, v92, v94
	v_add_u32_e32 v94, 0x2100, v93
	ds_read2_b32 v[94:95], v94 offset1:1
	v_add3_u32 v103, s16, v84, v85
	s_waitcnt lgkmcnt(0)
	v_ashrrev_i32_e32 v94, s2, v94
	v_and_b32_e32 v96, 0x3030303, v94
	v_ashrrev_i32_e32 v94, s2, v95
	v_and_b32_e32 v97, 0x3030303, v94
	v_add_u32_e32 v94, 0x2108, v93
	ds_read2_b32 v[94:95], v94 offset1:1
	v_dot4_i32_i8 v96, v96, v5, 0
	v_dot4_i32_i8 v96, v97, v6, v96
	s_waitcnt lgkmcnt(0)
	v_ashrrev_i32_e32 v94, s2, v94
	v_and_b32_e32 v98, 0x3030303, v94
	v_ashrrev_i32_e32 v94, s2, v95
	v_and_b32_e32 v99, 0x3030303, v94
	v_add_u32_e32 v94, 0x2110, v93
	ds_read2_b32 v[94:95], v94 offset1:1
	v_dot4_i32_i8 v96, v98, v7, v96
	v_dot4_i32_i8 v96, v99, v8, v96
	;; [unrolled: 9-line block ×3, first 2 shown]
	v_add_u32_e32 v101, s3, v70
	s_waitcnt lgkmcnt(0)
	v_ashrrev_i32_e32 v94, s2, v94
	v_and_b32_e32 v102, 0x3030303, v94
	v_ashrrev_i32_e32 v94, s2, v95
	v_and_b32_e32 v95, 0x3030303, v94
	v_add_u32_e32 v94, s3, v74
	ds_read_b32 v103, v103
	ds_read_u16 v104, v94 offset:18944
	v_dot4_i32_i8 v98, v102, v3, v98
	v_dot4_i32_i8 v95, v95, v4, v98
	v_add3_u32 v102, s16, v86, v87
	s_add_i32 s3, s2, 2
	s_waitcnt lgkmcnt(0)
	v_bfe_u32 v94, v104, 4, 4
	v_mul_lo_u32 v94, v94, s23
	s_cmp_lt_u32 s2, 6
	v_dot4_i32_i8 v105, v94, v5, 0
	v_dot4_i32_i8 v97, v94, v6, v105
	;; [unrolled: 1-line block ×4, first 2 shown]
	v_and_b32_e32 v94, 15, v104
	v_mul_lo_u32 v94, v94, v96
	v_lshrrev_b32_sdwa v96, v80, v104 dst_sel:DWORD dst_unused:UNUSED_PAD src0_sel:DWORD src1_sel:BYTE_1
	v_mul_lo_u32 v96, v96, s23
	v_dot4_i32_i8 v97, v96, v1, v97
	v_dot4_i32_i8 v97, v96, v2, v97
	;; [unrolled: 1-line block ×4, first 2 shown]
	v_and_b32_sdwa v97, v104, v81 dst_sel:DWORD dst_unused:UNUSED_PAD src0_sel:BYTE_1 src1_sel:DWORD
	v_mad_u64_u32 v[94:95], s[26:27], v97, v95, v[94:95]
	v_cvt_f32_f16_sdwa v95, v103 dst_sel:DWORD dst_unused:UNUSED_PAD src0_sel:WORD_1
	v_cvt_f32_i32_e32 v96, v96
	v_cvt_f32_i32_e32 v94, v94
	v_mul_f32_e32 v95, v95, v96
	v_fma_mix_f32 v94, v103, v94, -v95 op_sel_hi:[1,0,0]
	v_fmac_f32_e32 v60, v92, v94
	v_add_u32_e32 v94, 0x3180, v93
	ds_read2_b32 v[94:95], v94 offset1:1
	s_waitcnt lgkmcnt(0)
	v_ashrrev_i32_e32 v94, s2, v94
	v_and_b32_e32 v96, 0x3030303, v94
	v_ashrrev_i32_e32 v94, s2, v95
	v_and_b32_e32 v97, 0x3030303, v94
	v_add_u32_e32 v94, 0x3188, v93
	ds_read2_b32 v[94:95], v94 offset1:1
	v_dot4_i32_i8 v96, v96, v5, 0
	v_dot4_i32_i8 v96, v97, v6, v96
	s_waitcnt lgkmcnt(0)
	v_ashrrev_i32_e32 v94, s2, v94
	v_and_b32_e32 v98, 0x3030303, v94
	v_ashrrev_i32_e32 v94, s2, v95
	v_and_b32_e32 v99, 0x3030303, v94
	v_add_u32_e32 v94, 0x3190, v93
	ds_read2_b32 v[94:95], v94 offset1:1
	v_add_u32_e32 v93, 0x3198, v93
	s_waitcnt lgkmcnt(0)
	v_ashrrev_i32_e32 v94, s2, v94
	v_and_b32_e32 v100, 0x3030303, v94
	v_ashrrev_i32_e32 v94, s2, v95
	v_and_b32_e32 v95, 0x3030303, v94
	ds_read2_b32 v[93:94], v93 offset1:1
	ds_read_b32 v102, v102
	ds_read_u16 v101, v101 offset:19968
	s_waitcnt lgkmcnt(2)
	v_ashrrev_i32_e32 v93, s2, v93
	s_waitcnt lgkmcnt(0)
	v_bfe_u32 v103, v101, 4, 4
	v_mul_lo_u32 v103, v103, s23
	v_and_b32_e32 v93, 0x3030303, v93
	v_ashrrev_i32_e32 v94, s2, v94
	v_and_b32_e32 v94, 0x3030303, v94
	v_dot4_i32_i8 v5, v103, v5, 0
	v_dot4_i32_i8 v5, v103, v6, v5
	;; [unrolled: 1-line block ×6, first 2 shown]
	v_and_b32_e32 v5, 15, v101
	v_mul_lo_u32 v5, v5, v6
	v_lshrrev_b32_sdwa v6, v80, v101 dst_sel:DWORD dst_unused:UNUSED_PAD src0_sel:DWORD src1_sel:BYTE_1
	v_mul_lo_u32 v6, v6, s23
	v_dot4_i32_i8 v8, v100, v1, 0
	s_mov_b32 s2, s3
	v_dot4_i32_i8 v1, v6, v1, v7
	v_dot4_i32_i8 v7, v95, v2, v8
	;; [unrolled: 1-line block ×7, first 2 shown]
	v_and_b32_sdwa v1, v101, v81 dst_sel:DWORD dst_unused:UNUSED_PAD src0_sel:BYTE_1 src1_sel:DWORD
	v_mad_u64_u32 v[1:2], s[16:17], v1, v2, v[5:6]
	v_cvt_f32_f16_sdwa v2, v102 dst_sel:DWORD dst_unused:UNUSED_PAD src0_sel:WORD_1
	v_cvt_f32_i32_e32 v3, v3
	v_cvt_f32_i32_e32 v1, v1
	v_mul_f32_e32 v2, v2, v3
	v_fma_mix_f32 v1, v102, v1, -v2 op_sel_hi:[1,0,0]
	v_fmac_f32_e32 v9, v92, v1
	s_cbranch_scc1 .LBB227_11
; %bb.12:                               ;   in Loop: Header=BB227_5 Depth=1
	s_or_b32 s2, s24, 0x80
	s_cmp_ge_i32 s2, s15
	s_barrier
	s_cbranch_scc1 .LBB227_4
; %bb.13:                               ;   in Loop: Header=BB227_5 Depth=1
	v_add_u32_e32 v1, s25, v64
	v_cmp_gt_i32_e64 s[2:3], s9, v1
	s_and_b64 s[16:17], s[0:1], s[2:3]
	s_and_saveexec_b64 s[2:3], s[16:17]
	s_cbranch_execz .LBB227_15
; %bb.14:                               ;   in Loop: Header=BB227_5 Depth=1
	v_add_u32_e32 v1, v67, v1
	v_mad_i64_i32 v[1:2], s[16:17], v1, 36, v[10:11]
	global_load_dword v1, v[1:2], off offset:4
	s_waitcnt vmcnt(0)
	ds_write_b32 v59, v1
.LBB227_15:                             ;   in Loop: Header=BB227_5 Depth=1
	s_or_b64 exec, exec, s[2:3]
	s_and_saveexec_b64 s[16:17], vcc
	s_cbranch_execz .LBB227_18
; %bb.16:                               ;   in Loop: Header=BB227_5 Depth=1
	v_or_b32_e32 v1, 4, v89
	v_cmp_gt_i32_e64 s[2:3], s9, v1
	s_and_b64 s[2:3], s[0:1], s[2:3]
	s_and_b64 exec, exec, s[2:3]
	s_cbranch_execz .LBB227_18
; %bb.17:                               ;   in Loop: Header=BB227_5 Depth=1
	v_ashrrev_i32_e32 v1, 31, v89
	v_add_co_u32_e64 v2, s[2:3], v67, v89
	v_addc_co_u32_e64 v3, s[2:3], v69, v1, s[2:3]
	v_mad_u64_u32 v[1:2], s[2:3], v2, 36, s[6:7]
	v_mad_i32_i24 v2, v3, 36, v2
	global_load_dword v1, v[1:2], off offset:144
	s_waitcnt vmcnt(0)
	v_cvt_f32_f16_e32 v1, v1
	ds_write_b32 v62, v1
.LBB227_18:                             ;   in Loop: Header=BB227_5 Depth=1
	s_or_b64 exec, exec, s[16:17]
	s_mov_b32 s2, 8
	v_mov_b32_e32 v90, v58
	v_mov_b32_e32 v91, v61
	s_waitcnt lgkmcnt(0)
	s_barrier
.LBB227_19:                             ;   Parent Loop BB227_5 Depth=1
                                        ; =>  This Inner Loop Header: Depth=2
	s_and_b32 s17, s2, 0x3ffffff8
	v_lshl_add_u32 v93, s17, 2, v68
	ds_read_b32 v92, v91
	ds_read_b128 v[5:8], v90
	ds_read_b128 v[1:4], v90 offset:16
	ds_read2_b32 v[94:95], v93 offset1:1
	s_add_i32 s3, s2, -8
	s_lshr_b32 s17, s2, 2
	s_and_b32 s17, s17, 0x3ffffffc
	s_and_b32 s16, s2, -16
	s_waitcnt lgkmcnt(0)
	v_ashrrev_i32_e32 v94, s3, v94
	v_and_b32_e32 v96, 0x3030303, v94
	v_ashrrev_i32_e32 v94, s3, v95
	v_and_b32_e32 v97, 0x3030303, v94
	ds_read2_b32 v[94:95], v93 offset0:2 offset1:3
	s_addk_i32 s17, 0x5280
	s_add_i32 s16, s2, s16
	v_add3_u32 v103, s17, v88, v79
	v_dot4_i32_i8 v96, v96, v5, 0
	s_waitcnt lgkmcnt(0)
	v_ashrrev_i32_e32 v94, s3, v94
	v_and_b32_e32 v98, 0x3030303, v94
	v_ashrrev_i32_e32 v94, s3, v95
	v_and_b32_e32 v99, 0x3030303, v94
	ds_read2_b32 v[94:95], v93 offset0:4 offset1:5
	v_dot4_i32_i8 v96, v97, v6, v96
	v_dot4_i32_i8 v96, v98, v7, v96
	v_dot4_i32_i8 v96, v99, v8, v96
	v_add_u32_e32 v91, 4, v91
	s_waitcnt lgkmcnt(0)
	v_ashrrev_i32_e32 v94, s3, v94
	v_and_b32_e32 v100, 0x3030303, v94
	v_ashrrev_i32_e32 v94, s3, v95
	v_and_b32_e32 v101, 0x3030303, v94
	ds_read2_b32 v[94:95], v93 offset0:6 offset1:7
	v_dot4_i32_i8 v98, v100, v1, 0
	v_dot4_i32_i8 v98, v101, v2, v98
	v_add_u32_e32 v90, 32, v90
	s_waitcnt lgkmcnt(0)
	v_ashrrev_i32_e32 v94, s3, v94
	v_and_b32_e32 v102, 0x3030303, v94
	v_ashrrev_i32_e32 v94, s3, v95
	v_and_b32_e32 v95, 0x3030303, v94
	v_add_u32_e32 v94, s16, v71
	ds_read_b32 v103, v103
	ds_read_u16 v104, v94 offset:16896
	v_dot4_i32_i8 v98, v102, v3, v98
	v_dot4_i32_i8 v95, v95, v4, v98
	s_waitcnt lgkmcnt(0)
	v_bfe_u32 v94, v104, 4, 4
	v_mul_lo_u32 v94, v94, s23
	v_dot4_i32_i8 v105, v94, v5, 0
	v_dot4_i32_i8 v97, v94, v6, v105
	;; [unrolled: 1-line block ×4, first 2 shown]
	v_and_b32_e32 v94, 15, v104
	v_mul_lo_u32 v94, v94, v96
	v_lshrrev_b32_sdwa v96, v80, v104 dst_sel:DWORD dst_unused:UNUSED_PAD src0_sel:DWORD src1_sel:BYTE_1
	v_mul_lo_u32 v96, v96, s23
	v_dot4_i32_i8 v97, v96, v1, v97
	v_dot4_i32_i8 v97, v96, v2, v97
	;; [unrolled: 1-line block ×4, first 2 shown]
	v_and_b32_sdwa v97, v104, v81 dst_sel:DWORD dst_unused:UNUSED_PAD src0_sel:BYTE_1 src1_sel:DWORD
	v_mad_u64_u32 v[94:95], s[26:27], v97, v95, v[94:95]
	v_cvt_f32_f16_sdwa v95, v103 dst_sel:DWORD dst_unused:UNUSED_PAD src0_sel:WORD_1
	v_cvt_f32_i32_e32 v96, v96
	v_cvt_f32_i32_e32 v94, v94
	v_mul_f32_e32 v95, v95, v96
	v_fma_mix_f32 v94, v103, v94, -v95 op_sel_hi:[1,0,0]
	v_fmac_f32_e32 v13, v92, v94
	v_add_u32_e32 v94, 0x1080, v93
	ds_read2_b32 v[94:95], v94 offset1:1
	v_add3_u32 v103, s17, v82, v83
	s_waitcnt lgkmcnt(0)
	v_ashrrev_i32_e32 v94, s3, v94
	v_and_b32_e32 v96, 0x3030303, v94
	v_ashrrev_i32_e32 v94, s3, v95
	v_and_b32_e32 v97, 0x3030303, v94
	v_add_u32_e32 v94, 0x1088, v93
	ds_read2_b32 v[94:95], v94 offset1:1
	v_dot4_i32_i8 v96, v96, v5, 0
	v_dot4_i32_i8 v96, v97, v6, v96
	s_waitcnt lgkmcnt(0)
	v_ashrrev_i32_e32 v94, s3, v94
	v_and_b32_e32 v98, 0x3030303, v94
	v_ashrrev_i32_e32 v94, s3, v95
	v_and_b32_e32 v99, 0x3030303, v94
	v_add_u32_e32 v94, 0x1090, v93
	ds_read2_b32 v[94:95], v94 offset1:1
	v_dot4_i32_i8 v96, v98, v7, v96
	v_dot4_i32_i8 v96, v99, v8, v96
	;; [unrolled: 9-line block ×3, first 2 shown]
	s_waitcnt lgkmcnt(0)
	v_ashrrev_i32_e32 v94, s3, v94
	v_and_b32_e32 v102, 0x3030303, v94
	v_ashrrev_i32_e32 v94, s3, v95
	v_and_b32_e32 v95, 0x3030303, v94
	v_add_u32_e32 v94, s16, v73
	ds_read_b32 v103, v103
	ds_read_u16 v104, v94 offset:17920
	v_dot4_i32_i8 v98, v102, v3, v98
	v_dot4_i32_i8 v95, v95, v4, v98
	s_waitcnt lgkmcnt(0)
	v_bfe_u32 v94, v104, 4, 4
	v_mul_lo_u32 v94, v94, s23
	v_dot4_i32_i8 v105, v94, v5, 0
	v_dot4_i32_i8 v97, v94, v6, v105
	;; [unrolled: 1-line block ×4, first 2 shown]
	v_and_b32_e32 v94, 15, v104
	v_mul_lo_u32 v94, v94, v96
	v_lshrrev_b32_sdwa v96, v80, v104 dst_sel:DWORD dst_unused:UNUSED_PAD src0_sel:DWORD src1_sel:BYTE_1
	v_mul_lo_u32 v96, v96, s23
	v_dot4_i32_i8 v97, v96, v1, v97
	v_dot4_i32_i8 v97, v96, v2, v97
	v_dot4_i32_i8 v97, v96, v3, v97
	v_dot4_i32_i8 v96, v96, v4, v97
	v_and_b32_sdwa v97, v104, v81 dst_sel:DWORD dst_unused:UNUSED_PAD src0_sel:BYTE_1 src1_sel:DWORD
	v_mad_u64_u32 v[94:95], s[26:27], v97, v95, v[94:95]
	v_cvt_f32_f16_sdwa v95, v103 dst_sel:DWORD dst_unused:UNUSED_PAD src0_sel:WORD_1
	v_cvt_f32_i32_e32 v96, v96
	v_cvt_f32_i32_e32 v94, v94
	v_mul_f32_e32 v95, v95, v96
	v_fma_mix_f32 v94, v103, v94, -v95 op_sel_hi:[1,0,0]
	v_fmac_f32_e32 v63, v92, v94
	v_add_u32_e32 v94, 0x2100, v93
	ds_read2_b32 v[94:95], v94 offset1:1
	v_add3_u32 v103, s17, v84, v85
	s_waitcnt lgkmcnt(0)
	v_ashrrev_i32_e32 v94, s3, v94
	v_and_b32_e32 v96, 0x3030303, v94
	v_ashrrev_i32_e32 v94, s3, v95
	v_and_b32_e32 v97, 0x3030303, v94
	v_add_u32_e32 v94, 0x2108, v93
	ds_read2_b32 v[94:95], v94 offset1:1
	v_dot4_i32_i8 v96, v96, v5, 0
	v_dot4_i32_i8 v96, v97, v6, v96
	s_waitcnt lgkmcnt(0)
	v_ashrrev_i32_e32 v94, s3, v94
	v_and_b32_e32 v98, 0x3030303, v94
	v_ashrrev_i32_e32 v94, s3, v95
	v_and_b32_e32 v99, 0x3030303, v94
	v_add_u32_e32 v94, 0x2110, v93
	ds_read2_b32 v[94:95], v94 offset1:1
	v_dot4_i32_i8 v96, v98, v7, v96
	v_dot4_i32_i8 v96, v99, v8, v96
	;; [unrolled: 9-line block ×3, first 2 shown]
	v_add_u32_e32 v101, s16, v70
	s_waitcnt lgkmcnt(0)
	v_ashrrev_i32_e32 v94, s3, v94
	v_and_b32_e32 v102, 0x3030303, v94
	v_ashrrev_i32_e32 v94, s3, v95
	v_and_b32_e32 v95, 0x3030303, v94
	v_add_u32_e32 v94, s16, v74
	ds_read_b32 v103, v103
	ds_read_u16 v104, v94 offset:18944
	v_dot4_i32_i8 v98, v102, v3, v98
	v_dot4_i32_i8 v95, v95, v4, v98
	v_add3_u32 v102, s17, v86, v87
	s_waitcnt lgkmcnt(0)
	v_bfe_u32 v94, v104, 4, 4
	v_mul_lo_u32 v94, v94, s23
	v_dot4_i32_i8 v105, v94, v5, 0
	v_dot4_i32_i8 v97, v94, v6, v105
	;; [unrolled: 1-line block ×4, first 2 shown]
	v_and_b32_e32 v94, 15, v104
	v_mul_lo_u32 v94, v94, v96
	v_lshrrev_b32_sdwa v96, v80, v104 dst_sel:DWORD dst_unused:UNUSED_PAD src0_sel:DWORD src1_sel:BYTE_1
	v_mul_lo_u32 v96, v96, s23
	v_dot4_i32_i8 v97, v96, v1, v97
	v_dot4_i32_i8 v97, v96, v2, v97
	;; [unrolled: 1-line block ×4, first 2 shown]
	v_and_b32_sdwa v97, v104, v81 dst_sel:DWORD dst_unused:UNUSED_PAD src0_sel:BYTE_1 src1_sel:DWORD
	v_mad_u64_u32 v[94:95], s[26:27], v97, v95, v[94:95]
	v_cvt_f32_f16_sdwa v95, v103 dst_sel:DWORD dst_unused:UNUSED_PAD src0_sel:WORD_1
	v_cvt_f32_i32_e32 v96, v96
	v_cvt_f32_i32_e32 v94, v94
	v_mul_f32_e32 v95, v95, v96
	v_fma_mix_f32 v94, v103, v94, -v95 op_sel_hi:[1,0,0]
	v_fmac_f32_e32 v60, v92, v94
	v_add_u32_e32 v94, 0x3180, v93
	ds_read2_b32 v[94:95], v94 offset1:1
	s_waitcnt lgkmcnt(0)
	v_ashrrev_i32_e32 v94, s3, v94
	v_and_b32_e32 v96, 0x3030303, v94
	v_ashrrev_i32_e32 v94, s3, v95
	v_and_b32_e32 v97, 0x3030303, v94
	v_add_u32_e32 v94, 0x3188, v93
	ds_read2_b32 v[94:95], v94 offset1:1
	v_dot4_i32_i8 v96, v96, v5, 0
	v_dot4_i32_i8 v96, v97, v6, v96
	s_waitcnt lgkmcnt(0)
	v_ashrrev_i32_e32 v94, s3, v94
	v_and_b32_e32 v98, 0x3030303, v94
	v_ashrrev_i32_e32 v94, s3, v95
	v_and_b32_e32 v99, 0x3030303, v94
	v_add_u32_e32 v94, 0x3190, v93
	ds_read2_b32 v[94:95], v94 offset1:1
	v_add_u32_e32 v93, 0x3198, v93
	s_waitcnt lgkmcnt(0)
	v_ashrrev_i32_e32 v94, s3, v94
	v_and_b32_e32 v100, 0x3030303, v94
	v_ashrrev_i32_e32 v94, s3, v95
	v_and_b32_e32 v95, 0x3030303, v94
	ds_read2_b32 v[93:94], v93 offset1:1
	ds_read_b32 v102, v102
	ds_read_u16 v101, v101 offset:19968
	s_waitcnt lgkmcnt(2)
	v_ashrrev_i32_e32 v93, s3, v93
	s_waitcnt lgkmcnt(0)
	v_bfe_u32 v103, v101, 4, 4
	v_mul_lo_u32 v103, v103, s23
	v_and_b32_e32 v93, 0x3030303, v93
	v_ashrrev_i32_e32 v94, s3, v94
	v_and_b32_e32 v94, 0x3030303, v94
	v_dot4_i32_i8 v5, v103, v5, 0
	v_dot4_i32_i8 v5, v103, v6, v5
	;; [unrolled: 1-line block ×6, first 2 shown]
	v_and_b32_e32 v5, 15, v101
	v_mul_lo_u32 v5, v5, v6
	v_lshrrev_b32_sdwa v6, v80, v101 dst_sel:DWORD dst_unused:UNUSED_PAD src0_sel:DWORD src1_sel:BYTE_1
	v_mul_lo_u32 v6, v6, s23
	v_dot4_i32_i8 v8, v100, v1, 0
	s_add_i32 s3, s2, 2
	s_cmp_lt_u32 s2, 14
	v_dot4_i32_i8 v1, v6, v1, v7
	v_dot4_i32_i8 v7, v95, v2, v8
	;; [unrolled: 1-line block ×7, first 2 shown]
	v_and_b32_sdwa v1, v101, v81 dst_sel:DWORD dst_unused:UNUSED_PAD src0_sel:BYTE_1 src1_sel:DWORD
	v_mad_u64_u32 v[1:2], s[16:17], v1, v2, v[5:6]
	v_cvt_f32_f16_sdwa v2, v102 dst_sel:DWORD dst_unused:UNUSED_PAD src0_sel:WORD_1
	v_cvt_f32_i32_e32 v3, v3
	v_cvt_f32_i32_e32 v1, v1
	s_mov_b32 s2, s3
	v_mul_f32_e32 v2, v2, v3
	v_fma_mix_f32 v1, v102, v1, -v2 op_sel_hi:[1,0,0]
	v_fmac_f32_e32 v9, v92, v1
	s_cbranch_scc1 .LBB227_19
; %bb.20:                               ;   in Loop: Header=BB227_5 Depth=1
	s_or_b32 s2, s24, 0x100
	s_cmp_ge_i32 s2, s15
	s_barrier
	s_cbranch_scc1 .LBB227_4
; %bb.21:                               ;   in Loop: Header=BB227_5 Depth=1
	v_add_u32_e32 v1, s25, v65
	v_cmp_gt_i32_e64 s[2:3], s9, v1
	s_and_b64 s[16:17], s[0:1], s[2:3]
	s_and_saveexec_b64 s[2:3], s[16:17]
	s_cbranch_execz .LBB227_23
; %bb.22:                               ;   in Loop: Header=BB227_5 Depth=1
	v_add_u32_e32 v1, v67, v1
	v_mad_i64_i32 v[1:2], s[16:17], v1, 36, v[10:11]
	global_load_dword v1, v[1:2], off offset:4
	s_waitcnt vmcnt(0)
	ds_write_b32 v59, v1
.LBB227_23:                             ;   in Loop: Header=BB227_5 Depth=1
	s_or_b64 exec, exec, s[2:3]
	s_and_saveexec_b64 s[16:17], vcc
	s_cbranch_execz .LBB227_26
; %bb.24:                               ;   in Loop: Header=BB227_5 Depth=1
	v_or_b32_e32 v1, 8, v89
	v_cmp_gt_i32_e64 s[2:3], s9, v1
	s_and_b64 s[2:3], s[0:1], s[2:3]
	s_and_b64 exec, exec, s[2:3]
	s_cbranch_execz .LBB227_26
; %bb.25:                               ;   in Loop: Header=BB227_5 Depth=1
	v_ashrrev_i32_e32 v1, 31, v89
	v_add_co_u32_e64 v2, s[2:3], v67, v89
	v_addc_co_u32_e64 v3, s[2:3], v69, v1, s[2:3]
	v_mad_u64_u32 v[1:2], s[2:3], v2, 36, s[6:7]
	v_mad_i32_i24 v2, v3, 36, v2
	global_load_dword v1, v[1:2], off offset:288
	s_waitcnt vmcnt(0)
	v_cvt_f32_f16_e32 v1, v1
	ds_write_b32 v62, v1
.LBB227_26:                             ;   in Loop: Header=BB227_5 Depth=1
	s_or_b64 exec, exec, s[16:17]
	s_mov_b32 s2, 16
	v_mov_b32_e32 v90, v58
	v_mov_b32_e32 v91, v61
	s_waitcnt lgkmcnt(0)
	s_barrier
.LBB227_27:                             ;   Parent Loop BB227_5 Depth=1
                                        ; =>  This Inner Loop Header: Depth=2
	s_and_b32 s17, s2, 0x3ffffff8
	v_lshl_add_u32 v93, s17, 2, v68
	ds_read_b32 v92, v91
	ds_read_b128 v[5:8], v90
	ds_read_b128 v[1:4], v90 offset:16
	ds_read2_b32 v[94:95], v93 offset1:1
	s_add_i32 s3, s2, -16
	s_lshr_b32 s17, s2, 2
	s_and_b32 s17, s17, 0x3ffffffc
	s_and_b32 s16, s2, -16
	s_waitcnt lgkmcnt(0)
	v_ashrrev_i32_e32 v94, s3, v94
	v_and_b32_e32 v96, 0x3030303, v94
	v_ashrrev_i32_e32 v94, s3, v95
	v_and_b32_e32 v97, 0x3030303, v94
	ds_read2_b32 v[94:95], v93 offset0:2 offset1:3
	s_addk_i32 s17, 0x5280
	s_add_i32 s16, s2, s16
	v_add3_u32 v103, s17, v88, v79
	v_dot4_i32_i8 v96, v96, v5, 0
	s_waitcnt lgkmcnt(0)
	v_ashrrev_i32_e32 v94, s3, v94
	v_and_b32_e32 v98, 0x3030303, v94
	v_ashrrev_i32_e32 v94, s3, v95
	v_and_b32_e32 v99, 0x3030303, v94
	ds_read2_b32 v[94:95], v93 offset0:4 offset1:5
	v_dot4_i32_i8 v96, v97, v6, v96
	v_dot4_i32_i8 v96, v98, v7, v96
	;; [unrolled: 1-line block ×3, first 2 shown]
	v_add_u32_e32 v91, 4, v91
	s_waitcnt lgkmcnt(0)
	v_ashrrev_i32_e32 v94, s3, v94
	v_and_b32_e32 v100, 0x3030303, v94
	v_ashrrev_i32_e32 v94, s3, v95
	v_and_b32_e32 v101, 0x3030303, v94
	ds_read2_b32 v[94:95], v93 offset0:6 offset1:7
	v_dot4_i32_i8 v98, v100, v1, 0
	v_dot4_i32_i8 v98, v101, v2, v98
	v_add_u32_e32 v90, 32, v90
	s_waitcnt lgkmcnt(0)
	v_ashrrev_i32_e32 v94, s3, v94
	v_and_b32_e32 v102, 0x3030303, v94
	v_ashrrev_i32_e32 v94, s3, v95
	v_and_b32_e32 v95, 0x3030303, v94
	v_add_u32_e32 v94, s16, v71
	ds_read_b32 v103, v103
	ds_read_u16 v104, v94 offset:16880
	v_dot4_i32_i8 v98, v102, v3, v98
	v_dot4_i32_i8 v95, v95, v4, v98
	s_waitcnt lgkmcnt(0)
	v_bfe_u32 v94, v104, 4, 4
	v_mul_lo_u32 v94, v94, s23
	v_dot4_i32_i8 v105, v94, v5, 0
	v_dot4_i32_i8 v97, v94, v6, v105
	;; [unrolled: 1-line block ×4, first 2 shown]
	v_and_b32_e32 v94, 15, v104
	v_mul_lo_u32 v94, v94, v96
	v_lshrrev_b32_sdwa v96, v80, v104 dst_sel:DWORD dst_unused:UNUSED_PAD src0_sel:DWORD src1_sel:BYTE_1
	v_mul_lo_u32 v96, v96, s23
	v_dot4_i32_i8 v97, v96, v1, v97
	v_dot4_i32_i8 v97, v96, v2, v97
	;; [unrolled: 1-line block ×4, first 2 shown]
	v_and_b32_sdwa v97, v104, v81 dst_sel:DWORD dst_unused:UNUSED_PAD src0_sel:BYTE_1 src1_sel:DWORD
	v_mad_u64_u32 v[94:95], s[26:27], v97, v95, v[94:95]
	v_cvt_f32_f16_sdwa v95, v103 dst_sel:DWORD dst_unused:UNUSED_PAD src0_sel:WORD_1
	v_cvt_f32_i32_e32 v96, v96
	v_cvt_f32_i32_e32 v94, v94
	v_mul_f32_e32 v95, v95, v96
	v_fma_mix_f32 v94, v103, v94, -v95 op_sel_hi:[1,0,0]
	v_fmac_f32_e32 v13, v92, v94
	v_add_u32_e32 v94, 0x1080, v93
	ds_read2_b32 v[94:95], v94 offset1:1
	v_add3_u32 v103, s17, v82, v83
	s_waitcnt lgkmcnt(0)
	v_ashrrev_i32_e32 v94, s3, v94
	v_and_b32_e32 v96, 0x3030303, v94
	v_ashrrev_i32_e32 v94, s3, v95
	v_and_b32_e32 v97, 0x3030303, v94
	v_add_u32_e32 v94, 0x1088, v93
	ds_read2_b32 v[94:95], v94 offset1:1
	v_dot4_i32_i8 v96, v96, v5, 0
	v_dot4_i32_i8 v96, v97, v6, v96
	s_waitcnt lgkmcnt(0)
	v_ashrrev_i32_e32 v94, s3, v94
	v_and_b32_e32 v98, 0x3030303, v94
	v_ashrrev_i32_e32 v94, s3, v95
	v_and_b32_e32 v99, 0x3030303, v94
	v_add_u32_e32 v94, 0x1090, v93
	ds_read2_b32 v[94:95], v94 offset1:1
	v_dot4_i32_i8 v96, v98, v7, v96
	v_dot4_i32_i8 v96, v99, v8, v96
	;; [unrolled: 9-line block ×3, first 2 shown]
	s_waitcnt lgkmcnt(0)
	v_ashrrev_i32_e32 v94, s3, v94
	v_and_b32_e32 v102, 0x3030303, v94
	v_ashrrev_i32_e32 v94, s3, v95
	v_and_b32_e32 v95, 0x3030303, v94
	v_add_u32_e32 v94, s16, v73
	ds_read_b32 v103, v103
	ds_read_u16 v104, v94 offset:17904
	v_dot4_i32_i8 v98, v102, v3, v98
	v_dot4_i32_i8 v95, v95, v4, v98
	s_waitcnt lgkmcnt(0)
	v_bfe_u32 v94, v104, 4, 4
	v_mul_lo_u32 v94, v94, s23
	v_dot4_i32_i8 v105, v94, v5, 0
	v_dot4_i32_i8 v97, v94, v6, v105
	v_dot4_i32_i8 v97, v94, v7, v97
	v_dot4_i32_i8 v97, v94, v8, v97
	v_and_b32_e32 v94, 15, v104
	v_mul_lo_u32 v94, v94, v96
	v_lshrrev_b32_sdwa v96, v80, v104 dst_sel:DWORD dst_unused:UNUSED_PAD src0_sel:DWORD src1_sel:BYTE_1
	v_mul_lo_u32 v96, v96, s23
	v_dot4_i32_i8 v97, v96, v1, v97
	v_dot4_i32_i8 v97, v96, v2, v97
	;; [unrolled: 1-line block ×4, first 2 shown]
	v_and_b32_sdwa v97, v104, v81 dst_sel:DWORD dst_unused:UNUSED_PAD src0_sel:BYTE_1 src1_sel:DWORD
	v_mad_u64_u32 v[94:95], s[26:27], v97, v95, v[94:95]
	v_cvt_f32_f16_sdwa v95, v103 dst_sel:DWORD dst_unused:UNUSED_PAD src0_sel:WORD_1
	v_cvt_f32_i32_e32 v96, v96
	v_cvt_f32_i32_e32 v94, v94
	v_mul_f32_e32 v95, v95, v96
	v_fma_mix_f32 v94, v103, v94, -v95 op_sel_hi:[1,0,0]
	v_fmac_f32_e32 v63, v92, v94
	v_add_u32_e32 v94, 0x2100, v93
	ds_read2_b32 v[94:95], v94 offset1:1
	v_add3_u32 v103, s17, v84, v85
	s_waitcnt lgkmcnt(0)
	v_ashrrev_i32_e32 v94, s3, v94
	v_and_b32_e32 v96, 0x3030303, v94
	v_ashrrev_i32_e32 v94, s3, v95
	v_and_b32_e32 v97, 0x3030303, v94
	v_add_u32_e32 v94, 0x2108, v93
	ds_read2_b32 v[94:95], v94 offset1:1
	v_dot4_i32_i8 v96, v96, v5, 0
	v_dot4_i32_i8 v96, v97, v6, v96
	s_waitcnt lgkmcnt(0)
	v_ashrrev_i32_e32 v94, s3, v94
	v_and_b32_e32 v98, 0x3030303, v94
	v_ashrrev_i32_e32 v94, s3, v95
	v_and_b32_e32 v99, 0x3030303, v94
	v_add_u32_e32 v94, 0x2110, v93
	ds_read2_b32 v[94:95], v94 offset1:1
	v_dot4_i32_i8 v96, v98, v7, v96
	v_dot4_i32_i8 v96, v99, v8, v96
	;; [unrolled: 9-line block ×3, first 2 shown]
	v_add_u32_e32 v101, s16, v70
	s_waitcnt lgkmcnt(0)
	v_ashrrev_i32_e32 v94, s3, v94
	v_and_b32_e32 v102, 0x3030303, v94
	v_ashrrev_i32_e32 v94, s3, v95
	v_and_b32_e32 v95, 0x3030303, v94
	v_add_u32_e32 v94, s16, v74
	ds_read_b32 v103, v103
	ds_read_u16 v104, v94 offset:18928
	v_dot4_i32_i8 v98, v102, v3, v98
	v_dot4_i32_i8 v95, v95, v4, v98
	v_add3_u32 v102, s17, v86, v87
	s_waitcnt lgkmcnt(0)
	v_bfe_u32 v94, v104, 4, 4
	v_mul_lo_u32 v94, v94, s23
	v_dot4_i32_i8 v105, v94, v5, 0
	v_dot4_i32_i8 v97, v94, v6, v105
	;; [unrolled: 1-line block ×4, first 2 shown]
	v_and_b32_e32 v94, 15, v104
	v_mul_lo_u32 v94, v94, v96
	v_lshrrev_b32_sdwa v96, v80, v104 dst_sel:DWORD dst_unused:UNUSED_PAD src0_sel:DWORD src1_sel:BYTE_1
	v_mul_lo_u32 v96, v96, s23
	v_dot4_i32_i8 v97, v96, v1, v97
	v_dot4_i32_i8 v97, v96, v2, v97
	;; [unrolled: 1-line block ×4, first 2 shown]
	v_and_b32_sdwa v97, v104, v81 dst_sel:DWORD dst_unused:UNUSED_PAD src0_sel:BYTE_1 src1_sel:DWORD
	v_mad_u64_u32 v[94:95], s[26:27], v97, v95, v[94:95]
	v_cvt_f32_f16_sdwa v95, v103 dst_sel:DWORD dst_unused:UNUSED_PAD src0_sel:WORD_1
	v_cvt_f32_i32_e32 v96, v96
	v_cvt_f32_i32_e32 v94, v94
	v_mul_f32_e32 v95, v95, v96
	v_fma_mix_f32 v94, v103, v94, -v95 op_sel_hi:[1,0,0]
	v_fmac_f32_e32 v60, v92, v94
	v_add_u32_e32 v94, 0x3180, v93
	ds_read2_b32 v[94:95], v94 offset1:1
	s_waitcnt lgkmcnt(0)
	v_ashrrev_i32_e32 v94, s3, v94
	v_and_b32_e32 v96, 0x3030303, v94
	v_ashrrev_i32_e32 v94, s3, v95
	v_and_b32_e32 v97, 0x3030303, v94
	v_add_u32_e32 v94, 0x3188, v93
	ds_read2_b32 v[94:95], v94 offset1:1
	v_dot4_i32_i8 v96, v96, v5, 0
	v_dot4_i32_i8 v96, v97, v6, v96
	s_waitcnt lgkmcnt(0)
	v_ashrrev_i32_e32 v94, s3, v94
	v_and_b32_e32 v98, 0x3030303, v94
	v_ashrrev_i32_e32 v94, s3, v95
	v_and_b32_e32 v99, 0x3030303, v94
	v_add_u32_e32 v94, 0x3190, v93
	ds_read2_b32 v[94:95], v94 offset1:1
	v_add_u32_e32 v93, 0x3198, v93
	s_waitcnt lgkmcnt(0)
	v_ashrrev_i32_e32 v94, s3, v94
	v_and_b32_e32 v100, 0x3030303, v94
	v_ashrrev_i32_e32 v94, s3, v95
	v_and_b32_e32 v95, 0x3030303, v94
	ds_read2_b32 v[93:94], v93 offset1:1
	ds_read_b32 v102, v102
	ds_read_u16 v101, v101 offset:19952
	s_waitcnt lgkmcnt(2)
	v_ashrrev_i32_e32 v93, s3, v93
	s_waitcnt lgkmcnt(0)
	v_bfe_u32 v103, v101, 4, 4
	v_mul_lo_u32 v103, v103, s23
	v_and_b32_e32 v93, 0x3030303, v93
	v_ashrrev_i32_e32 v94, s3, v94
	v_and_b32_e32 v94, 0x3030303, v94
	v_dot4_i32_i8 v5, v103, v5, 0
	v_dot4_i32_i8 v5, v103, v6, v5
	;; [unrolled: 1-line block ×6, first 2 shown]
	v_and_b32_e32 v5, 15, v101
	v_mul_lo_u32 v5, v5, v6
	v_lshrrev_b32_sdwa v6, v80, v101 dst_sel:DWORD dst_unused:UNUSED_PAD src0_sel:DWORD src1_sel:BYTE_1
	v_mul_lo_u32 v6, v6, s23
	v_dot4_i32_i8 v8, v100, v1, 0
	s_add_i32 s3, s2, 2
	s_cmp_lt_u32 s2, 22
	v_dot4_i32_i8 v1, v6, v1, v7
	v_dot4_i32_i8 v7, v95, v2, v8
	;; [unrolled: 1-line block ×7, first 2 shown]
	v_and_b32_sdwa v1, v101, v81 dst_sel:DWORD dst_unused:UNUSED_PAD src0_sel:BYTE_1 src1_sel:DWORD
	v_mad_u64_u32 v[1:2], s[16:17], v1, v2, v[5:6]
	v_cvt_f32_f16_sdwa v2, v102 dst_sel:DWORD dst_unused:UNUSED_PAD src0_sel:WORD_1
	v_cvt_f32_i32_e32 v3, v3
	v_cvt_f32_i32_e32 v1, v1
	s_mov_b32 s2, s3
	v_mul_f32_e32 v2, v2, v3
	v_fma_mix_f32 v1, v102, v1, -v2 op_sel_hi:[1,0,0]
	v_fmac_f32_e32 v9, v92, v1
	s_cbranch_scc1 .LBB227_27
; %bb.28:                               ;   in Loop: Header=BB227_5 Depth=1
	s_or_b32 s2, s24, 0x180
	s_cmp_ge_i32 s2, s15
	s_barrier
	s_cbranch_scc1 .LBB227_4
; %bb.29:                               ;   in Loop: Header=BB227_5 Depth=1
	v_add_u32_e32 v1, s25, v66
	v_cmp_gt_i32_e64 s[2:3], s9, v1
	s_and_b64 s[16:17], s[0:1], s[2:3]
	s_and_saveexec_b64 s[2:3], s[16:17]
	s_cbranch_execz .LBB227_31
; %bb.30:                               ;   in Loop: Header=BB227_5 Depth=1
	v_add_u32_e32 v1, v67, v1
	v_mad_i64_i32 v[1:2], s[16:17], v1, 36, v[10:11]
	global_load_dword v1, v[1:2], off offset:4
	s_waitcnt vmcnt(0)
	ds_write_b32 v59, v1
.LBB227_31:                             ;   in Loop: Header=BB227_5 Depth=1
	s_or_b64 exec, exec, s[2:3]
	s_and_saveexec_b64 s[16:17], vcc
	s_cbranch_execz .LBB227_34
; %bb.32:                               ;   in Loop: Header=BB227_5 Depth=1
	v_or_b32_e32 v1, 12, v89
	v_cmp_gt_i32_e64 s[2:3], s9, v1
	s_and_b64 s[2:3], s[0:1], s[2:3]
	s_and_b64 exec, exec, s[2:3]
	s_cbranch_execz .LBB227_34
; %bb.33:                               ;   in Loop: Header=BB227_5 Depth=1
	v_ashrrev_i32_e32 v1, 31, v89
	v_add_co_u32_e64 v2, s[2:3], v67, v89
	v_addc_co_u32_e64 v3, s[2:3], v69, v1, s[2:3]
	v_mad_u64_u32 v[1:2], s[2:3], v2, 36, s[6:7]
	v_mad_i32_i24 v2, v3, 36, v2
	global_load_dword v1, v[1:2], off offset:432
	s_waitcnt vmcnt(0)
	v_cvt_f32_f16_e32 v1, v1
	ds_write_b32 v62, v1
.LBB227_34:                             ;   in Loop: Header=BB227_5 Depth=1
	s_or_b64 exec, exec, s[16:17]
	s_mov_b32 s2, 24
	v_mov_b32_e32 v89, v58
	v_mov_b32_e32 v90, v61
	s_waitcnt lgkmcnt(0)
	s_barrier
.LBB227_35:                             ;   Parent Loop BB227_5 Depth=1
                                        ; =>  This Inner Loop Header: Depth=2
	s_and_b32 s17, s2, 0x3ffffff8
	v_lshl_add_u32 v92, s17, 2, v68
	ds_read_b32 v91, v90
	ds_read_b128 v[5:8], v89
	ds_read_b128 v[1:4], v89 offset:16
	ds_read2_b32 v[93:94], v92 offset1:1
	s_sub_i32 s3, s2, 24
	s_lshr_b32 s17, s2, 2
	s_and_b32 s17, s17, 0x3ffffffc
	s_and_b32 s16, s2, -16
	s_waitcnt lgkmcnt(0)
	v_ashrrev_i32_e32 v93, s3, v93
	v_and_b32_e32 v95, 0x3030303, v93
	v_ashrrev_i32_e32 v93, s3, v94
	v_and_b32_e32 v96, 0x3030303, v93
	ds_read2_b32 v[93:94], v92 offset0:2 offset1:3
	s_addk_i32 s17, 0x5280
	s_add_i32 s16, s2, s16
	v_add3_u32 v102, s17, v88, v79
	v_dot4_i32_i8 v95, v95, v5, 0
	s_waitcnt lgkmcnt(0)
	v_ashrrev_i32_e32 v93, s3, v93
	v_and_b32_e32 v97, 0x3030303, v93
	v_ashrrev_i32_e32 v93, s3, v94
	v_and_b32_e32 v98, 0x3030303, v93
	ds_read2_b32 v[93:94], v92 offset0:4 offset1:5
	v_dot4_i32_i8 v95, v96, v6, v95
	v_dot4_i32_i8 v95, v97, v7, v95
	;; [unrolled: 1-line block ×3, first 2 shown]
	v_add_u32_e32 v90, 4, v90
	s_waitcnt lgkmcnt(0)
	v_ashrrev_i32_e32 v93, s3, v93
	v_and_b32_e32 v99, 0x3030303, v93
	v_ashrrev_i32_e32 v93, s3, v94
	v_and_b32_e32 v100, 0x3030303, v93
	ds_read2_b32 v[93:94], v92 offset0:6 offset1:7
	v_dot4_i32_i8 v97, v99, v1, 0
	v_dot4_i32_i8 v97, v100, v2, v97
	v_add_u32_e32 v89, 32, v89
	s_waitcnt lgkmcnt(0)
	v_ashrrev_i32_e32 v93, s3, v93
	v_and_b32_e32 v101, 0x3030303, v93
	v_ashrrev_i32_e32 v93, s3, v94
	v_and_b32_e32 v94, 0x3030303, v93
	v_add_u32_e32 v93, s16, v71
	ds_read_b32 v102, v102
	ds_read_u16 v103, v93 offset:16880
	v_dot4_i32_i8 v97, v101, v3, v97
	v_dot4_i32_i8 v94, v94, v4, v97
	s_waitcnt lgkmcnt(0)
	v_bfe_u32 v93, v103, 4, 4
	v_mul_lo_u32 v93, v93, s23
	v_dot4_i32_i8 v104, v93, v5, 0
	v_dot4_i32_i8 v96, v93, v6, v104
	;; [unrolled: 1-line block ×4, first 2 shown]
	v_and_b32_e32 v93, 15, v103
	v_mul_lo_u32 v93, v93, v95
	v_lshrrev_b32_sdwa v95, v80, v103 dst_sel:DWORD dst_unused:UNUSED_PAD src0_sel:DWORD src1_sel:BYTE_1
	v_mul_lo_u32 v95, v95, s23
	v_dot4_i32_i8 v96, v95, v1, v96
	v_dot4_i32_i8 v96, v95, v2, v96
	;; [unrolled: 1-line block ×4, first 2 shown]
	v_and_b32_sdwa v96, v103, v81 dst_sel:DWORD dst_unused:UNUSED_PAD src0_sel:BYTE_1 src1_sel:DWORD
	v_mad_u64_u32 v[93:94], s[24:25], v96, v94, v[93:94]
	v_cvt_f32_f16_sdwa v94, v102 dst_sel:DWORD dst_unused:UNUSED_PAD src0_sel:WORD_1
	v_cvt_f32_i32_e32 v95, v95
	v_cvt_f32_i32_e32 v93, v93
	v_mul_f32_e32 v94, v94, v95
	v_fma_mix_f32 v93, v102, v93, -v94 op_sel_hi:[1,0,0]
	v_fmac_f32_e32 v13, v91, v93
	v_add_u32_e32 v93, 0x1080, v92
	ds_read2_b32 v[93:94], v93 offset1:1
	v_add3_u32 v102, s17, v82, v83
	s_waitcnt lgkmcnt(0)
	v_ashrrev_i32_e32 v93, s3, v93
	v_and_b32_e32 v95, 0x3030303, v93
	v_ashrrev_i32_e32 v93, s3, v94
	v_and_b32_e32 v96, 0x3030303, v93
	v_add_u32_e32 v93, 0x1088, v92
	ds_read2_b32 v[93:94], v93 offset1:1
	v_dot4_i32_i8 v95, v95, v5, 0
	v_dot4_i32_i8 v95, v96, v6, v95
	s_waitcnt lgkmcnt(0)
	v_ashrrev_i32_e32 v93, s3, v93
	v_and_b32_e32 v97, 0x3030303, v93
	v_ashrrev_i32_e32 v93, s3, v94
	v_and_b32_e32 v98, 0x3030303, v93
	v_add_u32_e32 v93, 0x1090, v92
	ds_read2_b32 v[93:94], v93 offset1:1
	v_dot4_i32_i8 v95, v97, v7, v95
	v_dot4_i32_i8 v95, v98, v8, v95
	;; [unrolled: 9-line block ×3, first 2 shown]
	s_waitcnt lgkmcnt(0)
	v_ashrrev_i32_e32 v93, s3, v93
	v_and_b32_e32 v101, 0x3030303, v93
	v_ashrrev_i32_e32 v93, s3, v94
	v_and_b32_e32 v94, 0x3030303, v93
	v_add_u32_e32 v93, s16, v73
	ds_read_b32 v102, v102
	ds_read_u16 v103, v93 offset:17904
	v_dot4_i32_i8 v97, v101, v3, v97
	v_dot4_i32_i8 v94, v94, v4, v97
	s_waitcnt lgkmcnt(0)
	v_bfe_u32 v93, v103, 4, 4
	v_mul_lo_u32 v93, v93, s23
	v_dot4_i32_i8 v104, v93, v5, 0
	v_dot4_i32_i8 v96, v93, v6, v104
	;; [unrolled: 1-line block ×4, first 2 shown]
	v_and_b32_e32 v93, 15, v103
	v_mul_lo_u32 v93, v93, v95
	v_lshrrev_b32_sdwa v95, v80, v103 dst_sel:DWORD dst_unused:UNUSED_PAD src0_sel:DWORD src1_sel:BYTE_1
	v_mul_lo_u32 v95, v95, s23
	v_dot4_i32_i8 v96, v95, v1, v96
	v_dot4_i32_i8 v96, v95, v2, v96
	;; [unrolled: 1-line block ×4, first 2 shown]
	v_and_b32_sdwa v96, v103, v81 dst_sel:DWORD dst_unused:UNUSED_PAD src0_sel:BYTE_1 src1_sel:DWORD
	v_mad_u64_u32 v[93:94], s[24:25], v96, v94, v[93:94]
	v_cvt_f32_f16_sdwa v94, v102 dst_sel:DWORD dst_unused:UNUSED_PAD src0_sel:WORD_1
	v_cvt_f32_i32_e32 v95, v95
	v_cvt_f32_i32_e32 v93, v93
	v_mul_f32_e32 v94, v94, v95
	v_fma_mix_f32 v93, v102, v93, -v94 op_sel_hi:[1,0,0]
	v_fmac_f32_e32 v63, v91, v93
	v_add_u32_e32 v93, 0x2100, v92
	ds_read2_b32 v[93:94], v93 offset1:1
	v_add3_u32 v102, s17, v84, v85
	s_waitcnt lgkmcnt(0)
	v_ashrrev_i32_e32 v93, s3, v93
	v_and_b32_e32 v95, 0x3030303, v93
	v_ashrrev_i32_e32 v93, s3, v94
	v_and_b32_e32 v96, 0x3030303, v93
	v_add_u32_e32 v93, 0x2108, v92
	ds_read2_b32 v[93:94], v93 offset1:1
	v_dot4_i32_i8 v95, v95, v5, 0
	v_dot4_i32_i8 v95, v96, v6, v95
	s_waitcnt lgkmcnt(0)
	v_ashrrev_i32_e32 v93, s3, v93
	v_and_b32_e32 v97, 0x3030303, v93
	v_ashrrev_i32_e32 v93, s3, v94
	v_and_b32_e32 v98, 0x3030303, v93
	v_add_u32_e32 v93, 0x2110, v92
	ds_read2_b32 v[93:94], v93 offset1:1
	v_dot4_i32_i8 v95, v97, v7, v95
	v_dot4_i32_i8 v95, v98, v8, v95
	;; [unrolled: 9-line block ×3, first 2 shown]
	v_add_u32_e32 v100, s16, v70
	s_waitcnt lgkmcnt(0)
	v_ashrrev_i32_e32 v93, s3, v93
	v_and_b32_e32 v101, 0x3030303, v93
	v_ashrrev_i32_e32 v93, s3, v94
	v_and_b32_e32 v94, 0x3030303, v93
	v_add_u32_e32 v93, s16, v74
	ds_read_b32 v102, v102
	ds_read_u16 v103, v93 offset:18928
	v_dot4_i32_i8 v97, v101, v3, v97
	v_dot4_i32_i8 v94, v94, v4, v97
	v_add3_u32 v101, s17, v86, v87
	s_waitcnt lgkmcnt(0)
	v_bfe_u32 v93, v103, 4, 4
	v_mul_lo_u32 v93, v93, s23
	v_dot4_i32_i8 v104, v93, v5, 0
	v_dot4_i32_i8 v96, v93, v6, v104
	;; [unrolled: 1-line block ×4, first 2 shown]
	v_and_b32_e32 v93, 15, v103
	v_mul_lo_u32 v93, v93, v95
	v_lshrrev_b32_sdwa v95, v80, v103 dst_sel:DWORD dst_unused:UNUSED_PAD src0_sel:DWORD src1_sel:BYTE_1
	v_mul_lo_u32 v95, v95, s23
	v_dot4_i32_i8 v96, v95, v1, v96
	v_dot4_i32_i8 v96, v95, v2, v96
	;; [unrolled: 1-line block ×4, first 2 shown]
	v_and_b32_sdwa v96, v103, v81 dst_sel:DWORD dst_unused:UNUSED_PAD src0_sel:BYTE_1 src1_sel:DWORD
	v_mad_u64_u32 v[93:94], s[24:25], v96, v94, v[93:94]
	v_cvt_f32_f16_sdwa v94, v102 dst_sel:DWORD dst_unused:UNUSED_PAD src0_sel:WORD_1
	v_cvt_f32_i32_e32 v95, v95
	v_cvt_f32_i32_e32 v93, v93
	v_mul_f32_e32 v94, v94, v95
	v_fma_mix_f32 v93, v102, v93, -v94 op_sel_hi:[1,0,0]
	v_fmac_f32_e32 v60, v91, v93
	v_add_u32_e32 v93, 0x3180, v92
	ds_read2_b32 v[93:94], v93 offset1:1
	s_waitcnt lgkmcnt(0)
	v_ashrrev_i32_e32 v93, s3, v93
	v_and_b32_e32 v95, 0x3030303, v93
	v_ashrrev_i32_e32 v93, s3, v94
	v_and_b32_e32 v96, 0x3030303, v93
	v_add_u32_e32 v93, 0x3188, v92
	ds_read2_b32 v[93:94], v93 offset1:1
	v_dot4_i32_i8 v95, v95, v5, 0
	v_dot4_i32_i8 v95, v96, v6, v95
	s_waitcnt lgkmcnt(0)
	v_ashrrev_i32_e32 v93, s3, v93
	v_and_b32_e32 v97, 0x3030303, v93
	v_ashrrev_i32_e32 v93, s3, v94
	v_and_b32_e32 v98, 0x3030303, v93
	v_add_u32_e32 v93, 0x3190, v92
	ds_read2_b32 v[93:94], v93 offset1:1
	v_add_u32_e32 v92, 0x3198, v92
	s_waitcnt lgkmcnt(0)
	v_ashrrev_i32_e32 v93, s3, v93
	v_and_b32_e32 v99, 0x3030303, v93
	v_ashrrev_i32_e32 v93, s3, v94
	v_and_b32_e32 v94, 0x3030303, v93
	ds_read2_b32 v[92:93], v92 offset1:1
	ds_read_b32 v101, v101
	ds_read_u16 v100, v100 offset:19952
	s_waitcnt lgkmcnt(2)
	v_ashrrev_i32_e32 v92, s3, v92
	s_waitcnt lgkmcnt(0)
	v_bfe_u32 v102, v100, 4, 4
	v_mul_lo_u32 v102, v102, s23
	v_and_b32_e32 v92, 0x3030303, v92
	v_ashrrev_i32_e32 v93, s3, v93
	v_and_b32_e32 v93, 0x3030303, v93
	v_dot4_i32_i8 v5, v102, v5, 0
	v_dot4_i32_i8 v5, v102, v6, v5
	;; [unrolled: 1-line block ×6, first 2 shown]
	v_and_b32_e32 v5, 15, v100
	v_mul_lo_u32 v5, v5, v6
	v_lshrrev_b32_sdwa v6, v80, v100 dst_sel:DWORD dst_unused:UNUSED_PAD src0_sel:DWORD src1_sel:BYTE_1
	v_mul_lo_u32 v6, v6, s23
	v_dot4_i32_i8 v8, v99, v1, 0
	s_add_i32 s3, s2, 2
	s_cmp_lt_u32 s2, 30
	v_dot4_i32_i8 v1, v6, v1, v7
	v_dot4_i32_i8 v7, v94, v2, v8
	;; [unrolled: 1-line block ×7, first 2 shown]
	v_and_b32_sdwa v1, v100, v81 dst_sel:DWORD dst_unused:UNUSED_PAD src0_sel:BYTE_1 src1_sel:DWORD
	v_mad_u64_u32 v[1:2], s[16:17], v1, v2, v[5:6]
	v_cvt_f32_f16_sdwa v2, v101 dst_sel:DWORD dst_unused:UNUSED_PAD src0_sel:WORD_1
	v_cvt_f32_i32_e32 v3, v3
	v_cvt_f32_i32_e32 v1, v1
	s_mov_b32 s2, s3
	v_mul_f32_e32 v2, v2, v3
	v_fma_mix_f32 v1, v101, v1, -v2 op_sel_hi:[1,0,0]
	v_fmac_f32_e32 v9, v91, v1
	s_cbranch_scc1 .LBB227_35
; %bb.36:                               ;   in Loop: Header=BB227_5 Depth=1
	s_barrier
	s_branch .LBB227_4
.LBB227_37:
	s_mul_i32 s0, s11, s8
	s_waitcnt vmcnt(0)
	v_cmp_gt_i32_e32 vcc, s0, v12
	s_and_saveexec_b64 s[0:1], vcc
	s_cbranch_execz .LBB227_46
; %bb.38:
	v_mul_lo_u32 v1, v12, s10
	v_add_u32_e32 v0, s18, v0
	v_cmp_gt_u32_e32 vcc, s10, v0
	s_and_saveexec_b64 s[0:1], vcc
	s_cbranch_execz .LBB227_40
; %bb.39:
	v_bfe_u32 v2, v13, 16, 1
	s_movk_i32 s2, 0x7fff
	v_add3_u32 v2, v13, v2, s2
	v_cmp_o_f32_e32 vcc, v13, v13
	v_mov_b32_e32 v3, 0x7fc0
	v_cndmask_b32_sdwa v4, v3, v2, vcc dst_sel:DWORD dst_unused:UNUSED_PAD src0_sel:DWORD src1_sel:WORD_1
	v_add_u32_e32 v2, v1, v0
	v_mov_b32_e32 v3, 0
	v_lshlrev_b64 v[2:3], 1, v[2:3]
	v_mov_b32_e32 v5, s13
	v_add_co_u32_e32 v2, vcc, s12, v2
	v_addc_co_u32_e32 v3, vcc, v5, v3, vcc
	global_store_short v[2:3], v4, off
.LBB227_40:
	s_or_b64 exec, exec, s[0:1]
	v_add_u32_e32 v2, 32, v0
	v_cmp_gt_u32_e32 vcc, s10, v2
	s_and_saveexec_b64 s[0:1], vcc
	s_cbranch_execz .LBB227_42
; %bb.41:
	v_bfe_u32 v3, v63, 16, 1
	s_movk_i32 s2, 0x7fff
	v_add3_u32 v3, v63, v3, s2
	v_cmp_o_f32_e32 vcc, v63, v63
	v_mov_b32_e32 v4, 0x7fc0
	v_cndmask_b32_sdwa v4, v4, v3, vcc dst_sel:DWORD dst_unused:UNUSED_PAD src0_sel:DWORD src1_sel:WORD_1
	v_add_u32_e32 v2, v1, v2
	v_mov_b32_e32 v3, 0
	v_lshlrev_b64 v[2:3], 1, v[2:3]
	v_mov_b32_e32 v5, s13
	v_add_co_u32_e32 v2, vcc, s12, v2
	v_addc_co_u32_e32 v3, vcc, v5, v3, vcc
	global_store_short v[2:3], v4, off
.LBB227_42:
	s_or_b64 exec, exec, s[0:1]
	;; [unrolled: 20-line block ×3, first 2 shown]
	v_add_u32_e32 v0, 0x60, v0
	v_cmp_gt_u32_e32 vcc, s10, v0
	s_and_b64 exec, exec, vcc
	s_cbranch_execz .LBB227_46
; %bb.45:
	v_add_u32_e32 v0, v1, v0
	v_mov_b32_e32 v1, 0
	v_bfe_u32 v2, v9, 16, 1
	s_movk_i32 s0, 0x7fff
	v_lshlrev_b64 v[0:1], 1, v[0:1]
	v_add3_u32 v2, v9, v2, s0
	v_cmp_o_f32_e32 vcc, v9, v9
	v_mov_b32_e32 v3, 0x7fc0
	v_cndmask_b32_sdwa v2, v3, v2, vcc dst_sel:DWORD dst_unused:UNUSED_PAD src0_sel:DWORD src1_sel:WORD_1
	v_mov_b32_e32 v3, s13
	v_add_co_u32_e32 v0, vcc, s12, v0
	v_addc_co_u32_e32 v1, vcc, v3, v1, vcc
	global_store_short v[0:1], v2, off
.LBB227_46:
	s_endpgm
	.section	.rodata,"a",@progbits
	.p2align	6, 0x0
	.amdhsa_kernel _ZL8moe_q2_KIN3c108BFloat16ELb0EEvPKvS3_PT_PKiS7_S7_iiiiiii
		.amdhsa_group_segment_fixed_size 23328
		.amdhsa_private_segment_fixed_size 0
		.amdhsa_kernarg_size 76
		.amdhsa_user_sgpr_count 6
		.amdhsa_user_sgpr_private_segment_buffer 1
		.amdhsa_user_sgpr_dispatch_ptr 0
		.amdhsa_user_sgpr_queue_ptr 0
		.amdhsa_user_sgpr_kernarg_segment_ptr 1
		.amdhsa_user_sgpr_dispatch_id 0
		.amdhsa_user_sgpr_flat_scratch_init 0
		.amdhsa_user_sgpr_private_segment_size 0
		.amdhsa_uses_dynamic_stack 0
		.amdhsa_system_sgpr_private_segment_wavefront_offset 0
		.amdhsa_system_sgpr_workgroup_id_x 1
		.amdhsa_system_sgpr_workgroup_id_y 1
		.amdhsa_system_sgpr_workgroup_id_z 0
		.amdhsa_system_sgpr_workgroup_info 0
		.amdhsa_system_vgpr_workitem_id 1
		.amdhsa_next_free_vgpr 109
		.amdhsa_next_free_sgpr 98
		.amdhsa_reserve_vcc 1
		.amdhsa_reserve_flat_scratch 0
		.amdhsa_float_round_mode_32 0
		.amdhsa_float_round_mode_16_64 0
		.amdhsa_float_denorm_mode_32 3
		.amdhsa_float_denorm_mode_16_64 3
		.amdhsa_dx10_clamp 1
		.amdhsa_ieee_mode 1
		.amdhsa_fp16_overflow 0
		.amdhsa_exception_fp_ieee_invalid_op 0
		.amdhsa_exception_fp_denorm_src 0
		.amdhsa_exception_fp_ieee_div_zero 0
		.amdhsa_exception_fp_ieee_overflow 0
		.amdhsa_exception_fp_ieee_underflow 0
		.amdhsa_exception_fp_ieee_inexact 0
		.amdhsa_exception_int_div_zero 0
	.end_amdhsa_kernel
	.section	.text._ZL8moe_q2_KIN3c108BFloat16ELb0EEvPKvS3_PT_PKiS7_S7_iiiiiii,"axG",@progbits,_ZL8moe_q2_KIN3c108BFloat16ELb0EEvPKvS3_PT_PKiS7_S7_iiiiiii,comdat
.Lfunc_end227:
	.size	_ZL8moe_q2_KIN3c108BFloat16ELb0EEvPKvS3_PT_PKiS7_S7_iiiiiii, .Lfunc_end227-_ZL8moe_q2_KIN3c108BFloat16ELb0EEvPKvS3_PT_PKiS7_S7_iiiiiii
                                        ; -- End function
	.set _ZL8moe_q2_KIN3c108BFloat16ELb0EEvPKvS3_PT_PKiS7_S7_iiiiiii.num_vgpr, 109
	.set _ZL8moe_q2_KIN3c108BFloat16ELb0EEvPKvS3_PT_PKiS7_S7_iiiiiii.num_agpr, 0
	.set _ZL8moe_q2_KIN3c108BFloat16ELb0EEvPKvS3_PT_PKiS7_S7_iiiiiii.numbered_sgpr, 28
	.set _ZL8moe_q2_KIN3c108BFloat16ELb0EEvPKvS3_PT_PKiS7_S7_iiiiiii.num_named_barrier, 0
	.set _ZL8moe_q2_KIN3c108BFloat16ELb0EEvPKvS3_PT_PKiS7_S7_iiiiiii.private_seg_size, 0
	.set _ZL8moe_q2_KIN3c108BFloat16ELb0EEvPKvS3_PT_PKiS7_S7_iiiiiii.uses_vcc, 1
	.set _ZL8moe_q2_KIN3c108BFloat16ELb0EEvPKvS3_PT_PKiS7_S7_iiiiiii.uses_flat_scratch, 0
	.set _ZL8moe_q2_KIN3c108BFloat16ELb0EEvPKvS3_PT_PKiS7_S7_iiiiiii.has_dyn_sized_stack, 0
	.set _ZL8moe_q2_KIN3c108BFloat16ELb0EEvPKvS3_PT_PKiS7_S7_iiiiiii.has_recursion, 0
	.set _ZL8moe_q2_KIN3c108BFloat16ELb0EEvPKvS3_PT_PKiS7_S7_iiiiiii.has_indirect_call, 0
	.section	.AMDGPU.csdata,"",@progbits
; Kernel info:
; codeLenInByte = 10376
; TotalNumSgprs: 32
; NumVgprs: 109
; ScratchSize: 0
; MemoryBound: 0
; FloatMode: 240
; IeeeMode: 1
; LDSByteSize: 23328 bytes/workgroup (compile time only)
; SGPRBlocks: 12
; VGPRBlocks: 27
; NumSGPRsForWavesPerEU: 102
; NumVGPRsForWavesPerEU: 109
; Occupancy: 2
; WaveLimiterHint : 1
; COMPUTE_PGM_RSRC2:SCRATCH_EN: 0
; COMPUTE_PGM_RSRC2:USER_SGPR: 6
; COMPUTE_PGM_RSRC2:TRAP_HANDLER: 0
; COMPUTE_PGM_RSRC2:TGID_X_EN: 1
; COMPUTE_PGM_RSRC2:TGID_Y_EN: 1
; COMPUTE_PGM_RSRC2:TGID_Z_EN: 0
; COMPUTE_PGM_RSRC2:TIDIG_COMP_CNT: 1
	.section	.text._ZL8moe_q2_KIN3c108BFloat16ELb1EEvPKvS3_PT_PKiS7_S7_iiiiiii,"axG",@progbits,_ZL8moe_q2_KIN3c108BFloat16ELb1EEvPKvS3_PT_PKiS7_S7_iiiiiii,comdat
	.globl	_ZL8moe_q2_KIN3c108BFloat16ELb1EEvPKvS3_PT_PKiS7_S7_iiiiiii ; -- Begin function _ZL8moe_q2_KIN3c108BFloat16ELb1EEvPKvS3_PT_PKiS7_S7_iiiiiii
	.p2align	8
	.type	_ZL8moe_q2_KIN3c108BFloat16ELb1EEvPKvS3_PT_PKiS7_S7_iiiiiii,@function
_ZL8moe_q2_KIN3c108BFloat16ELb1EEvPKvS3_PT_PKiS7_S7_iiiiiii: ; @_ZL8moe_q2_KIN3c108BFloat16ELb1EEvPKvS3_PT_PKiS7_S7_iiiiiii
; %bb.0:
	s_load_dwordx4 s[0:3], s[4:5], 0x18
	s_mov_b32 s8, s7
	s_mov_b32 s9, 0
	s_lshl_b64 s[10:11], s[8:9], 2
	s_waitcnt lgkmcnt(0)
	s_add_u32 s2, s2, s10
	s_addc_u32 s3, s3, s11
	s_load_dword s2, s[2:3], 0x0
	s_waitcnt lgkmcnt(0)
	s_cmpk_gt_u32 s2, 0xff
	s_cbranch_scc1 .LBB228_46
; %bb.1:
	s_load_dwordx2 s[10:11], s[4:5], 0x28
	s_lshl_b32 s3, s8, 3
	s_waitcnt lgkmcnt(0)
	s_load_dword s7, s[10:11], 0x0
	s_waitcnt lgkmcnt(0)
	s_cmp_gt_u32 s3, s7
	s_cbranch_scc1 .LBB228_46
; %bb.2:
	v_add_u32_e32 v24, s3, v1
	v_mov_b32_e32 v25, 0
	v_lshlrev_b64 v[2:3], 2, v[24:25]
	v_mov_b32_e32 v4, s1
	v_add_co_u32_e32 v2, vcc, s0, v2
	v_addc_co_u32_e32 v3, vcc, v4, v3, vcc
	global_load_dword v28, v[2:3], off
	s_load_dwordx8 s[8:15], s[4:5], 0x30
	s_load_dwordx2 s[16:17], s[4:5], 0x10
	s_waitcnt lgkmcnt(0)
	s_lshl_b32 s15, s6, 7
	v_mov_b32_e32 v59, v25
	v_mov_b32_e32 v62, v25
	s_cmpk_lt_i32 s9, 0x100
	v_mov_b32_e32 v29, v25
	s_cbranch_scc1 .LBB228_37
; %bb.3:
	s_ashr_i32 s0, s9, 31
	s_lshr_b32 s0, s0, 24
	s_load_dwordx4 s[4:7], s[4:5], 0x0
	s_add_i32 s0, s9, s0
	s_ashr_i32 s20, s0, 8
	s_ashr_i32 s0, s12, 31
	s_lshr_b32 s0, s0, 27
	s_add_i32 s0, s12, s0
	s_mul_i32 s2, s2, s8
	s_ashr_i32 s12, s0, 5
	s_ashr_i32 s0, s2, 31
	s_waitcnt lgkmcnt(0)
	s_add_u32 s1, s4, s2
	s_mul_i32 s2, s20, s15
	s_addc_u32 s0, s5, s0
	s_mul_hi_i32 s3, s2, 0x54
	s_mulk_i32 s2, 0x54
	s_add_u32 s21, s1, s2
	s_addc_u32 s22, s0, s3
	s_not_b32 s0, s15
	s_add_i32 s2, s10, s0
	v_lshlrev_b32_e32 v2, 2, v0
	v_min_i32_e32 v3, s2, v1
	s_movk_i32 s3, 0x84
	v_mul_lo_u32 v32, v3, s20
	v_mad_u64_u32 v[9:10], s[0:1], v3, s3, v[2:3]
	v_add_u32_e32 v3, 8, v1
	v_min_i32_e32 v3, s2, v3
	v_mul_lo_u32 v33, v3, s20
	v_mad_u64_u32 v[10:11], s[0:1], v3, s3, v[2:3]
	v_add_u32_e32 v3, 16, v1
	v_min_i32_e32 v3, s2, v3
	;; [unrolled: 4-line block ×15, first 2 shown]
	v_mul_lo_u32 v47, v3, s20
	v_mad_u64_u32 v[24:25], s[0:1], v3, s3, v[2:3]
	v_lshlrev_b32_e32 v3, 4, v1
	v_lshrrev_b32_e32 v4, 1, v0
	v_add_u32_e32 v4, v4, v3
	v_and_b32_e32 v4, 0x7f, v4
	v_min_i32_e32 v4, s2, v4
	v_ashrrev_i32_e32 v5, 31, v4
	v_lshrrev_b32_e32 v5, 28, v5
	v_add_u32_e32 v5, v4, v5
	v_and_b32_e32 v48, 1, v0
	v_ashrrev_i32_e32 v5, 4, v5
	v_lshlrev_b32_e32 v5, 2, v5
	v_lshlrev_b32_e32 v6, 2, v48
	s_movk_i32 s0, 0x5280
	v_lshrrev_b32_e32 v50, 3, v0
	v_add3_u32 v5, v5, v6, s0
	v_lshl_add_u32 v6, v1, 2, v50
	v_add_u32_e32 v26, 32, v6
	v_min_i32_e32 v26, s2, v26
	v_ashrrev_i32_e32 v27, 31, v26
	v_lshrrev_b32_e32 v27, 30, v27
	v_min_i32_e32 v8, s2, v6
	v_mul_lo_u32 v54, v26, s20
	v_add_u32_e32 v27, v26, v27
	v_lshlrev_b32_e32 v62, 5, v26
	v_add_u32_e32 v26, 64, v6
	v_add_u32_e32 v6, 0x60, v6
	v_min_i32_e32 v26, s2, v26
	v_min_i32_e32 v6, s2, v6
	v_mov_b32_e32 v57, 0x56a0
	s_abs_i32 s2, s14
	v_lshl_add_u32 v57, v1, 7, v57
	v_cvt_f32_u32_e32 v1, s2
	v_and_b32_e32 v7, 7, v0
	v_cmp_lt_u32_e32 vcc, 3, v7
	v_lshlrev_b32_e32 v7, 2, v7
	v_rcp_iflag_f32_e32 v1, v1
	s_movk_i32 s0, 0x4200
	v_and_b32_e32 v27, -4, v27
	v_add3_u32 v59, v27, v7, s0
	v_ashrrev_i32_e32 v27, 31, v26
	v_lshrrev_b32_e32 v27, 30, v27
	v_ashrrev_i32_e32 v25, 31, v8
	v_mul_lo_u32 v55, v26, s20
	v_add_u32_e32 v27, v26, v27
	v_lshlrev_b32_e32 v78, 5, v26
	v_ashrrev_i32_e32 v26, 31, v6
	v_mul_f32_e32 v1, 0x4f7ffffe, v1
	v_lshrrev_b32_e32 v25, 30, v25
	v_lshrrev_b32_e32 v26, 30, v26
	v_cvt_u32_f32_e32 v1, v1
	v_add_u32_e32 v25, v8, v25
	v_add_u32_e32 v26, v6, v26
	v_and_b32_e32 v25, -4, v25
	v_and_b32_e32 v27, -4, v27
	;; [unrolled: 1-line block ×3, first 2 shown]
	v_add3_u32 v25, v25, v7, s0
	v_add3_u32 v77, v27, v7, s0
	;; [unrolled: 1-line block ×3, first 2 shown]
	v_and_b32_e32 v26, 31, v0
	s_sub_i32 s0, 0, s2
	v_lshl_add_u32 v58, v26, 2, v57
	v_mul_lo_u32 v26, s0, v1
	s_waitcnt vmcnt(0)
	v_sub_u32_e32 v63, 0, v28
	v_max_i32_e32 v66, v28, v63
	v_xor_b32_e32 v67, s14, v28
	v_mul_hi_u32 v26, v1, v26
	v_ashrrev_i32_e32 v67, 31, v67
	v_and_b32_e32 v27, 28, v2
	v_add_u32_e32 v60, 0x5aa0, v3
	v_add_u32_e32 v1, v1, v26
	v_mul_hi_u32 v1, v66, v1
	v_and_b32_e32 v31, 60, v2
	v_and_b32_e32 v52, 12, v2
	v_add_u32_e32 v61, v60, v2
	v_mul_lo_u32 v26, v1, s2
	v_mul_u32_u24_e32 v2, 33, v0
	v_add_u32_e32 v69, 0x60, v0
	v_mul_lo_u32 v49, v4, s20
	v_sub_u32_e32 v26, v66, v26
	v_add_u32_e32 v66, 1, v1
	v_cmp_le_u32_e64 s[0:1], s2, v26
	v_cndmask_b32_e64 v1, v1, v66, s[0:1]
	v_subrev_u32_e32 v66, s2, v26
	v_cndmask_b32_e64 v26, v26, v66, s[0:1]
	v_add_u32_e32 v66, 1, v1
	v_cmp_le_u32_e64 s[0:1], s2, v26
	v_cndmask_b32_e64 v1, v1, v66, s[0:1]
	v_xor_b32_e32 v1, v1, v67
	v_sub_u32_e32 v1, v1, v67
	v_cmp_gt_i32_e64 s[0:1], s11, v1
	v_mul_lo_u32 v66, v1, s12
	v_mov_b32_e32 v1, s7
	v_add_co_u32_e64 v26, s[2:3], s6, v27
	v_addc_co_u32_e64 v27, s[2:3], 0, v1, s[2:3]
	v_lshlrev_b32_e32 v67, 2, v2
	v_lshlrev_b32_e32 v1, 5, v0
	v_and_b32_e32 v2, 0x1fc, v69
	v_mul_lo_u32 v53, v8, s20
	v_mul_lo_u32 v56, v6, s20
	v_add_u32_e32 v72, 32, v0
	v_lshlrev_b32_e32 v87, 1, v69
	v_lshrrev_b32_e32 v86, 4, v69
	v_lshrrev_b32_e32 v65, 3, v69
	v_add_u32_e32 v69, v1, v2
	v_and_b32_e32 v2, 0xfc, v0
	v_add_u32_e32 v73, 64, v0
	v_add_u32_e32 v70, v1, v2
	v_and_b32_e32 v2, 0x1fc, v72
	v_lshlrev_b32_e32 v4, 3, v4
	v_cndmask_b32_e64 v51, 0, 1, vcc
	v_lshlrev_b32_e32 v8, 5, v8
	v_lshlrev_b32_e32 v6, 5, v6
	v_cmp_gt_u32_e32 vcc, 4, v0
	v_lshlrev_b32_e32 v3, 1, v0
	v_lshlrev_b32_e32 v83, 1, v72
	v_lshrrev_b32_e32 v82, 4, v72
	v_lshlrev_b32_e32 v85, 1, v73
	v_lshrrev_b32_e32 v84, 4, v73
	v_lshrrev_b32_e32 v63, 3, v72
	v_add_u32_e32 v72, v1, v2
	v_and_b32_e32 v2, 0x1fc, v73
	s_movk_i32 s8, 0x54
	v_lshrrev_b32_e32 v30, 4, v0
	s_mov_b32 s10, 0
	v_mov_b32_e32 v29, 0
	v_lshrrev_b32_e32 v64, 3, v73
	s_and_b64 s[4:5], vcc, s[0:1]
	v_ashrrev_i32_e32 v68, 31, v66
	v_add_u32_e32 v71, 0x4200, v70
	v_add_u32_e32 v73, v1, v2
	;; [unrolled: 1-line block ×7, first 2 shown]
	s_mov_b32 s23, 0x1010101
	v_lshlrev_b32_e32 v79, 2, v3
	v_mov_b32_e32 v80, 4
	v_mov_b32_e32 v81, 15
	v_lshlrev_b32_e32 v82, 2, v82
	v_lshlrev_b32_e32 v83, 2, v83
	;; [unrolled: 1-line block ×6, first 2 shown]
	v_mov_b32_e32 v62, 0
	v_mov_b32_e32 v59, 0
	;; [unrolled: 1-line block ×3, first 2 shown]
	s_branch .LBB228_5
.LBB228_4:                              ;   in Loop: Header=BB228_5 Depth=1
	s_add_i32 s10, s10, 2
	s_cmp_ge_i32 s10, s20
	s_cbranch_scc1 .LBB228_37
.LBB228_5:                              ; =>This Loop Header: Depth=1
                                        ;     Child Loop BB228_11 Depth 2
                                        ;     Child Loop BB228_19 Depth 2
	;; [unrolled: 1-line block ×4, first 2 shown]
	s_mul_i32 s2, s10, 0x54
	s_mul_hi_u32 s3, s10, 0x54
	s_add_u32 s2, s21, s2
	s_addc_u32 s3, s22, s3
	v_mov_b32_e32 v1, s2
	v_mov_b32_e32 v2, s3
	v_mad_u64_u32 v[3:4], s[2:3], v30, s8, v[1:2]
	s_lshl_b32 s24, s10, 8
	s_cmp_lt_i32 s24, s9
	v_mad_i64_i32 v[5:6], s[2:3], v32, s8, v[3:4]
	v_mad_i64_i32 v[7:8], s[2:3], v33, s8, v[3:4]
	v_add_co_u32_e64 v5, s[2:3], v5, v31
	v_addc_co_u32_e64 v6, s[2:3], 0, v6, s[2:3]
	v_add_co_u32_e64 v7, s[2:3], v7, v31
	v_addc_co_u32_e64 v8, s[2:3], 0, v8, s[2:3]
	v_mad_i64_i32 v[88:89], s[2:3], v34, s8, v[3:4]
	v_mad_i64_i32 v[90:91], s[2:3], v35, s8, v[3:4]
	v_add_co_u32_e64 v88, s[2:3], v88, v31
	v_addc_co_u32_e64 v89, s[2:3], 0, v89, s[2:3]
	v_add_co_u32_e64 v90, s[2:3], v90, v31
	v_addc_co_u32_e64 v91, s[2:3], 0, v91, s[2:3]
	;; [unrolled: 6-line block ×4, first 2 shown]
	global_load_dword v100, v[5:6], off offset:16
	global_load_dword v101, v[7:8], off offset:16
	;; [unrolled: 1-line block ×7, first 2 shown]
	s_nop 0
	global_load_dword v98, v[98:99], off offset:16
	v_mad_i64_i32 v[5:6], s[2:3], v40, s8, v[3:4]
	v_mad_i64_i32 v[7:8], s[2:3], v41, s8, v[3:4]
	v_add_co_u32_e64 v5, s[2:3], v5, v31
	v_addc_co_u32_e64 v6, s[2:3], 0, v6, s[2:3]
	v_add_co_u32_e64 v7, s[2:3], v7, v31
	v_addc_co_u32_e64 v8, s[2:3], 0, v8, s[2:3]
	v_mad_i64_i32 v[88:89], s[2:3], v42, s8, v[3:4]
	v_mad_i64_i32 v[90:91], s[2:3], v43, s8, v[3:4]
	v_add_co_u32_e64 v88, s[2:3], v88, v31
	v_addc_co_u32_e64 v89, s[2:3], 0, v89, s[2:3]
	v_add_co_u32_e64 v90, s[2:3], v90, v31
	v_addc_co_u32_e64 v91, s[2:3], 0, v91, s[2:3]
	;; [unrolled: 6-line block ×4, first 2 shown]
	global_load_dword v99, v[5:6], off offset:16
	global_load_dword v107, v[7:8], off offset:16
	;; [unrolled: 1-line block ×3, first 2 shown]
	s_nop 0
	global_load_dword v90, v[90:91], off offset:16
	s_nop 0
	global_load_dword v91, v[92:93], off offset:16
	;; [unrolled: 2-line block ×3, first 2 shown]
	global_load_dword v93, v[96:97], off offset:16
	s_nop 0
	global_load_dword v94, v[3:4], off offset:16
	v_mad_i64_i32 v[3:4], s[2:3], v49, s8, v[1:2]
	v_mad_u64_u32 v[1:2], s[2:3], v51, s8, v[1:2]
	v_mad_u64_u32 v[3:4], s[2:3], v48, s8, v[3:4]
	v_add_co_u32_e64 v1, s[2:3], v1, v52
	v_addc_co_u32_e64 v2, s[2:3], 0, v2, s[2:3]
	v_mad_i64_i32 v[5:6], s[2:3], v53, s8, v[1:2]
	v_mad_i64_i32 v[7:8], s[2:3], v54, s8, v[1:2]
	v_mad_i64_i32 v[88:89], s[2:3], v55, s8, v[1:2]
	v_mad_i64_i32 v[1:2], s[2:3], v56, s8, v[1:2]
	global_load_dword v3, v[3:4], off offset:80
	s_nop 0
	global_load_dword v4, v[5:6], off
	s_nop 0
	global_load_dword v5, v[7:8], off
	global_load_dword v6, v[88:89], off
	s_nop 0
	global_load_dword v1, v[1:2], off
	s_waitcnt vmcnt(20)
	ds_write_b32 v9, v100
	s_waitcnt vmcnt(19)
	ds_write_b32 v10, v101
	;; [unrolled: 2-line block ×21, first 2 shown]
	s_cbranch_scc0 .LBB228_4
; %bb.6:                                ;   in Loop: Header=BB228_5 Depth=1
	s_lshl_b32 s25, s10, 3
	v_add_u32_e32 v1, s25, v50
	v_cmp_gt_i32_e64 s[2:3], s12, v1
	s_and_b64 s[18:19], s[0:1], s[2:3]
	s_and_saveexec_b64 s[2:3], s[18:19]
	s_cbranch_execz .LBB228_8
; %bb.7:                                ;   in Loop: Header=BB228_5 Depth=1
	v_add_u32_e32 v1, v66, v1
	v_mad_i64_i32 v[1:2], s[18:19], v1, 36, v[26:27]
	global_load_dword v1, v[1:2], off offset:4
	s_waitcnt vmcnt(0)
	ds_write_b32 v58, v1
.LBB228_8:                              ;   in Loop: Header=BB228_5 Depth=1
	s_or_b64 exec, exec, s[2:3]
	v_add_u32_e32 v89, s25, v0
	v_cmp_gt_i32_e64 s[2:3], s12, v89
	s_and_b64 s[18:19], s[4:5], s[2:3]
	s_and_saveexec_b64 s[2:3], s[18:19]
	s_cbranch_execz .LBB228_10
; %bb.9:                                ;   in Loop: Header=BB228_5 Depth=1
	v_add_u32_e32 v1, v66, v89
	v_mad_i64_i32 v[1:2], s[18:19], v1, 36, s[6:7]
	global_load_dword v1, v[1:2], off
	s_waitcnt vmcnt(0)
	v_cvt_f32_f16_e32 v1, v1
	ds_write_b32 v61, v1
.LBB228_10:                             ;   in Loop: Header=BB228_5 Depth=1
	s_or_b64 exec, exec, s[2:3]
	s_mov_b32 s2, 0
	v_mov_b32_e32 v90, v60
	v_mov_b32_e32 v91, v57
	s_waitcnt lgkmcnt(0)
	s_barrier
.LBB228_11:                             ;   Parent Loop BB228_5 Depth=1
                                        ; =>  This Inner Loop Header: Depth=2
	s_and_b32 s18, s2, 0x3ffffff8
	v_lshl_add_u32 v93, s18, 2, v67
	ds_read_b32 v92, v90
	ds_read_b128 v[5:8], v91
	ds_read_b128 v[1:4], v91 offset:16
	ds_read2_b32 v[94:95], v93 offset1:1
	s_lshr_b32 s18, s2, 2
	s_and_b32 s18, s18, 0x3ffffffc
	s_and_b32 s3, s2, -16
	s_addk_i32 s18, 0x5280
	s_waitcnt lgkmcnt(0)
	v_ashrrev_i32_e32 v88, s2, v94
	v_and_b32_e32 v96, 0x3030303, v88
	v_ashrrev_i32_e32 v88, s2, v95
	ds_read2_b32 v[94:95], v93 offset0:2 offset1:3
	v_and_b32_e32 v97, 0x3030303, v88
	s_add_i32 s3, s2, s3
	v_dot4_i32_i8 v96, v96, v5, 0
	v_dot4_i32_i8 v96, v97, v6, v96
	s_waitcnt lgkmcnt(0)
	v_ashrrev_i32_e32 v88, s2, v94
	v_and_b32_e32 v98, 0x3030303, v88
	v_ashrrev_i32_e32 v88, s2, v95
	ds_read2_b32 v[94:95], v93 offset0:4 offset1:5
	v_and_b32_e32 v99, 0x3030303, v88
	v_dot4_i32_i8 v96, v98, v7, v96
	v_dot4_i32_i8 v96, v99, v8, v96
	v_add_u32_e32 v91, 32, v91
	s_waitcnt lgkmcnt(0)
	v_ashrrev_i32_e32 v88, s2, v94
	v_and_b32_e32 v100, 0x3030303, v88
	v_ashrrev_i32_e32 v88, s2, v95
	ds_read2_b32 v[94:95], v93 offset0:6 offset1:7
	v_and_b32_e32 v101, 0x3030303, v88
	v_dot4_i32_i8 v98, v100, v1, 0
	v_dot4_i32_i8 v98, v101, v2, v98
	v_add_u32_e32 v90, 4, v90
	s_waitcnt lgkmcnt(0)
	v_ashrrev_i32_e32 v88, s2, v94
	v_and_b32_e32 v102, 0x3030303, v88
	v_ashrrev_i32_e32 v88, s2, v95
	v_and_b32_e32 v95, 0x3030303, v88
	v_lshlrev_b32_e32 v88, 2, v30
	v_add3_u32 v103, s18, v88, v79
	v_add_u32_e32 v94, s3, v71
	ds_read_b32 v103, v103
	ds_read_u16 v104, v94
	v_dot4_i32_i8 v98, v102, v3, v98
	v_dot4_i32_i8 v95, v95, v4, v98
	s_waitcnt lgkmcnt(0)
	v_bfe_u32 v94, v104, 4, 4
	v_mul_lo_u32 v94, v94, s23
	v_dot4_i32_i8 v105, v94, v5, 0
	v_dot4_i32_i8 v97, v94, v6, v105
	;; [unrolled: 1-line block ×4, first 2 shown]
	v_and_b32_e32 v94, 15, v104
	v_mul_lo_u32 v94, v94, v96
	v_lshrrev_b32_sdwa v96, v80, v104 dst_sel:DWORD dst_unused:UNUSED_PAD src0_sel:DWORD src1_sel:BYTE_1
	v_mul_lo_u32 v96, v96, s23
	v_dot4_i32_i8 v97, v96, v1, v97
	v_dot4_i32_i8 v97, v96, v2, v97
	;; [unrolled: 1-line block ×4, first 2 shown]
	v_and_b32_sdwa v97, v104, v81 dst_sel:DWORD dst_unused:UNUSED_PAD src0_sel:BYTE_1 src1_sel:DWORD
	v_mad_u64_u32 v[94:95], s[26:27], v97, v95, v[94:95]
	v_cvt_f32_f16_sdwa v95, v103 dst_sel:DWORD dst_unused:UNUSED_PAD src0_sel:WORD_1
	v_cvt_f32_i32_e32 v96, v96
	v_cvt_f32_i32_e32 v94, v94
	v_mul_f32_e32 v95, v95, v96
	v_fma_mix_f32 v94, v103, v94, -v95 op_sel_hi:[1,0,0]
	v_fmac_f32_e32 v29, v92, v94
	v_add_u32_e32 v94, 0x1080, v93
	ds_read2_b32 v[94:95], v94 offset1:1
	v_add3_u32 v103, s18, v82, v83
	s_waitcnt lgkmcnt(0)
	v_ashrrev_i32_e32 v94, s2, v94
	v_and_b32_e32 v96, 0x3030303, v94
	v_ashrrev_i32_e32 v94, s2, v95
	v_and_b32_e32 v97, 0x3030303, v94
	v_add_u32_e32 v94, 0x1088, v93
	ds_read2_b32 v[94:95], v94 offset1:1
	v_dot4_i32_i8 v96, v96, v5, 0
	v_dot4_i32_i8 v96, v97, v6, v96
	s_waitcnt lgkmcnt(0)
	v_ashrrev_i32_e32 v94, s2, v94
	v_and_b32_e32 v98, 0x3030303, v94
	v_ashrrev_i32_e32 v94, s2, v95
	v_and_b32_e32 v99, 0x3030303, v94
	v_add_u32_e32 v94, 0x1090, v93
	ds_read2_b32 v[94:95], v94 offset1:1
	v_dot4_i32_i8 v96, v98, v7, v96
	v_dot4_i32_i8 v96, v99, v8, v96
	;; [unrolled: 9-line block ×3, first 2 shown]
	s_waitcnt lgkmcnt(0)
	v_ashrrev_i32_e32 v94, s2, v94
	v_and_b32_e32 v102, 0x3030303, v94
	v_ashrrev_i32_e32 v94, s2, v95
	v_and_b32_e32 v95, 0x3030303, v94
	v_add_u32_e32 v94, s3, v72
	ds_read_b32 v103, v103
	ds_read_u16 v104, v94 offset:17920
	v_dot4_i32_i8 v98, v102, v3, v98
	v_dot4_i32_i8 v95, v95, v4, v98
	s_waitcnt lgkmcnt(0)
	v_bfe_u32 v94, v104, 4, 4
	v_mul_lo_u32 v94, v94, s23
	v_dot4_i32_i8 v105, v94, v5, 0
	v_dot4_i32_i8 v97, v94, v6, v105
	;; [unrolled: 1-line block ×4, first 2 shown]
	v_and_b32_e32 v94, 15, v104
	v_mul_lo_u32 v94, v94, v96
	v_lshrrev_b32_sdwa v96, v80, v104 dst_sel:DWORD dst_unused:UNUSED_PAD src0_sel:DWORD src1_sel:BYTE_1
	v_mul_lo_u32 v96, v96, s23
	v_dot4_i32_i8 v97, v96, v1, v97
	v_dot4_i32_i8 v97, v96, v2, v97
	;; [unrolled: 1-line block ×4, first 2 shown]
	v_and_b32_sdwa v97, v104, v81 dst_sel:DWORD dst_unused:UNUSED_PAD src0_sel:BYTE_1 src1_sel:DWORD
	v_mad_u64_u32 v[94:95], s[26:27], v97, v95, v[94:95]
	v_cvt_f32_f16_sdwa v95, v103 dst_sel:DWORD dst_unused:UNUSED_PAD src0_sel:WORD_1
	v_cvt_f32_i32_e32 v96, v96
	v_cvt_f32_i32_e32 v94, v94
	v_mul_f32_e32 v95, v95, v96
	v_fma_mix_f32 v94, v103, v94, -v95 op_sel_hi:[1,0,0]
	v_fmac_f32_e32 v62, v92, v94
	v_add_u32_e32 v94, 0x2100, v93
	ds_read2_b32 v[94:95], v94 offset1:1
	v_add3_u32 v103, s18, v84, v85
	s_waitcnt lgkmcnt(0)
	v_ashrrev_i32_e32 v94, s2, v94
	v_and_b32_e32 v96, 0x3030303, v94
	v_ashrrev_i32_e32 v94, s2, v95
	v_and_b32_e32 v97, 0x3030303, v94
	v_add_u32_e32 v94, 0x2108, v93
	ds_read2_b32 v[94:95], v94 offset1:1
	v_dot4_i32_i8 v96, v96, v5, 0
	v_dot4_i32_i8 v96, v97, v6, v96
	s_waitcnt lgkmcnt(0)
	v_ashrrev_i32_e32 v94, s2, v94
	v_and_b32_e32 v98, 0x3030303, v94
	v_ashrrev_i32_e32 v94, s2, v95
	v_and_b32_e32 v99, 0x3030303, v94
	v_add_u32_e32 v94, 0x2110, v93
	ds_read2_b32 v[94:95], v94 offset1:1
	v_dot4_i32_i8 v96, v98, v7, v96
	v_dot4_i32_i8 v96, v99, v8, v96
	s_waitcnt lgkmcnt(0)
	v_ashrrev_i32_e32 v94, s2, v94
	v_and_b32_e32 v100, 0x3030303, v94
	v_ashrrev_i32_e32 v94, s2, v95
	v_and_b32_e32 v101, 0x3030303, v94
	v_add_u32_e32 v94, 0x2118, v93
	ds_read2_b32 v[94:95], v94 offset1:1
	v_dot4_i32_i8 v98, v100, v1, 0
	v_dot4_i32_i8 v98, v101, v2, v98
	v_add_u32_e32 v101, s3, v69
	s_waitcnt lgkmcnt(0)
	v_ashrrev_i32_e32 v94, s2, v94
	v_and_b32_e32 v102, 0x3030303, v94
	v_ashrrev_i32_e32 v94, s2, v95
	v_and_b32_e32 v95, 0x3030303, v94
	v_add_u32_e32 v94, s3, v73
	ds_read_b32 v103, v103
	ds_read_u16 v104, v94 offset:18944
	v_dot4_i32_i8 v98, v102, v3, v98
	v_dot4_i32_i8 v95, v95, v4, v98
	v_add3_u32 v102, s18, v86, v87
	s_add_i32 s3, s2, 2
	s_waitcnt lgkmcnt(0)
	v_bfe_u32 v94, v104, 4, 4
	v_mul_lo_u32 v94, v94, s23
	s_cmp_lt_u32 s2, 6
	v_dot4_i32_i8 v105, v94, v5, 0
	v_dot4_i32_i8 v97, v94, v6, v105
	;; [unrolled: 1-line block ×4, first 2 shown]
	v_and_b32_e32 v94, 15, v104
	v_mul_lo_u32 v94, v94, v96
	v_lshrrev_b32_sdwa v96, v80, v104 dst_sel:DWORD dst_unused:UNUSED_PAD src0_sel:DWORD src1_sel:BYTE_1
	v_mul_lo_u32 v96, v96, s23
	v_dot4_i32_i8 v97, v96, v1, v97
	v_dot4_i32_i8 v97, v96, v2, v97
	;; [unrolled: 1-line block ×4, first 2 shown]
	v_and_b32_sdwa v97, v104, v81 dst_sel:DWORD dst_unused:UNUSED_PAD src0_sel:BYTE_1 src1_sel:DWORD
	v_mad_u64_u32 v[94:95], s[26:27], v97, v95, v[94:95]
	v_cvt_f32_f16_sdwa v95, v103 dst_sel:DWORD dst_unused:UNUSED_PAD src0_sel:WORD_1
	v_cvt_f32_i32_e32 v96, v96
	v_cvt_f32_i32_e32 v94, v94
	v_mul_f32_e32 v95, v95, v96
	v_fma_mix_f32 v94, v103, v94, -v95 op_sel_hi:[1,0,0]
	v_fmac_f32_e32 v59, v92, v94
	v_add_u32_e32 v94, 0x3180, v93
	ds_read2_b32 v[94:95], v94 offset1:1
	s_waitcnt lgkmcnt(0)
	v_ashrrev_i32_e32 v94, s2, v94
	v_and_b32_e32 v96, 0x3030303, v94
	v_ashrrev_i32_e32 v94, s2, v95
	v_and_b32_e32 v97, 0x3030303, v94
	v_add_u32_e32 v94, 0x3188, v93
	ds_read2_b32 v[94:95], v94 offset1:1
	v_dot4_i32_i8 v96, v96, v5, 0
	v_dot4_i32_i8 v96, v97, v6, v96
	s_waitcnt lgkmcnt(0)
	v_ashrrev_i32_e32 v94, s2, v94
	v_and_b32_e32 v98, 0x3030303, v94
	v_ashrrev_i32_e32 v94, s2, v95
	v_and_b32_e32 v99, 0x3030303, v94
	v_add_u32_e32 v94, 0x3190, v93
	ds_read2_b32 v[94:95], v94 offset1:1
	v_add_u32_e32 v93, 0x3198, v93
	s_waitcnt lgkmcnt(0)
	v_ashrrev_i32_e32 v94, s2, v94
	v_and_b32_e32 v100, 0x3030303, v94
	v_ashrrev_i32_e32 v94, s2, v95
	v_and_b32_e32 v95, 0x3030303, v94
	ds_read2_b32 v[93:94], v93 offset1:1
	ds_read_b32 v102, v102
	ds_read_u16 v101, v101 offset:19968
	s_waitcnt lgkmcnt(2)
	v_ashrrev_i32_e32 v93, s2, v93
	s_waitcnt lgkmcnt(0)
	v_bfe_u32 v103, v101, 4, 4
	v_mul_lo_u32 v103, v103, s23
	v_and_b32_e32 v93, 0x3030303, v93
	v_ashrrev_i32_e32 v94, s2, v94
	v_and_b32_e32 v94, 0x3030303, v94
	v_dot4_i32_i8 v5, v103, v5, 0
	v_dot4_i32_i8 v5, v103, v6, v5
	;; [unrolled: 1-line block ×6, first 2 shown]
	v_and_b32_e32 v5, 15, v101
	v_mul_lo_u32 v5, v5, v6
	v_lshrrev_b32_sdwa v6, v80, v101 dst_sel:DWORD dst_unused:UNUSED_PAD src0_sel:DWORD src1_sel:BYTE_1
	v_mul_lo_u32 v6, v6, s23
	v_dot4_i32_i8 v8, v100, v1, 0
	s_mov_b32 s2, s3
	v_dot4_i32_i8 v1, v6, v1, v7
	v_dot4_i32_i8 v7, v95, v2, v8
	;; [unrolled: 1-line block ×7, first 2 shown]
	v_and_b32_sdwa v1, v101, v81 dst_sel:DWORD dst_unused:UNUSED_PAD src0_sel:BYTE_1 src1_sel:DWORD
	v_mad_u64_u32 v[1:2], s[18:19], v1, v2, v[5:6]
	v_cvt_f32_f16_sdwa v2, v102 dst_sel:DWORD dst_unused:UNUSED_PAD src0_sel:WORD_1
	v_cvt_f32_i32_e32 v3, v3
	v_cvt_f32_i32_e32 v1, v1
	v_mul_f32_e32 v2, v2, v3
	v_fma_mix_f32 v1, v102, v1, -v2 op_sel_hi:[1,0,0]
	v_fmac_f32_e32 v25, v92, v1
	s_cbranch_scc1 .LBB228_11
; %bb.12:                               ;   in Loop: Header=BB228_5 Depth=1
	s_or_b32 s2, s24, 0x80
	s_cmp_ge_i32 s2, s9
	s_barrier
	s_cbranch_scc1 .LBB228_4
; %bb.13:                               ;   in Loop: Header=BB228_5 Depth=1
	v_add_u32_e32 v1, s25, v63
	v_cmp_gt_i32_e64 s[2:3], s12, v1
	s_and_b64 s[18:19], s[0:1], s[2:3]
	s_and_saveexec_b64 s[2:3], s[18:19]
	s_cbranch_execz .LBB228_15
; %bb.14:                               ;   in Loop: Header=BB228_5 Depth=1
	v_add_u32_e32 v1, v66, v1
	v_mad_i64_i32 v[1:2], s[18:19], v1, 36, v[26:27]
	global_load_dword v1, v[1:2], off offset:4
	s_waitcnt vmcnt(0)
	ds_write_b32 v58, v1
.LBB228_15:                             ;   in Loop: Header=BB228_5 Depth=1
	s_or_b64 exec, exec, s[2:3]
	s_and_saveexec_b64 s[18:19], vcc
	s_cbranch_execz .LBB228_18
; %bb.16:                               ;   in Loop: Header=BB228_5 Depth=1
	v_or_b32_e32 v1, 4, v89
	v_cmp_gt_i32_e64 s[2:3], s12, v1
	s_and_b64 s[2:3], s[0:1], s[2:3]
	s_and_b64 exec, exec, s[2:3]
	s_cbranch_execz .LBB228_18
; %bb.17:                               ;   in Loop: Header=BB228_5 Depth=1
	v_ashrrev_i32_e32 v1, 31, v89
	v_add_co_u32_e64 v2, s[2:3], v66, v89
	v_addc_co_u32_e64 v3, s[2:3], v68, v1, s[2:3]
	v_mad_u64_u32 v[1:2], s[2:3], v2, 36, s[6:7]
	v_mad_i32_i24 v2, v3, 36, v2
	global_load_dword v1, v[1:2], off offset:144
	s_waitcnt vmcnt(0)
	v_cvt_f32_f16_e32 v1, v1
	ds_write_b32 v61, v1
.LBB228_18:                             ;   in Loop: Header=BB228_5 Depth=1
	s_or_b64 exec, exec, s[18:19]
	s_mov_b32 s2, 8
	v_mov_b32_e32 v90, v57
	v_mov_b32_e32 v91, v60
	s_waitcnt lgkmcnt(0)
	s_barrier
.LBB228_19:                             ;   Parent Loop BB228_5 Depth=1
                                        ; =>  This Inner Loop Header: Depth=2
	s_and_b32 s19, s2, 0x3ffffff8
	v_lshl_add_u32 v93, s19, 2, v67
	ds_read_b32 v92, v91
	ds_read_b128 v[5:8], v90
	ds_read_b128 v[1:4], v90 offset:16
	ds_read2_b32 v[94:95], v93 offset1:1
	s_add_i32 s3, s2, -8
	s_lshr_b32 s19, s2, 2
	s_and_b32 s19, s19, 0x3ffffffc
	s_and_b32 s18, s2, -16
	s_waitcnt lgkmcnt(0)
	v_ashrrev_i32_e32 v94, s3, v94
	v_and_b32_e32 v96, 0x3030303, v94
	v_ashrrev_i32_e32 v94, s3, v95
	v_and_b32_e32 v97, 0x3030303, v94
	ds_read2_b32 v[94:95], v93 offset0:2 offset1:3
	s_addk_i32 s19, 0x5280
	s_add_i32 s18, s2, s18
	v_add3_u32 v103, s19, v88, v79
	v_dot4_i32_i8 v96, v96, v5, 0
	s_waitcnt lgkmcnt(0)
	v_ashrrev_i32_e32 v94, s3, v94
	v_and_b32_e32 v98, 0x3030303, v94
	v_ashrrev_i32_e32 v94, s3, v95
	v_and_b32_e32 v99, 0x3030303, v94
	ds_read2_b32 v[94:95], v93 offset0:4 offset1:5
	v_dot4_i32_i8 v96, v97, v6, v96
	v_dot4_i32_i8 v96, v98, v7, v96
	;; [unrolled: 1-line block ×3, first 2 shown]
	v_add_u32_e32 v91, 4, v91
	s_waitcnt lgkmcnt(0)
	v_ashrrev_i32_e32 v94, s3, v94
	v_and_b32_e32 v100, 0x3030303, v94
	v_ashrrev_i32_e32 v94, s3, v95
	v_and_b32_e32 v101, 0x3030303, v94
	ds_read2_b32 v[94:95], v93 offset0:6 offset1:7
	v_dot4_i32_i8 v98, v100, v1, 0
	v_dot4_i32_i8 v98, v101, v2, v98
	v_add_u32_e32 v90, 32, v90
	s_waitcnt lgkmcnt(0)
	v_ashrrev_i32_e32 v94, s3, v94
	v_and_b32_e32 v102, 0x3030303, v94
	v_ashrrev_i32_e32 v94, s3, v95
	v_and_b32_e32 v95, 0x3030303, v94
	v_add_u32_e32 v94, s18, v70
	ds_read_b32 v103, v103
	ds_read_u16 v104, v94 offset:16896
	v_dot4_i32_i8 v98, v102, v3, v98
	v_dot4_i32_i8 v95, v95, v4, v98
	s_waitcnt lgkmcnt(0)
	v_bfe_u32 v94, v104, 4, 4
	v_mul_lo_u32 v94, v94, s23
	v_dot4_i32_i8 v105, v94, v5, 0
	v_dot4_i32_i8 v97, v94, v6, v105
	;; [unrolled: 1-line block ×4, first 2 shown]
	v_and_b32_e32 v94, 15, v104
	v_mul_lo_u32 v94, v94, v96
	v_lshrrev_b32_sdwa v96, v80, v104 dst_sel:DWORD dst_unused:UNUSED_PAD src0_sel:DWORD src1_sel:BYTE_1
	v_mul_lo_u32 v96, v96, s23
	v_dot4_i32_i8 v97, v96, v1, v97
	v_dot4_i32_i8 v97, v96, v2, v97
	;; [unrolled: 1-line block ×4, first 2 shown]
	v_and_b32_sdwa v97, v104, v81 dst_sel:DWORD dst_unused:UNUSED_PAD src0_sel:BYTE_1 src1_sel:DWORD
	v_mad_u64_u32 v[94:95], s[26:27], v97, v95, v[94:95]
	v_cvt_f32_f16_sdwa v95, v103 dst_sel:DWORD dst_unused:UNUSED_PAD src0_sel:WORD_1
	v_cvt_f32_i32_e32 v96, v96
	v_cvt_f32_i32_e32 v94, v94
	v_mul_f32_e32 v95, v95, v96
	v_fma_mix_f32 v94, v103, v94, -v95 op_sel_hi:[1,0,0]
	v_fmac_f32_e32 v29, v92, v94
	v_add_u32_e32 v94, 0x1080, v93
	ds_read2_b32 v[94:95], v94 offset1:1
	v_add3_u32 v103, s19, v82, v83
	s_waitcnt lgkmcnt(0)
	v_ashrrev_i32_e32 v94, s3, v94
	v_and_b32_e32 v96, 0x3030303, v94
	v_ashrrev_i32_e32 v94, s3, v95
	v_and_b32_e32 v97, 0x3030303, v94
	v_add_u32_e32 v94, 0x1088, v93
	ds_read2_b32 v[94:95], v94 offset1:1
	v_dot4_i32_i8 v96, v96, v5, 0
	v_dot4_i32_i8 v96, v97, v6, v96
	s_waitcnt lgkmcnt(0)
	v_ashrrev_i32_e32 v94, s3, v94
	v_and_b32_e32 v98, 0x3030303, v94
	v_ashrrev_i32_e32 v94, s3, v95
	v_and_b32_e32 v99, 0x3030303, v94
	v_add_u32_e32 v94, 0x1090, v93
	ds_read2_b32 v[94:95], v94 offset1:1
	v_dot4_i32_i8 v96, v98, v7, v96
	v_dot4_i32_i8 v96, v99, v8, v96
	;; [unrolled: 9-line block ×3, first 2 shown]
	s_waitcnt lgkmcnt(0)
	v_ashrrev_i32_e32 v94, s3, v94
	v_and_b32_e32 v102, 0x3030303, v94
	v_ashrrev_i32_e32 v94, s3, v95
	v_and_b32_e32 v95, 0x3030303, v94
	v_add_u32_e32 v94, s18, v72
	ds_read_b32 v103, v103
	ds_read_u16 v104, v94 offset:17920
	v_dot4_i32_i8 v98, v102, v3, v98
	v_dot4_i32_i8 v95, v95, v4, v98
	s_waitcnt lgkmcnt(0)
	v_bfe_u32 v94, v104, 4, 4
	v_mul_lo_u32 v94, v94, s23
	v_dot4_i32_i8 v105, v94, v5, 0
	v_dot4_i32_i8 v97, v94, v6, v105
	v_dot4_i32_i8 v97, v94, v7, v97
	v_dot4_i32_i8 v97, v94, v8, v97
	v_and_b32_e32 v94, 15, v104
	v_mul_lo_u32 v94, v94, v96
	v_lshrrev_b32_sdwa v96, v80, v104 dst_sel:DWORD dst_unused:UNUSED_PAD src0_sel:DWORD src1_sel:BYTE_1
	v_mul_lo_u32 v96, v96, s23
	v_dot4_i32_i8 v97, v96, v1, v97
	v_dot4_i32_i8 v97, v96, v2, v97
	;; [unrolled: 1-line block ×4, first 2 shown]
	v_and_b32_sdwa v97, v104, v81 dst_sel:DWORD dst_unused:UNUSED_PAD src0_sel:BYTE_1 src1_sel:DWORD
	v_mad_u64_u32 v[94:95], s[26:27], v97, v95, v[94:95]
	v_cvt_f32_f16_sdwa v95, v103 dst_sel:DWORD dst_unused:UNUSED_PAD src0_sel:WORD_1
	v_cvt_f32_i32_e32 v96, v96
	v_cvt_f32_i32_e32 v94, v94
	v_mul_f32_e32 v95, v95, v96
	v_fma_mix_f32 v94, v103, v94, -v95 op_sel_hi:[1,0,0]
	v_fmac_f32_e32 v62, v92, v94
	v_add_u32_e32 v94, 0x2100, v93
	ds_read2_b32 v[94:95], v94 offset1:1
	v_add3_u32 v103, s19, v84, v85
	s_waitcnt lgkmcnt(0)
	v_ashrrev_i32_e32 v94, s3, v94
	v_and_b32_e32 v96, 0x3030303, v94
	v_ashrrev_i32_e32 v94, s3, v95
	v_and_b32_e32 v97, 0x3030303, v94
	v_add_u32_e32 v94, 0x2108, v93
	ds_read2_b32 v[94:95], v94 offset1:1
	v_dot4_i32_i8 v96, v96, v5, 0
	v_dot4_i32_i8 v96, v97, v6, v96
	s_waitcnt lgkmcnt(0)
	v_ashrrev_i32_e32 v94, s3, v94
	v_and_b32_e32 v98, 0x3030303, v94
	v_ashrrev_i32_e32 v94, s3, v95
	v_and_b32_e32 v99, 0x3030303, v94
	v_add_u32_e32 v94, 0x2110, v93
	ds_read2_b32 v[94:95], v94 offset1:1
	v_dot4_i32_i8 v96, v98, v7, v96
	v_dot4_i32_i8 v96, v99, v8, v96
	;; [unrolled: 9-line block ×3, first 2 shown]
	v_add_u32_e32 v101, s18, v69
	s_waitcnt lgkmcnt(0)
	v_ashrrev_i32_e32 v94, s3, v94
	v_and_b32_e32 v102, 0x3030303, v94
	v_ashrrev_i32_e32 v94, s3, v95
	v_and_b32_e32 v95, 0x3030303, v94
	v_add_u32_e32 v94, s18, v73
	ds_read_b32 v103, v103
	ds_read_u16 v104, v94 offset:18944
	v_dot4_i32_i8 v98, v102, v3, v98
	v_dot4_i32_i8 v95, v95, v4, v98
	v_add3_u32 v102, s19, v86, v87
	s_waitcnt lgkmcnt(0)
	v_bfe_u32 v94, v104, 4, 4
	v_mul_lo_u32 v94, v94, s23
	v_dot4_i32_i8 v105, v94, v5, 0
	v_dot4_i32_i8 v97, v94, v6, v105
	;; [unrolled: 1-line block ×4, first 2 shown]
	v_and_b32_e32 v94, 15, v104
	v_mul_lo_u32 v94, v94, v96
	v_lshrrev_b32_sdwa v96, v80, v104 dst_sel:DWORD dst_unused:UNUSED_PAD src0_sel:DWORD src1_sel:BYTE_1
	v_mul_lo_u32 v96, v96, s23
	v_dot4_i32_i8 v97, v96, v1, v97
	v_dot4_i32_i8 v97, v96, v2, v97
	;; [unrolled: 1-line block ×4, first 2 shown]
	v_and_b32_sdwa v97, v104, v81 dst_sel:DWORD dst_unused:UNUSED_PAD src0_sel:BYTE_1 src1_sel:DWORD
	v_mad_u64_u32 v[94:95], s[26:27], v97, v95, v[94:95]
	v_cvt_f32_f16_sdwa v95, v103 dst_sel:DWORD dst_unused:UNUSED_PAD src0_sel:WORD_1
	v_cvt_f32_i32_e32 v96, v96
	v_cvt_f32_i32_e32 v94, v94
	v_mul_f32_e32 v95, v95, v96
	v_fma_mix_f32 v94, v103, v94, -v95 op_sel_hi:[1,0,0]
	v_fmac_f32_e32 v59, v92, v94
	v_add_u32_e32 v94, 0x3180, v93
	ds_read2_b32 v[94:95], v94 offset1:1
	s_waitcnt lgkmcnt(0)
	v_ashrrev_i32_e32 v94, s3, v94
	v_and_b32_e32 v96, 0x3030303, v94
	v_ashrrev_i32_e32 v94, s3, v95
	v_and_b32_e32 v97, 0x3030303, v94
	v_add_u32_e32 v94, 0x3188, v93
	ds_read2_b32 v[94:95], v94 offset1:1
	v_dot4_i32_i8 v96, v96, v5, 0
	v_dot4_i32_i8 v96, v97, v6, v96
	s_waitcnt lgkmcnt(0)
	v_ashrrev_i32_e32 v94, s3, v94
	v_and_b32_e32 v98, 0x3030303, v94
	v_ashrrev_i32_e32 v94, s3, v95
	v_and_b32_e32 v99, 0x3030303, v94
	v_add_u32_e32 v94, 0x3190, v93
	ds_read2_b32 v[94:95], v94 offset1:1
	v_add_u32_e32 v93, 0x3198, v93
	s_waitcnt lgkmcnt(0)
	v_ashrrev_i32_e32 v94, s3, v94
	v_and_b32_e32 v100, 0x3030303, v94
	v_ashrrev_i32_e32 v94, s3, v95
	v_and_b32_e32 v95, 0x3030303, v94
	ds_read2_b32 v[93:94], v93 offset1:1
	ds_read_b32 v102, v102
	ds_read_u16 v101, v101 offset:19968
	s_waitcnt lgkmcnt(2)
	v_ashrrev_i32_e32 v93, s3, v93
	s_waitcnt lgkmcnt(0)
	v_bfe_u32 v103, v101, 4, 4
	v_mul_lo_u32 v103, v103, s23
	v_and_b32_e32 v93, 0x3030303, v93
	v_ashrrev_i32_e32 v94, s3, v94
	v_and_b32_e32 v94, 0x3030303, v94
	v_dot4_i32_i8 v5, v103, v5, 0
	v_dot4_i32_i8 v5, v103, v6, v5
	;; [unrolled: 1-line block ×6, first 2 shown]
	v_and_b32_e32 v5, 15, v101
	v_mul_lo_u32 v5, v5, v6
	v_lshrrev_b32_sdwa v6, v80, v101 dst_sel:DWORD dst_unused:UNUSED_PAD src0_sel:DWORD src1_sel:BYTE_1
	v_mul_lo_u32 v6, v6, s23
	v_dot4_i32_i8 v8, v100, v1, 0
	s_add_i32 s3, s2, 2
	s_cmp_lt_u32 s2, 14
	v_dot4_i32_i8 v1, v6, v1, v7
	v_dot4_i32_i8 v7, v95, v2, v8
	;; [unrolled: 1-line block ×7, first 2 shown]
	v_and_b32_sdwa v1, v101, v81 dst_sel:DWORD dst_unused:UNUSED_PAD src0_sel:BYTE_1 src1_sel:DWORD
	v_mad_u64_u32 v[1:2], s[18:19], v1, v2, v[5:6]
	v_cvt_f32_f16_sdwa v2, v102 dst_sel:DWORD dst_unused:UNUSED_PAD src0_sel:WORD_1
	v_cvt_f32_i32_e32 v3, v3
	v_cvt_f32_i32_e32 v1, v1
	s_mov_b32 s2, s3
	v_mul_f32_e32 v2, v2, v3
	v_fma_mix_f32 v1, v102, v1, -v2 op_sel_hi:[1,0,0]
	v_fmac_f32_e32 v25, v92, v1
	s_cbranch_scc1 .LBB228_19
; %bb.20:                               ;   in Loop: Header=BB228_5 Depth=1
	s_or_b32 s2, s24, 0x100
	s_cmp_ge_i32 s2, s9
	s_barrier
	s_cbranch_scc1 .LBB228_4
; %bb.21:                               ;   in Loop: Header=BB228_5 Depth=1
	v_add_u32_e32 v1, s25, v64
	v_cmp_gt_i32_e64 s[2:3], s12, v1
	s_and_b64 s[18:19], s[0:1], s[2:3]
	s_and_saveexec_b64 s[2:3], s[18:19]
	s_cbranch_execz .LBB228_23
; %bb.22:                               ;   in Loop: Header=BB228_5 Depth=1
	v_add_u32_e32 v1, v66, v1
	v_mad_i64_i32 v[1:2], s[18:19], v1, 36, v[26:27]
	global_load_dword v1, v[1:2], off offset:4
	s_waitcnt vmcnt(0)
	ds_write_b32 v58, v1
.LBB228_23:                             ;   in Loop: Header=BB228_5 Depth=1
	s_or_b64 exec, exec, s[2:3]
	s_and_saveexec_b64 s[18:19], vcc
	s_cbranch_execz .LBB228_26
; %bb.24:                               ;   in Loop: Header=BB228_5 Depth=1
	v_or_b32_e32 v1, 8, v89
	v_cmp_gt_i32_e64 s[2:3], s12, v1
	s_and_b64 s[2:3], s[0:1], s[2:3]
	s_and_b64 exec, exec, s[2:3]
	s_cbranch_execz .LBB228_26
; %bb.25:                               ;   in Loop: Header=BB228_5 Depth=1
	v_ashrrev_i32_e32 v1, 31, v89
	v_add_co_u32_e64 v2, s[2:3], v66, v89
	v_addc_co_u32_e64 v3, s[2:3], v68, v1, s[2:3]
	v_mad_u64_u32 v[1:2], s[2:3], v2, 36, s[6:7]
	v_mad_i32_i24 v2, v3, 36, v2
	global_load_dword v1, v[1:2], off offset:288
	s_waitcnt vmcnt(0)
	v_cvt_f32_f16_e32 v1, v1
	ds_write_b32 v61, v1
.LBB228_26:                             ;   in Loop: Header=BB228_5 Depth=1
	s_or_b64 exec, exec, s[18:19]
	s_mov_b32 s2, 16
	v_mov_b32_e32 v90, v57
	v_mov_b32_e32 v91, v60
	s_waitcnt lgkmcnt(0)
	s_barrier
.LBB228_27:                             ;   Parent Loop BB228_5 Depth=1
                                        ; =>  This Inner Loop Header: Depth=2
	s_and_b32 s19, s2, 0x3ffffff8
	v_lshl_add_u32 v93, s19, 2, v67
	ds_read_b32 v92, v91
	ds_read_b128 v[5:8], v90
	ds_read_b128 v[1:4], v90 offset:16
	ds_read2_b32 v[94:95], v93 offset1:1
	s_add_i32 s3, s2, -16
	s_lshr_b32 s19, s2, 2
	s_and_b32 s19, s19, 0x3ffffffc
	s_and_b32 s18, s2, -16
	s_waitcnt lgkmcnt(0)
	v_ashrrev_i32_e32 v94, s3, v94
	v_and_b32_e32 v96, 0x3030303, v94
	v_ashrrev_i32_e32 v94, s3, v95
	v_and_b32_e32 v97, 0x3030303, v94
	ds_read2_b32 v[94:95], v93 offset0:2 offset1:3
	s_addk_i32 s19, 0x5280
	s_add_i32 s18, s2, s18
	v_add3_u32 v103, s19, v88, v79
	v_dot4_i32_i8 v96, v96, v5, 0
	s_waitcnt lgkmcnt(0)
	v_ashrrev_i32_e32 v94, s3, v94
	v_and_b32_e32 v98, 0x3030303, v94
	v_ashrrev_i32_e32 v94, s3, v95
	v_and_b32_e32 v99, 0x3030303, v94
	ds_read2_b32 v[94:95], v93 offset0:4 offset1:5
	v_dot4_i32_i8 v96, v97, v6, v96
	v_dot4_i32_i8 v96, v98, v7, v96
	;; [unrolled: 1-line block ×3, first 2 shown]
	v_add_u32_e32 v91, 4, v91
	s_waitcnt lgkmcnt(0)
	v_ashrrev_i32_e32 v94, s3, v94
	v_and_b32_e32 v100, 0x3030303, v94
	v_ashrrev_i32_e32 v94, s3, v95
	v_and_b32_e32 v101, 0x3030303, v94
	ds_read2_b32 v[94:95], v93 offset0:6 offset1:7
	v_dot4_i32_i8 v98, v100, v1, 0
	v_dot4_i32_i8 v98, v101, v2, v98
	v_add_u32_e32 v90, 32, v90
	s_waitcnt lgkmcnt(0)
	v_ashrrev_i32_e32 v94, s3, v94
	v_and_b32_e32 v102, 0x3030303, v94
	v_ashrrev_i32_e32 v94, s3, v95
	v_and_b32_e32 v95, 0x3030303, v94
	v_add_u32_e32 v94, s18, v70
	ds_read_b32 v103, v103
	ds_read_u16 v104, v94 offset:16880
	v_dot4_i32_i8 v98, v102, v3, v98
	v_dot4_i32_i8 v95, v95, v4, v98
	s_waitcnt lgkmcnt(0)
	v_bfe_u32 v94, v104, 4, 4
	v_mul_lo_u32 v94, v94, s23
	v_dot4_i32_i8 v105, v94, v5, 0
	v_dot4_i32_i8 v97, v94, v6, v105
	;; [unrolled: 1-line block ×4, first 2 shown]
	v_and_b32_e32 v94, 15, v104
	v_mul_lo_u32 v94, v94, v96
	v_lshrrev_b32_sdwa v96, v80, v104 dst_sel:DWORD dst_unused:UNUSED_PAD src0_sel:DWORD src1_sel:BYTE_1
	v_mul_lo_u32 v96, v96, s23
	v_dot4_i32_i8 v97, v96, v1, v97
	v_dot4_i32_i8 v97, v96, v2, v97
	;; [unrolled: 1-line block ×4, first 2 shown]
	v_and_b32_sdwa v97, v104, v81 dst_sel:DWORD dst_unused:UNUSED_PAD src0_sel:BYTE_1 src1_sel:DWORD
	v_mad_u64_u32 v[94:95], s[26:27], v97, v95, v[94:95]
	v_cvt_f32_f16_sdwa v95, v103 dst_sel:DWORD dst_unused:UNUSED_PAD src0_sel:WORD_1
	v_cvt_f32_i32_e32 v96, v96
	v_cvt_f32_i32_e32 v94, v94
	v_mul_f32_e32 v95, v95, v96
	v_fma_mix_f32 v94, v103, v94, -v95 op_sel_hi:[1,0,0]
	v_fmac_f32_e32 v29, v92, v94
	v_add_u32_e32 v94, 0x1080, v93
	ds_read2_b32 v[94:95], v94 offset1:1
	v_add3_u32 v103, s19, v82, v83
	s_waitcnt lgkmcnt(0)
	v_ashrrev_i32_e32 v94, s3, v94
	v_and_b32_e32 v96, 0x3030303, v94
	v_ashrrev_i32_e32 v94, s3, v95
	v_and_b32_e32 v97, 0x3030303, v94
	v_add_u32_e32 v94, 0x1088, v93
	ds_read2_b32 v[94:95], v94 offset1:1
	v_dot4_i32_i8 v96, v96, v5, 0
	v_dot4_i32_i8 v96, v97, v6, v96
	s_waitcnt lgkmcnt(0)
	v_ashrrev_i32_e32 v94, s3, v94
	v_and_b32_e32 v98, 0x3030303, v94
	v_ashrrev_i32_e32 v94, s3, v95
	v_and_b32_e32 v99, 0x3030303, v94
	v_add_u32_e32 v94, 0x1090, v93
	ds_read2_b32 v[94:95], v94 offset1:1
	v_dot4_i32_i8 v96, v98, v7, v96
	v_dot4_i32_i8 v96, v99, v8, v96
	s_waitcnt lgkmcnt(0)
	v_ashrrev_i32_e32 v94, s3, v94
	v_and_b32_e32 v100, 0x3030303, v94
	v_ashrrev_i32_e32 v94, s3, v95
	v_and_b32_e32 v101, 0x3030303, v94
	v_add_u32_e32 v94, 0x1098, v93
	ds_read2_b32 v[94:95], v94 offset1:1
	v_dot4_i32_i8 v98, v100, v1, 0
	v_dot4_i32_i8 v98, v101, v2, v98
	s_waitcnt lgkmcnt(0)
	v_ashrrev_i32_e32 v94, s3, v94
	v_and_b32_e32 v102, 0x3030303, v94
	v_ashrrev_i32_e32 v94, s3, v95
	v_and_b32_e32 v95, 0x3030303, v94
	v_add_u32_e32 v94, s18, v72
	ds_read_b32 v103, v103
	ds_read_u16 v104, v94 offset:17904
	v_dot4_i32_i8 v98, v102, v3, v98
	v_dot4_i32_i8 v95, v95, v4, v98
	s_waitcnt lgkmcnt(0)
	v_bfe_u32 v94, v104, 4, 4
	v_mul_lo_u32 v94, v94, s23
	v_dot4_i32_i8 v105, v94, v5, 0
	v_dot4_i32_i8 v97, v94, v6, v105
	;; [unrolled: 1-line block ×4, first 2 shown]
	v_and_b32_e32 v94, 15, v104
	v_mul_lo_u32 v94, v94, v96
	v_lshrrev_b32_sdwa v96, v80, v104 dst_sel:DWORD dst_unused:UNUSED_PAD src0_sel:DWORD src1_sel:BYTE_1
	v_mul_lo_u32 v96, v96, s23
	v_dot4_i32_i8 v97, v96, v1, v97
	v_dot4_i32_i8 v97, v96, v2, v97
	;; [unrolled: 1-line block ×4, first 2 shown]
	v_and_b32_sdwa v97, v104, v81 dst_sel:DWORD dst_unused:UNUSED_PAD src0_sel:BYTE_1 src1_sel:DWORD
	v_mad_u64_u32 v[94:95], s[26:27], v97, v95, v[94:95]
	v_cvt_f32_f16_sdwa v95, v103 dst_sel:DWORD dst_unused:UNUSED_PAD src0_sel:WORD_1
	v_cvt_f32_i32_e32 v96, v96
	v_cvt_f32_i32_e32 v94, v94
	v_mul_f32_e32 v95, v95, v96
	v_fma_mix_f32 v94, v103, v94, -v95 op_sel_hi:[1,0,0]
	v_fmac_f32_e32 v62, v92, v94
	v_add_u32_e32 v94, 0x2100, v93
	ds_read2_b32 v[94:95], v94 offset1:1
	v_add3_u32 v103, s19, v84, v85
	s_waitcnt lgkmcnt(0)
	v_ashrrev_i32_e32 v94, s3, v94
	v_and_b32_e32 v96, 0x3030303, v94
	v_ashrrev_i32_e32 v94, s3, v95
	v_and_b32_e32 v97, 0x3030303, v94
	v_add_u32_e32 v94, 0x2108, v93
	ds_read2_b32 v[94:95], v94 offset1:1
	v_dot4_i32_i8 v96, v96, v5, 0
	v_dot4_i32_i8 v96, v97, v6, v96
	s_waitcnt lgkmcnt(0)
	v_ashrrev_i32_e32 v94, s3, v94
	v_and_b32_e32 v98, 0x3030303, v94
	v_ashrrev_i32_e32 v94, s3, v95
	v_and_b32_e32 v99, 0x3030303, v94
	v_add_u32_e32 v94, 0x2110, v93
	ds_read2_b32 v[94:95], v94 offset1:1
	v_dot4_i32_i8 v96, v98, v7, v96
	v_dot4_i32_i8 v96, v99, v8, v96
	;; [unrolled: 9-line block ×3, first 2 shown]
	v_add_u32_e32 v101, s18, v69
	s_waitcnt lgkmcnt(0)
	v_ashrrev_i32_e32 v94, s3, v94
	v_and_b32_e32 v102, 0x3030303, v94
	v_ashrrev_i32_e32 v94, s3, v95
	v_and_b32_e32 v95, 0x3030303, v94
	v_add_u32_e32 v94, s18, v73
	ds_read_b32 v103, v103
	ds_read_u16 v104, v94 offset:18928
	v_dot4_i32_i8 v98, v102, v3, v98
	v_dot4_i32_i8 v95, v95, v4, v98
	v_add3_u32 v102, s19, v86, v87
	s_waitcnt lgkmcnt(0)
	v_bfe_u32 v94, v104, 4, 4
	v_mul_lo_u32 v94, v94, s23
	v_dot4_i32_i8 v105, v94, v5, 0
	v_dot4_i32_i8 v97, v94, v6, v105
	;; [unrolled: 1-line block ×4, first 2 shown]
	v_and_b32_e32 v94, 15, v104
	v_mul_lo_u32 v94, v94, v96
	v_lshrrev_b32_sdwa v96, v80, v104 dst_sel:DWORD dst_unused:UNUSED_PAD src0_sel:DWORD src1_sel:BYTE_1
	v_mul_lo_u32 v96, v96, s23
	v_dot4_i32_i8 v97, v96, v1, v97
	v_dot4_i32_i8 v97, v96, v2, v97
	;; [unrolled: 1-line block ×4, first 2 shown]
	v_and_b32_sdwa v97, v104, v81 dst_sel:DWORD dst_unused:UNUSED_PAD src0_sel:BYTE_1 src1_sel:DWORD
	v_mad_u64_u32 v[94:95], s[26:27], v97, v95, v[94:95]
	v_cvt_f32_f16_sdwa v95, v103 dst_sel:DWORD dst_unused:UNUSED_PAD src0_sel:WORD_1
	v_cvt_f32_i32_e32 v96, v96
	v_cvt_f32_i32_e32 v94, v94
	v_mul_f32_e32 v95, v95, v96
	v_fma_mix_f32 v94, v103, v94, -v95 op_sel_hi:[1,0,0]
	v_fmac_f32_e32 v59, v92, v94
	v_add_u32_e32 v94, 0x3180, v93
	ds_read2_b32 v[94:95], v94 offset1:1
	s_waitcnt lgkmcnt(0)
	v_ashrrev_i32_e32 v94, s3, v94
	v_and_b32_e32 v96, 0x3030303, v94
	v_ashrrev_i32_e32 v94, s3, v95
	v_and_b32_e32 v97, 0x3030303, v94
	v_add_u32_e32 v94, 0x3188, v93
	ds_read2_b32 v[94:95], v94 offset1:1
	v_dot4_i32_i8 v96, v96, v5, 0
	v_dot4_i32_i8 v96, v97, v6, v96
	s_waitcnt lgkmcnt(0)
	v_ashrrev_i32_e32 v94, s3, v94
	v_and_b32_e32 v98, 0x3030303, v94
	v_ashrrev_i32_e32 v94, s3, v95
	v_and_b32_e32 v99, 0x3030303, v94
	v_add_u32_e32 v94, 0x3190, v93
	ds_read2_b32 v[94:95], v94 offset1:1
	v_add_u32_e32 v93, 0x3198, v93
	s_waitcnt lgkmcnt(0)
	v_ashrrev_i32_e32 v94, s3, v94
	v_and_b32_e32 v100, 0x3030303, v94
	v_ashrrev_i32_e32 v94, s3, v95
	v_and_b32_e32 v95, 0x3030303, v94
	ds_read2_b32 v[93:94], v93 offset1:1
	ds_read_b32 v102, v102
	ds_read_u16 v101, v101 offset:19952
	s_waitcnt lgkmcnt(2)
	v_ashrrev_i32_e32 v93, s3, v93
	s_waitcnt lgkmcnt(0)
	v_bfe_u32 v103, v101, 4, 4
	v_mul_lo_u32 v103, v103, s23
	v_and_b32_e32 v93, 0x3030303, v93
	v_ashrrev_i32_e32 v94, s3, v94
	v_and_b32_e32 v94, 0x3030303, v94
	v_dot4_i32_i8 v5, v103, v5, 0
	v_dot4_i32_i8 v5, v103, v6, v5
	;; [unrolled: 1-line block ×6, first 2 shown]
	v_and_b32_e32 v5, 15, v101
	v_mul_lo_u32 v5, v5, v6
	v_lshrrev_b32_sdwa v6, v80, v101 dst_sel:DWORD dst_unused:UNUSED_PAD src0_sel:DWORD src1_sel:BYTE_1
	v_mul_lo_u32 v6, v6, s23
	v_dot4_i32_i8 v8, v100, v1, 0
	s_add_i32 s3, s2, 2
	s_cmp_lt_u32 s2, 22
	v_dot4_i32_i8 v1, v6, v1, v7
	v_dot4_i32_i8 v7, v95, v2, v8
	;; [unrolled: 1-line block ×7, first 2 shown]
	v_and_b32_sdwa v1, v101, v81 dst_sel:DWORD dst_unused:UNUSED_PAD src0_sel:BYTE_1 src1_sel:DWORD
	v_mad_u64_u32 v[1:2], s[18:19], v1, v2, v[5:6]
	v_cvt_f32_f16_sdwa v2, v102 dst_sel:DWORD dst_unused:UNUSED_PAD src0_sel:WORD_1
	v_cvt_f32_i32_e32 v3, v3
	v_cvt_f32_i32_e32 v1, v1
	s_mov_b32 s2, s3
	v_mul_f32_e32 v2, v2, v3
	v_fma_mix_f32 v1, v102, v1, -v2 op_sel_hi:[1,0,0]
	v_fmac_f32_e32 v25, v92, v1
	s_cbranch_scc1 .LBB228_27
; %bb.28:                               ;   in Loop: Header=BB228_5 Depth=1
	s_or_b32 s2, s24, 0x180
	s_cmp_ge_i32 s2, s9
	s_barrier
	s_cbranch_scc1 .LBB228_4
; %bb.29:                               ;   in Loop: Header=BB228_5 Depth=1
	v_add_u32_e32 v1, s25, v65
	v_cmp_gt_i32_e64 s[2:3], s12, v1
	s_and_b64 s[18:19], s[0:1], s[2:3]
	s_and_saveexec_b64 s[2:3], s[18:19]
	s_cbranch_execz .LBB228_31
; %bb.30:                               ;   in Loop: Header=BB228_5 Depth=1
	v_add_u32_e32 v1, v66, v1
	v_mad_i64_i32 v[1:2], s[18:19], v1, 36, v[26:27]
	global_load_dword v1, v[1:2], off offset:4
	s_waitcnt vmcnt(0)
	ds_write_b32 v58, v1
.LBB228_31:                             ;   in Loop: Header=BB228_5 Depth=1
	s_or_b64 exec, exec, s[2:3]
	s_and_saveexec_b64 s[18:19], vcc
	s_cbranch_execz .LBB228_34
; %bb.32:                               ;   in Loop: Header=BB228_5 Depth=1
	v_or_b32_e32 v1, 12, v89
	v_cmp_gt_i32_e64 s[2:3], s12, v1
	s_and_b64 s[2:3], s[0:1], s[2:3]
	s_and_b64 exec, exec, s[2:3]
	s_cbranch_execz .LBB228_34
; %bb.33:                               ;   in Loop: Header=BB228_5 Depth=1
	v_ashrrev_i32_e32 v1, 31, v89
	v_add_co_u32_e64 v2, s[2:3], v66, v89
	v_addc_co_u32_e64 v3, s[2:3], v68, v1, s[2:3]
	v_mad_u64_u32 v[1:2], s[2:3], v2, 36, s[6:7]
	v_mad_i32_i24 v2, v3, 36, v2
	global_load_dword v1, v[1:2], off offset:432
	s_waitcnt vmcnt(0)
	v_cvt_f32_f16_e32 v1, v1
	ds_write_b32 v61, v1
.LBB228_34:                             ;   in Loop: Header=BB228_5 Depth=1
	s_or_b64 exec, exec, s[18:19]
	s_mov_b32 s2, 24
	v_mov_b32_e32 v89, v57
	v_mov_b32_e32 v90, v60
	s_waitcnt lgkmcnt(0)
	s_barrier
.LBB228_35:                             ;   Parent Loop BB228_5 Depth=1
                                        ; =>  This Inner Loop Header: Depth=2
	s_and_b32 s19, s2, 0x3ffffff8
	v_lshl_add_u32 v92, s19, 2, v67
	ds_read_b32 v91, v90
	ds_read_b128 v[5:8], v89
	ds_read_b128 v[1:4], v89 offset:16
	ds_read2_b32 v[93:94], v92 offset1:1
	s_sub_i32 s3, s2, 24
	s_lshr_b32 s19, s2, 2
	s_and_b32 s19, s19, 0x3ffffffc
	s_and_b32 s18, s2, -16
	s_waitcnt lgkmcnt(0)
	v_ashrrev_i32_e32 v93, s3, v93
	v_and_b32_e32 v95, 0x3030303, v93
	v_ashrrev_i32_e32 v93, s3, v94
	v_and_b32_e32 v96, 0x3030303, v93
	ds_read2_b32 v[93:94], v92 offset0:2 offset1:3
	s_addk_i32 s19, 0x5280
	s_add_i32 s18, s2, s18
	v_add3_u32 v102, s19, v88, v79
	v_dot4_i32_i8 v95, v95, v5, 0
	s_waitcnt lgkmcnt(0)
	v_ashrrev_i32_e32 v93, s3, v93
	v_and_b32_e32 v97, 0x3030303, v93
	v_ashrrev_i32_e32 v93, s3, v94
	v_and_b32_e32 v98, 0x3030303, v93
	ds_read2_b32 v[93:94], v92 offset0:4 offset1:5
	v_dot4_i32_i8 v95, v96, v6, v95
	v_dot4_i32_i8 v95, v97, v7, v95
	v_dot4_i32_i8 v95, v98, v8, v95
	v_add_u32_e32 v90, 4, v90
	s_waitcnt lgkmcnt(0)
	v_ashrrev_i32_e32 v93, s3, v93
	v_and_b32_e32 v99, 0x3030303, v93
	v_ashrrev_i32_e32 v93, s3, v94
	v_and_b32_e32 v100, 0x3030303, v93
	ds_read2_b32 v[93:94], v92 offset0:6 offset1:7
	v_dot4_i32_i8 v97, v99, v1, 0
	v_dot4_i32_i8 v97, v100, v2, v97
	v_add_u32_e32 v89, 32, v89
	s_waitcnt lgkmcnt(0)
	v_ashrrev_i32_e32 v93, s3, v93
	v_and_b32_e32 v101, 0x3030303, v93
	v_ashrrev_i32_e32 v93, s3, v94
	v_and_b32_e32 v94, 0x3030303, v93
	v_add_u32_e32 v93, s18, v70
	ds_read_b32 v102, v102
	ds_read_u16 v103, v93 offset:16880
	v_dot4_i32_i8 v97, v101, v3, v97
	v_dot4_i32_i8 v94, v94, v4, v97
	s_waitcnt lgkmcnt(0)
	v_bfe_u32 v93, v103, 4, 4
	v_mul_lo_u32 v93, v93, s23
	v_dot4_i32_i8 v104, v93, v5, 0
	v_dot4_i32_i8 v96, v93, v6, v104
	;; [unrolled: 1-line block ×4, first 2 shown]
	v_and_b32_e32 v93, 15, v103
	v_mul_lo_u32 v93, v93, v95
	v_lshrrev_b32_sdwa v95, v80, v103 dst_sel:DWORD dst_unused:UNUSED_PAD src0_sel:DWORD src1_sel:BYTE_1
	v_mul_lo_u32 v95, v95, s23
	v_dot4_i32_i8 v96, v95, v1, v96
	v_dot4_i32_i8 v96, v95, v2, v96
	;; [unrolled: 1-line block ×4, first 2 shown]
	v_and_b32_sdwa v96, v103, v81 dst_sel:DWORD dst_unused:UNUSED_PAD src0_sel:BYTE_1 src1_sel:DWORD
	v_mad_u64_u32 v[93:94], s[24:25], v96, v94, v[93:94]
	v_cvt_f32_f16_sdwa v94, v102 dst_sel:DWORD dst_unused:UNUSED_PAD src0_sel:WORD_1
	v_cvt_f32_i32_e32 v95, v95
	v_cvt_f32_i32_e32 v93, v93
	v_mul_f32_e32 v94, v94, v95
	v_fma_mix_f32 v93, v102, v93, -v94 op_sel_hi:[1,0,0]
	v_fmac_f32_e32 v29, v91, v93
	v_add_u32_e32 v93, 0x1080, v92
	ds_read2_b32 v[93:94], v93 offset1:1
	v_add3_u32 v102, s19, v82, v83
	s_waitcnt lgkmcnt(0)
	v_ashrrev_i32_e32 v93, s3, v93
	v_and_b32_e32 v95, 0x3030303, v93
	v_ashrrev_i32_e32 v93, s3, v94
	v_and_b32_e32 v96, 0x3030303, v93
	v_add_u32_e32 v93, 0x1088, v92
	ds_read2_b32 v[93:94], v93 offset1:1
	v_dot4_i32_i8 v95, v95, v5, 0
	v_dot4_i32_i8 v95, v96, v6, v95
	s_waitcnt lgkmcnt(0)
	v_ashrrev_i32_e32 v93, s3, v93
	v_and_b32_e32 v97, 0x3030303, v93
	v_ashrrev_i32_e32 v93, s3, v94
	v_and_b32_e32 v98, 0x3030303, v93
	v_add_u32_e32 v93, 0x1090, v92
	ds_read2_b32 v[93:94], v93 offset1:1
	v_dot4_i32_i8 v95, v97, v7, v95
	v_dot4_i32_i8 v95, v98, v8, v95
	;; [unrolled: 9-line block ×3, first 2 shown]
	s_waitcnt lgkmcnt(0)
	v_ashrrev_i32_e32 v93, s3, v93
	v_and_b32_e32 v101, 0x3030303, v93
	v_ashrrev_i32_e32 v93, s3, v94
	v_and_b32_e32 v94, 0x3030303, v93
	v_add_u32_e32 v93, s18, v72
	ds_read_b32 v102, v102
	ds_read_u16 v103, v93 offset:17904
	v_dot4_i32_i8 v97, v101, v3, v97
	v_dot4_i32_i8 v94, v94, v4, v97
	s_waitcnt lgkmcnt(0)
	v_bfe_u32 v93, v103, 4, 4
	v_mul_lo_u32 v93, v93, s23
	v_dot4_i32_i8 v104, v93, v5, 0
	v_dot4_i32_i8 v96, v93, v6, v104
	;; [unrolled: 1-line block ×4, first 2 shown]
	v_and_b32_e32 v93, 15, v103
	v_mul_lo_u32 v93, v93, v95
	v_lshrrev_b32_sdwa v95, v80, v103 dst_sel:DWORD dst_unused:UNUSED_PAD src0_sel:DWORD src1_sel:BYTE_1
	v_mul_lo_u32 v95, v95, s23
	v_dot4_i32_i8 v96, v95, v1, v96
	v_dot4_i32_i8 v96, v95, v2, v96
	;; [unrolled: 1-line block ×4, first 2 shown]
	v_and_b32_sdwa v96, v103, v81 dst_sel:DWORD dst_unused:UNUSED_PAD src0_sel:BYTE_1 src1_sel:DWORD
	v_mad_u64_u32 v[93:94], s[24:25], v96, v94, v[93:94]
	v_cvt_f32_f16_sdwa v94, v102 dst_sel:DWORD dst_unused:UNUSED_PAD src0_sel:WORD_1
	v_cvt_f32_i32_e32 v95, v95
	v_cvt_f32_i32_e32 v93, v93
	v_mul_f32_e32 v94, v94, v95
	v_fma_mix_f32 v93, v102, v93, -v94 op_sel_hi:[1,0,0]
	v_fmac_f32_e32 v62, v91, v93
	v_add_u32_e32 v93, 0x2100, v92
	ds_read2_b32 v[93:94], v93 offset1:1
	v_add3_u32 v102, s19, v84, v85
	s_waitcnt lgkmcnt(0)
	v_ashrrev_i32_e32 v93, s3, v93
	v_and_b32_e32 v95, 0x3030303, v93
	v_ashrrev_i32_e32 v93, s3, v94
	v_and_b32_e32 v96, 0x3030303, v93
	v_add_u32_e32 v93, 0x2108, v92
	ds_read2_b32 v[93:94], v93 offset1:1
	v_dot4_i32_i8 v95, v95, v5, 0
	v_dot4_i32_i8 v95, v96, v6, v95
	s_waitcnt lgkmcnt(0)
	v_ashrrev_i32_e32 v93, s3, v93
	v_and_b32_e32 v97, 0x3030303, v93
	v_ashrrev_i32_e32 v93, s3, v94
	v_and_b32_e32 v98, 0x3030303, v93
	v_add_u32_e32 v93, 0x2110, v92
	ds_read2_b32 v[93:94], v93 offset1:1
	v_dot4_i32_i8 v95, v97, v7, v95
	v_dot4_i32_i8 v95, v98, v8, v95
	;; [unrolled: 9-line block ×3, first 2 shown]
	v_add_u32_e32 v100, s18, v69
	s_waitcnt lgkmcnt(0)
	v_ashrrev_i32_e32 v93, s3, v93
	v_and_b32_e32 v101, 0x3030303, v93
	v_ashrrev_i32_e32 v93, s3, v94
	v_and_b32_e32 v94, 0x3030303, v93
	v_add_u32_e32 v93, s18, v73
	ds_read_b32 v102, v102
	ds_read_u16 v103, v93 offset:18928
	v_dot4_i32_i8 v97, v101, v3, v97
	v_dot4_i32_i8 v94, v94, v4, v97
	v_add3_u32 v101, s19, v86, v87
	s_waitcnt lgkmcnt(0)
	v_bfe_u32 v93, v103, 4, 4
	v_mul_lo_u32 v93, v93, s23
	v_dot4_i32_i8 v104, v93, v5, 0
	v_dot4_i32_i8 v96, v93, v6, v104
	;; [unrolled: 1-line block ×4, first 2 shown]
	v_and_b32_e32 v93, 15, v103
	v_mul_lo_u32 v93, v93, v95
	v_lshrrev_b32_sdwa v95, v80, v103 dst_sel:DWORD dst_unused:UNUSED_PAD src0_sel:DWORD src1_sel:BYTE_1
	v_mul_lo_u32 v95, v95, s23
	v_dot4_i32_i8 v96, v95, v1, v96
	v_dot4_i32_i8 v96, v95, v2, v96
	;; [unrolled: 1-line block ×4, first 2 shown]
	v_and_b32_sdwa v96, v103, v81 dst_sel:DWORD dst_unused:UNUSED_PAD src0_sel:BYTE_1 src1_sel:DWORD
	v_mad_u64_u32 v[93:94], s[24:25], v96, v94, v[93:94]
	v_cvt_f32_f16_sdwa v94, v102 dst_sel:DWORD dst_unused:UNUSED_PAD src0_sel:WORD_1
	v_cvt_f32_i32_e32 v95, v95
	v_cvt_f32_i32_e32 v93, v93
	v_mul_f32_e32 v94, v94, v95
	v_fma_mix_f32 v93, v102, v93, -v94 op_sel_hi:[1,0,0]
	v_fmac_f32_e32 v59, v91, v93
	v_add_u32_e32 v93, 0x3180, v92
	ds_read2_b32 v[93:94], v93 offset1:1
	s_waitcnt lgkmcnt(0)
	v_ashrrev_i32_e32 v93, s3, v93
	v_and_b32_e32 v95, 0x3030303, v93
	v_ashrrev_i32_e32 v93, s3, v94
	v_and_b32_e32 v96, 0x3030303, v93
	v_add_u32_e32 v93, 0x3188, v92
	ds_read2_b32 v[93:94], v93 offset1:1
	v_dot4_i32_i8 v95, v95, v5, 0
	v_dot4_i32_i8 v95, v96, v6, v95
	s_waitcnt lgkmcnt(0)
	v_ashrrev_i32_e32 v93, s3, v93
	v_and_b32_e32 v97, 0x3030303, v93
	v_ashrrev_i32_e32 v93, s3, v94
	v_and_b32_e32 v98, 0x3030303, v93
	v_add_u32_e32 v93, 0x3190, v92
	ds_read2_b32 v[93:94], v93 offset1:1
	v_add_u32_e32 v92, 0x3198, v92
	s_waitcnt lgkmcnt(0)
	v_ashrrev_i32_e32 v93, s3, v93
	v_and_b32_e32 v99, 0x3030303, v93
	v_ashrrev_i32_e32 v93, s3, v94
	v_and_b32_e32 v94, 0x3030303, v93
	ds_read2_b32 v[92:93], v92 offset1:1
	ds_read_b32 v101, v101
	ds_read_u16 v100, v100 offset:19952
	s_waitcnt lgkmcnt(2)
	v_ashrrev_i32_e32 v92, s3, v92
	s_waitcnt lgkmcnt(0)
	v_bfe_u32 v102, v100, 4, 4
	v_mul_lo_u32 v102, v102, s23
	v_and_b32_e32 v92, 0x3030303, v92
	v_ashrrev_i32_e32 v93, s3, v93
	v_and_b32_e32 v93, 0x3030303, v93
	v_dot4_i32_i8 v5, v102, v5, 0
	v_dot4_i32_i8 v5, v102, v6, v5
	;; [unrolled: 1-line block ×6, first 2 shown]
	v_and_b32_e32 v5, 15, v100
	v_mul_lo_u32 v5, v5, v6
	v_lshrrev_b32_sdwa v6, v80, v100 dst_sel:DWORD dst_unused:UNUSED_PAD src0_sel:DWORD src1_sel:BYTE_1
	v_mul_lo_u32 v6, v6, s23
	v_dot4_i32_i8 v8, v99, v1, 0
	s_add_i32 s3, s2, 2
	s_cmp_lt_u32 s2, 30
	v_dot4_i32_i8 v1, v6, v1, v7
	v_dot4_i32_i8 v7, v94, v2, v8
	;; [unrolled: 1-line block ×7, first 2 shown]
	v_and_b32_sdwa v1, v100, v81 dst_sel:DWORD dst_unused:UNUSED_PAD src0_sel:BYTE_1 src1_sel:DWORD
	v_mad_u64_u32 v[1:2], s[18:19], v1, v2, v[5:6]
	v_cvt_f32_f16_sdwa v2, v101 dst_sel:DWORD dst_unused:UNUSED_PAD src0_sel:WORD_1
	v_cvt_f32_i32_e32 v3, v3
	v_cvt_f32_i32_e32 v1, v1
	s_mov_b32 s2, s3
	v_mul_f32_e32 v2, v2, v3
	v_fma_mix_f32 v1, v101, v1, -v2 op_sel_hi:[1,0,0]
	v_fmac_f32_e32 v25, v91, v1
	s_cbranch_scc1 .LBB228_35
; %bb.36:                               ;   in Loop: Header=BB228_5 Depth=1
	s_barrier
	s_branch .LBB228_4
.LBB228_37:
	s_mul_i32 s0, s14, s11
	s_waitcnt vmcnt(0)
	v_cmp_gt_i32_e32 vcc, s0, v28
	s_and_saveexec_b64 s[0:1], vcc
	s_cbranch_execz .LBB228_46
; %bb.38:
	v_mul_lo_u32 v1, v28, s13
	v_add_u32_e32 v0, s15, v0
	v_cmp_gt_u32_e32 vcc, s13, v0
	s_and_saveexec_b64 s[0:1], vcc
	s_cbranch_execz .LBB228_40
; %bb.39:
	v_bfe_u32 v2, v29, 16, 1
	s_movk_i32 s2, 0x7fff
	v_add3_u32 v2, v29, v2, s2
	v_cmp_o_f32_e32 vcc, v29, v29
	v_mov_b32_e32 v3, 0x7fc0
	v_cndmask_b32_sdwa v4, v3, v2, vcc dst_sel:DWORD dst_unused:UNUSED_PAD src0_sel:DWORD src1_sel:WORD_1
	v_add_u32_e32 v2, v1, v0
	v_mov_b32_e32 v3, 0
	v_lshlrev_b64 v[2:3], 1, v[2:3]
	v_mov_b32_e32 v5, s17
	v_add_co_u32_e32 v2, vcc, s16, v2
	v_addc_co_u32_e32 v3, vcc, v5, v3, vcc
	global_store_short v[2:3], v4, off
.LBB228_40:
	s_or_b64 exec, exec, s[0:1]
	v_add_u32_e32 v2, 32, v0
	v_cmp_gt_u32_e32 vcc, s13, v2
	s_and_saveexec_b64 s[0:1], vcc
	s_cbranch_execz .LBB228_42
; %bb.41:
	v_bfe_u32 v3, v62, 16, 1
	s_movk_i32 s2, 0x7fff
	v_add3_u32 v3, v62, v3, s2
	v_cmp_o_f32_e32 vcc, v62, v62
	v_mov_b32_e32 v4, 0x7fc0
	v_cndmask_b32_sdwa v4, v4, v3, vcc dst_sel:DWORD dst_unused:UNUSED_PAD src0_sel:DWORD src1_sel:WORD_1
	v_add_u32_e32 v2, v1, v2
	v_mov_b32_e32 v3, 0
	v_lshlrev_b64 v[2:3], 1, v[2:3]
	v_mov_b32_e32 v5, s17
	v_add_co_u32_e32 v2, vcc, s16, v2
	v_addc_co_u32_e32 v3, vcc, v5, v3, vcc
	global_store_short v[2:3], v4, off
.LBB228_42:
	s_or_b64 exec, exec, s[0:1]
	;; [unrolled: 20-line block ×3, first 2 shown]
	v_add_u32_e32 v0, 0x60, v0
	v_cmp_gt_u32_e32 vcc, s13, v0
	s_and_b64 exec, exec, vcc
	s_cbranch_execz .LBB228_46
; %bb.45:
	v_add_u32_e32 v0, v1, v0
	v_mov_b32_e32 v1, 0
	v_bfe_u32 v2, v25, 16, 1
	s_movk_i32 s0, 0x7fff
	v_lshlrev_b64 v[0:1], 1, v[0:1]
	v_add3_u32 v2, v25, v2, s0
	v_cmp_o_f32_e32 vcc, v25, v25
	v_mov_b32_e32 v3, 0x7fc0
	v_cndmask_b32_sdwa v2, v3, v2, vcc dst_sel:DWORD dst_unused:UNUSED_PAD src0_sel:DWORD src1_sel:WORD_1
	v_mov_b32_e32 v3, s17
	v_add_co_u32_e32 v0, vcc, s16, v0
	v_addc_co_u32_e32 v1, vcc, v3, v1, vcc
	global_store_short v[0:1], v2, off
.LBB228_46:
	s_endpgm
	.section	.rodata,"a",@progbits
	.p2align	6, 0x0
	.amdhsa_kernel _ZL8moe_q2_KIN3c108BFloat16ELb1EEvPKvS3_PT_PKiS7_S7_iiiiiii
		.amdhsa_group_segment_fixed_size 23328
		.amdhsa_private_segment_fixed_size 0
		.amdhsa_kernarg_size 76
		.amdhsa_user_sgpr_count 6
		.amdhsa_user_sgpr_private_segment_buffer 1
		.amdhsa_user_sgpr_dispatch_ptr 0
		.amdhsa_user_sgpr_queue_ptr 0
		.amdhsa_user_sgpr_kernarg_segment_ptr 1
		.amdhsa_user_sgpr_dispatch_id 0
		.amdhsa_user_sgpr_flat_scratch_init 0
		.amdhsa_user_sgpr_private_segment_size 0
		.amdhsa_uses_dynamic_stack 0
		.amdhsa_system_sgpr_private_segment_wavefront_offset 0
		.amdhsa_system_sgpr_workgroup_id_x 1
		.amdhsa_system_sgpr_workgroup_id_y 1
		.amdhsa_system_sgpr_workgroup_id_z 0
		.amdhsa_system_sgpr_workgroup_info 0
		.amdhsa_system_vgpr_workitem_id 1
		.amdhsa_next_free_vgpr 109
		.amdhsa_next_free_sgpr 98
		.amdhsa_reserve_vcc 1
		.amdhsa_reserve_flat_scratch 0
		.amdhsa_float_round_mode_32 0
		.amdhsa_float_round_mode_16_64 0
		.amdhsa_float_denorm_mode_32 3
		.amdhsa_float_denorm_mode_16_64 3
		.amdhsa_dx10_clamp 1
		.amdhsa_ieee_mode 1
		.amdhsa_fp16_overflow 0
		.amdhsa_exception_fp_ieee_invalid_op 0
		.amdhsa_exception_fp_denorm_src 0
		.amdhsa_exception_fp_ieee_div_zero 0
		.amdhsa_exception_fp_ieee_overflow 0
		.amdhsa_exception_fp_ieee_underflow 0
		.amdhsa_exception_fp_ieee_inexact 0
		.amdhsa_exception_int_div_zero 0
	.end_amdhsa_kernel
	.section	.text._ZL8moe_q2_KIN3c108BFloat16ELb1EEvPKvS3_PT_PKiS7_S7_iiiiiii,"axG",@progbits,_ZL8moe_q2_KIN3c108BFloat16ELb1EEvPKvS3_PT_PKiS7_S7_iiiiiii,comdat
.Lfunc_end228:
	.size	_ZL8moe_q2_KIN3c108BFloat16ELb1EEvPKvS3_PT_PKiS7_S7_iiiiiii, .Lfunc_end228-_ZL8moe_q2_KIN3c108BFloat16ELb1EEvPKvS3_PT_PKiS7_S7_iiiiiii
                                        ; -- End function
	.set _ZL8moe_q2_KIN3c108BFloat16ELb1EEvPKvS3_PT_PKiS7_S7_iiiiiii.num_vgpr, 109
	.set _ZL8moe_q2_KIN3c108BFloat16ELb1EEvPKvS3_PT_PKiS7_S7_iiiiiii.num_agpr, 0
	.set _ZL8moe_q2_KIN3c108BFloat16ELb1EEvPKvS3_PT_PKiS7_S7_iiiiiii.numbered_sgpr, 28
	.set _ZL8moe_q2_KIN3c108BFloat16ELb1EEvPKvS3_PT_PKiS7_S7_iiiiiii.num_named_barrier, 0
	.set _ZL8moe_q2_KIN3c108BFloat16ELb1EEvPKvS3_PT_PKiS7_S7_iiiiiii.private_seg_size, 0
	.set _ZL8moe_q2_KIN3c108BFloat16ELb1EEvPKvS3_PT_PKiS7_S7_iiiiiii.uses_vcc, 1
	.set _ZL8moe_q2_KIN3c108BFloat16ELb1EEvPKvS3_PT_PKiS7_S7_iiiiiii.uses_flat_scratch, 0
	.set _ZL8moe_q2_KIN3c108BFloat16ELb1EEvPKvS3_PT_PKiS7_S7_iiiiiii.has_dyn_sized_stack, 0
	.set _ZL8moe_q2_KIN3c108BFloat16ELb1EEvPKvS3_PT_PKiS7_S7_iiiiiii.has_recursion, 0
	.set _ZL8moe_q2_KIN3c108BFloat16ELb1EEvPKvS3_PT_PKiS7_S7_iiiiiii.has_indirect_call, 0
	.section	.AMDGPU.csdata,"",@progbits
; Kernel info:
; codeLenInByte = 10652
; TotalNumSgprs: 32
; NumVgprs: 109
; ScratchSize: 0
; MemoryBound: 0
; FloatMode: 240
; IeeeMode: 1
; LDSByteSize: 23328 bytes/workgroup (compile time only)
; SGPRBlocks: 12
; VGPRBlocks: 27
; NumSGPRsForWavesPerEU: 102
; NumVGPRsForWavesPerEU: 109
; Occupancy: 2
; WaveLimiterHint : 1
; COMPUTE_PGM_RSRC2:SCRATCH_EN: 0
; COMPUTE_PGM_RSRC2:USER_SGPR: 6
; COMPUTE_PGM_RSRC2:TRAP_HANDLER: 0
; COMPUTE_PGM_RSRC2:TGID_X_EN: 1
; COMPUTE_PGM_RSRC2:TGID_Y_EN: 1
; COMPUTE_PGM_RSRC2:TGID_Z_EN: 0
; COMPUTE_PGM_RSRC2:TIDIG_COMP_CNT: 1
	.section	.text._ZL8moe_q3_KIN3c108BFloat16ELb0EEvPKvS3_PT_PKiS7_S7_iiiiiii,"axG",@progbits,_ZL8moe_q3_KIN3c108BFloat16ELb0EEvPKvS3_PT_PKiS7_S7_iiiiiii,comdat
	.globl	_ZL8moe_q3_KIN3c108BFloat16ELb0EEvPKvS3_PT_PKiS7_S7_iiiiiii ; -- Begin function _ZL8moe_q3_KIN3c108BFloat16ELb0EEvPKvS3_PT_PKiS7_S7_iiiiiii
	.p2align	8
	.type	_ZL8moe_q3_KIN3c108BFloat16ELb0EEvPKvS3_PT_PKiS7_S7_iiiiiii,@function
_ZL8moe_q3_KIN3c108BFloat16ELb0EEvPKvS3_PT_PKiS7_S7_iiiiiii: ; @_ZL8moe_q3_KIN3c108BFloat16ELb0EEvPKvS3_PT_PKiS7_S7_iiiiiii
; %bb.0:
	s_load_dwordx4 s[0:3], s[4:5], 0x18
	s_mov_b32 s8, s7
	s_mov_b32 s9, 0
	s_lshl_b64 s[10:11], s[8:9], 2
	s_waitcnt lgkmcnt(0)
	s_add_u32 s2, s2, s10
	s_addc_u32 s3, s3, s11
	s_load_dword s2, s[2:3], 0x0
	s_waitcnt lgkmcnt(0)
	s_cmpk_gt_u32 s2, 0xff
	s_cbranch_scc1 .LBB229_46
; %bb.1:
	s_load_dwordx2 s[10:11], s[4:5], 0x28
	s_lshl_b32 s3, s8, 3
	s_waitcnt lgkmcnt(0)
	s_load_dword s7, s[10:11], 0x0
	s_waitcnt lgkmcnt(0)
	s_cmp_gt_u32 s3, s7
	s_cbranch_scc1 .LBB229_46
; %bb.2:
	v_add_u32_e32 v8, s3, v1
	v_mov_b32_e32 v9, 0
	v_lshlrev_b64 v[2:3], 2, v[8:9]
	v_mov_b32_e32 v4, s1
	v_add_co_u32_e32 v2, vcc, s0, v2
	v_addc_co_u32_e32 v3, vcc, v4, v3, vcc
	global_load_dword v12, v[2:3], off
	s_load_dwordx2 s[14:15], s[4:5], 0x30
	s_load_dwordx2 s[12:13], s[4:5], 0x10
	s_load_dwordx4 s[8:11], s[4:5], 0x3c
	s_lshl_b32 s18, s6, 7
	v_mov_b32_e32 v64, v9
	s_waitcnt lgkmcnt(0)
	s_cmpk_lt_i32 s15, 0x100
	v_mov_b32_e32 v68, v9
	v_mov_b32_e32 v13, v9
	s_cbranch_scc1 .LBB229_37
; %bb.3:
	s_ashr_i32 s0, s15, 31
	s_lshr_b32 s0, s0, 24
	s_load_dwordx4 s[4:7], s[4:5], 0x0
	s_add_i32 s0, s15, s0
	s_ashr_i32 s19, s0, 8
	s_ashr_i32 s0, s9, 31
	s_lshr_b32 s0, s0, 27
	s_add_i32 s0, s9, s0
	s_mul_i32 s2, s2, s14
	s_ashr_i32 s9, s0, 5
	s_ashr_i32 s0, s2, 31
	s_waitcnt lgkmcnt(0)
	s_add_u32 s1, s4, s2
	s_mul_i32 s2, s19, s18
	s_addc_u32 s0, s5, s0
	s_mul_hi_i32 s3, s2, 0x6e
	s_mulk_i32 s2, 0x6e
	s_add_u32 s20, s1, s2
	s_addc_u32 s21, s0, s3
	v_lshlrev_b32_e32 v3, 2, v0
	s_movk_i32 s0, 0x84
	v_mad_u32_u24 v17, v1, s0, v3
	s_lshl_b32 s0, s19, 3
	v_mov_b32_e32 v4, s0
	v_mad_i32_i24 v18, s19, v1, v4
	v_add_u32_e32 v19, s0, v18
	v_add_u32_e32 v20, s0, v19
	;; [unrolled: 1-line block ×11, first 2 shown]
	v_lshlrev_b32_e32 v4, 4, v1
	v_lshrrev_b32_e32 v37, 1, v0
	v_add_u32_e32 v30, s0, v29
	v_and_b32_e32 v36, 1, v0
	v_add_u32_e32 v5, v37, v4
	v_add_u32_e32 v32, s0, v30
	v_and_b32_e32 v6, 0x7f, v5
	v_lshlrev_b32_e32 v7, 2, v36
	v_lshrrev_b32_e32 v5, 2, v5
	v_add_u32_e32 v34, s0, v32
	v_mul_i32_i24_e32 v38, s19, v6
	v_lshl_or_b32 v6, v6, 3, v7
	v_and_b32_e32 v5, 28, v5
	s_movk_i32 s0, 0x7380
	v_lshrrev_b32_e32 v14, 4, v0
	v_add3_u32 v39, v6, v5, s0
	v_lshlrev_b32_e32 v5, 1, v1
	v_add_u32_e32 v6, v14, v5
	v_add_u32_e32 v10, 32, v6
	v_and_b32_e32 v2, 15, v0
	v_lshlrev_b32_e32 v11, 1, v10
	v_lshlrev_b32_e32 v15, 2, v2
	s_movk_i32 s0, 0x4200
	v_and_b32_e32 v11, 0xffc, v11
	v_lshlrev_b32_e32 v68, 6, v10
	v_add_u32_e32 v10, 48, v6
	v_add3_u32 v64, v11, v15, s0
	v_lshlrev_b32_e32 v11, 1, v10
	s_lshl_b32 s1, s19, 4
	v_and_b32_e32 v11, 0xffc, v11
	v_lshlrev_b32_e32 v84, 6, v10
	v_add_u32_e32 v10, 64, v6
	v_mov_b32_e32 v9, s1
	v_add3_u32 v83, v11, v15, s0
	v_lshlrev_b32_e32 v11, 1, v10
	v_mad_i32_i24 v43, s19, v6, v9
	v_and_b32_e32 v11, 0xffc, v11
	v_lshlrev_b32_e32 v86, 6, v10
	v_add_u32_e32 v10, 0x50, v6
	v_add_u32_e32 v44, s1, v43
	v_add3_u32 v85, v11, v15, s0
	v_lshlrev_b32_e32 v11, 1, v10
	v_add_u32_e32 v45, s1, v44
	v_and_b32_e32 v11, 0xffc, v11
	v_lshlrev_b32_e32 v88, 6, v10
	v_add_u32_e32 v10, 0x60, v6
	v_cmp_lt_u32_e32 vcc, 7, v2
	v_and_b32_e32 v2, 7, v0
	v_mul_i32_i24_e32 v42, s19, v6
	v_lshlrev_b32_e32 v7, 6, v6
	v_add_u32_e32 v8, 16, v6
	v_add_u32_e32 v46, s1, v45
	v_add3_u32 v87, v11, v15, s0
	v_lshlrev_b32_e32 v11, 1, v10
	v_add_u32_e32 v6, 0x70, v6
	v_cndmask_b32_e64 v40, 0, 1, vcc
	v_lshlrev_b32_e32 v41, 2, v2
	v_add_u32_e32 v47, s1, v46
	v_and_b32_e32 v11, 0xffc, v11
	v_lshlrev_b32_e32 v90, 6, v10
	v_lshlrev_b32_e32 v10, 1, v6
	v_cmp_lt_u32_e32 vcc, 3, v2
	v_and_b32_e32 v2, 3, v0
	v_add_u32_e32 v48, s1, v47
	v_add3_u32 v89, v11, v15, s0
	v_and_b32_e32 v10, 0xffc, v10
	v_lshrrev_b32_e32 v50, 3, v0
	v_cndmask_b32_e64 v51, 0, 1, vcc
	v_add_u16_e32 v11, -2, v2
	v_cmp_gt_u32_e32 vcc, 2, v2
	v_add_u32_e32 v49, s1, v48
	v_add3_u32 v91, v10, v15, s0
	v_lshl_add_u32 v10, v1, 2, v50
	v_cndmask_b32_e32 v11, v11, v2, vcc
	v_mov_b32_e32 v54, 2
	s_lshl_b32 s1, s19, 5
	v_lshlrev_b32_sdwa v54, v54, v11 dst_sel:DWORD dst_unused:UNUSED_PAD src0_sel:DWORD src1_sel:BYTE_0
	v_add_u32_e32 v11, 32, v10
	v_mov_b32_e32 v57, s1
	v_lshlrev_b32_e32 v55, 1, v2
	v_mul_i32_i24_e32 v56, s19, v10
	v_and_b32_e32 v2, 0x7fc, v10
	v_lshlrev_b32_e32 v92, 5, v10
	v_mad_i32_i24 v57, s19, v10, v57
	v_and_b32_e32 v58, 0xffc, v11
	v_lshlrev_b32_e32 v94, 5, v11
	v_add_u32_e32 v11, 64, v10
	v_add_u32_e32 v10, 0x60, v10
	v_mov_b32_e32 v60, 0x77a0
	v_and_b32_e32 v59, 0xffc, v11
	v_lshlrev_b32_e32 v96, 5, v11
	v_and_b32_e32 v11, 0xffc, v10
	v_lshlrev_b32_e32 v98, 5, v10
	v_and_b32_e32 v10, 31, v0
	v_lshl_add_u32 v60, v1, 7, v60
	s_abs_i32 s2, s11
	v_lshl_add_u32 v61, v10, 2, v60
	v_cvt_f32_u32_e32 v10, s2
	v_add_u16_e32 v5, v14, v5
	v_lshrrev_b16_e32 v5, 1, v5
	v_lshlrev_b32_e32 v9, 1, v8
	v_rcp_iflag_f32_e32 v10, v10
	v_lshlrev_b32_e32 v5, 2, v5
	v_and_b32_e32 v9, 0xffc, v9
	v_add3_u32 v5, v5, v15, s0
	v_mul_f32_e32 v10, 0x4f7ffffe, v10
	v_cvt_u32_f32_e32 v10, v10
	v_add3_u32 v9, v9, v15, s0
	s_movk_i32 s0, 0x6300
	v_add3_u32 v2, v2, v41, s0
	v_add3_u32 v93, v58, v41, s0
	;; [unrolled: 1-line block ×4, first 2 shown]
	s_sub_i32 s0, 0, s2
	v_mul_lo_u32 v65, s0, v10
	s_waitcnt vmcnt(0)
	v_sub_u32_e32 v66, 0, v12
	v_max_i32_e32 v69, v12, v66
	v_add_u32_e32 v58, s1, v57
	v_mul_hi_u32 v65, v10, v65
	v_add_u32_e32 v59, s1, v58
	v_xor_b32_e32 v71, s11, v12
	v_ashrrev_i32_e32 v71, 31, v71
	v_add_u32_e32 v10, v10, v65
	v_mul_hi_u32 v10, v69, v10
	v_and_b32_e32 v11, 28, v3
	v_mul_i32_i24_e32 v16, s19, v1
	v_mul_u32_u24_e32 v1, 33, v0
	v_mul_lo_u32 v70, v10, s2
	v_add_u32_e32 v72, 0x60, v0
	v_add_u32_e32 v62, 0x7ba0, v4
	v_lshlrev_b32_e32 v4, 5, v0
	v_sub_u32_e32 v69, v69, v70
	v_add_u32_e32 v70, 1, v10
	v_cmp_le_u32_e64 s[0:1], s2, v69
	v_cndmask_b32_e64 v10, v10, v70, s[0:1]
	v_subrev_u32_e32 v70, s2, v69
	v_cndmask_b32_e64 v69, v69, v70, s[0:1]
	v_add_u32_e32 v70, 1, v10
	v_cmp_le_u32_e64 s[0:1], s2, v69
	v_cndmask_b32_e64 v10, v10, v70, s[0:1]
	v_xor_b32_e32 v10, v10, v71
	v_sub_u32_e32 v10, v10, v71
	v_cmp_gt_i32_e64 s[0:1], s8, v10
	v_mul_lo_u32 v69, v10, s9
	v_mov_b32_e32 v70, s7
	v_add_co_u32_e64 v10, s[2:3], s6, v11
	v_add_u32_e32 v74, 64, v0
	v_addc_co_u32_e64 v11, s[2:3], 0, v70, s[2:3]
	v_lshlrev_b32_e32 v70, 2, v1
	v_and_b32_e32 v1, 0x1fc, v72
	v_add_u32_e32 v76, 32, v0
	v_lshlrev_b32_e32 v107, 4, v72
	v_lshrrev_b32_e32 v108, 1, v72
	v_lshlrev_b32_e32 v109, 1, v72
	v_lshrrev_b32_e32 v110, 4, v72
	v_lshrrev_b32_e32 v67, 3, v72
	v_add_u32_e32 v72, v4, v1
	v_and_b32_e32 v1, 0x1fc, v74
	v_lshlrev_b32_e32 v103, 4, v74
	v_lshrrev_b32_e32 v104, 1, v74
	v_lshlrev_b32_e32 v105, 1, v74
	v_lshrrev_b32_e32 v106, 4, v74
	v_lshrrev_b32_e32 v66, 3, v74
	v_add_u32_e32 v74, v4, v1
	v_and_b32_e32 v1, 0x1fc, v76
	;; [unrolled: 7-line block ×3, first 2 shown]
	v_lshlrev_b32_e32 v8, 6, v8
	v_lshlrev_b32_e32 v6, 6, v6
	;; [unrolled: 1-line block ×3, first 2 shown]
	v_cmp_gt_u32_e32 vcc, 4, v0
	v_add_u32_e32 v63, v62, v3
	v_lshlrev_b32_e32 v3, 4, v0
	v_add_u32_e32 v78, v4, v1
	s_movk_i32 s14, 0x6e
	s_mov_b32 s22, 0
	v_mov_b32_e32 v13, 0
	v_add_u32_e32 v31, 0x35a0, v17
	v_add_u32_e32 v33, 0x39c0, v17
	v_add_u32_e32 v35, 0x3de0, v17
	v_and_b32_e32 v53, 4, v52
	s_and_b64 s[4:5], vcc, s[0:1]
	v_ashrrev_i32_e32 v71, 31, v69
	v_add_u32_e32 v73, 0x6f00, v72
	v_add_u32_e32 v75, 0x6b00, v74
	;; [unrolled: 1-line block ×12, first 2 shown]
	s_mov_b32 s23, 0x30303030
	s_movk_i32 s24, 0x3f00
	s_movk_i32 s25, 0xe000
	v_add_u32_e32 v88, v2, v92
	v_add_u32_e32 v89, v93, v94
	v_add_u32_e32 v90, v95, v96
	v_add_u32_e32 v91, v97, v98
	v_mov_b32_e32 v92, 8
	v_lshlrev_b32_e32 v93, 2, v3
	v_lshlrev_b32_e32 v94, 2, v100
	;; [unrolled: 1-line block ×13, first 2 shown]
	v_mov_b32_e32 v68, 0
	v_mov_b32_e32 v64, 0
	;; [unrolled: 1-line block ×3, first 2 shown]
	s_branch .LBB229_5
.LBB229_4:                              ;   in Loop: Header=BB229_5 Depth=1
	s_add_i32 s22, s22, 2
	s_cmp_ge_i32 s22, s19
	s_cbranch_scc1 .LBB229_37
.LBB229_5:                              ; =>This Loop Header: Depth=1
                                        ;     Child Loop BB229_11 Depth 2
                                        ;     Child Loop BB229_19 Depth 2
	;; [unrolled: 1-line block ×4, first 2 shown]
	s_mul_i32 s2, s22, 0x6e
	s_mul_hi_u32 s3, s22, 0x6e
	s_add_u32 s2, s20, s2
	s_addc_u32 s3, s21, s3
	v_mov_b32_e32 v1, s2
	v_mov_b32_e32 v2, s3
	v_mad_u64_u32 v[3:4], s[2:3], v14, s14, v[1:2]
	s_lshl_b32 s26, s22, 8
	s_cmp_lt_i32 s26, s15
	v_mad_u64_u32 v[5:6], s[2:3], v16, s14, v[3:4]
	v_add_co_u32_e64 v5, s[2:3], v5, v15
	v_addc_co_u32_e64 v6, s[2:3], 0, v6, s[2:3]
	global_load_dword v5, v[5:6], off offset:32
	s_waitcnt vmcnt(0)
	ds_write_b32 v17, v5
	v_mad_u64_u32 v[5:6], s[2:3], v18, s14, v[3:4]
	v_add_co_u32_e64 v5, s[2:3], v5, v15
	v_addc_co_u32_e64 v6, s[2:3], 0, v6, s[2:3]
	global_load_dword v5, v[5:6], off offset:32
	v_add_u32_e32 v6, 0x420, v17
	s_waitcnt vmcnt(0)
	ds_write_b32 v6, v5
	v_mad_u64_u32 v[5:6], s[2:3], v19, s14, v[3:4]
	v_add_co_u32_e64 v5, s[2:3], v5, v15
	v_addc_co_u32_e64 v6, s[2:3], 0, v6, s[2:3]
	global_load_dword v5, v[5:6], off offset:32
	v_add_u32_e32 v6, 0x840, v17
	;; [unrolled: 7-line block ×12, first 2 shown]
	s_waitcnt vmcnt(0)
	ds_write_b32 v6, v5
	v_mad_u64_u32 v[5:6], s[2:3], v30, s14, v[3:4]
	v_add_co_u32_e64 v5, s[2:3], v5, v15
	v_addc_co_u32_e64 v6, s[2:3], 0, v6, s[2:3]
	global_load_dword v5, v[5:6], off offset:32
	s_waitcnt vmcnt(0)
	ds_write_b32 v31, v5
	v_mad_u64_u32 v[5:6], s[2:3], v32, s14, v[3:4]
	v_add_co_u32_e64 v5, s[2:3], v5, v15
	v_addc_co_u32_e64 v6, s[2:3], 0, v6, s[2:3]
	v_mad_u64_u32 v[3:4], s[2:3], v34, s14, v[3:4]
	global_load_dword v5, v[5:6], off offset:32
	v_add_co_u32_e64 v3, s[2:3], v3, v15
	v_addc_co_u32_e64 v4, s[2:3], 0, v4, s[2:3]
	global_load_dword v3, v[3:4], off offset:32
	s_waitcnt vmcnt(1)
	ds_write_b32 v33, v5
	s_waitcnt vmcnt(0)
	ds_write_b32 v35, v3
	v_mad_u64_u32 v[3:4], s[2:3], v38, s14, v[1:2]
	v_mad_u64_u32 v[3:4], s[2:3], v36, s14, v[3:4]
	global_load_ushort v3, v[3:4], off offset:108
	s_waitcnt vmcnt(0)
	v_cvt_f32_f16_e32 v3, v3
	ds_write_b32 v39, v3
	v_mad_u64_u32 v[3:4], s[2:3], v40, s14, v[1:2]
	v_add_co_u32_e64 v3, s[2:3], v3, v41
	v_addc_co_u32_e64 v4, s[2:3], 0, v4, s[2:3]
	v_mad_u64_u32 v[5:6], s[2:3], v42, s14, v[3:4]
	v_mad_u64_u32 v[1:2], s[2:3], v51, s14, v[1:2]
	global_load_dword v5, v[5:6], off
	s_waitcnt vmcnt(0)
	v_not_b32_e32 v5, v5
	ds_write_b32 v80, v5
	v_mad_u64_u32 v[5:6], s[2:3], v43, s14, v[3:4]
	global_load_dword v5, v[5:6], off
	s_waitcnt vmcnt(0)
	v_not_b32_e32 v5, v5
	ds_write_b32 v81, v5
	;; [unrolled: 5-line block ×6, first 2 shown]
	v_mad_u64_u32 v[5:6], s[2:3], v48, s14, v[3:4]
	v_mad_u64_u32 v[3:4], s[2:3], v49, s14, v[3:4]
	global_load_dword v5, v[5:6], off
	s_nop 0
	global_load_dword v3, v[3:4], off
	s_waitcnt vmcnt(1)
	v_not_b32_e32 v5, v5
	ds_write_b32 v86, v5
	s_waitcnt vmcnt(0)
	v_not_b32_e32 v3, v3
	ds_write_b32 v87, v3
	v_mad_u64_u32 v[3:4], s[2:3], v56, s14, v[1:2]
	v_add_co_u32_e64 v5, s[2:3], v3, v54
	v_addc_co_u32_e64 v6, s[2:3], 0, v4, s[2:3]
	global_load_dword v5, v[5:6], off offset:96
	s_nop 0
	global_load_dword v3, v[3:4], off offset:104
	s_waitcnt vmcnt(1)
	v_ashrrev_i32_e32 v5, v53, v5
	v_and_b32_e32 v5, 0xf0f0f0f, v5
	s_waitcnt vmcnt(0)
	v_ashrrev_i32_e32 v3, v55, v3
	v_lshlrev_b32_e32 v3, 4, v3
	v_and_or_b32 v3, v3, s23, v5
	v_lshlrev_b16_e32 v5, 8, v3
	v_and_b32_e32 v4, 0x3f00, v3
	v_add_u16_e32 v5, 0xe000, v5
	v_or_b32_sdwa v4, v4, v5 dst_sel:DWORD dst_unused:UNUSED_PAD src0_sel:DWORD src1_sel:BYTE_1
	v_and_b32_sdwa v5, v3, s24 dst_sel:DWORD dst_unused:UNUSED_PAD src0_sel:WORD_1 src1_sel:DWORD
	v_lshlrev_b16_sdwa v3, v92, v3 dst_sel:DWORD dst_unused:UNUSED_PAD src0_sel:DWORD src1_sel:WORD_1
	v_add_u16_e32 v3, 0xe000, v3
	v_or_b32_sdwa v3, v5, v3 dst_sel:DWORD dst_unused:UNUSED_PAD src0_sel:DWORD src1_sel:BYTE_1
	v_add_u16_e32 v4, 0xe000, v4
	v_add_u16_sdwa v3, v3, s25 dst_sel:WORD_1 dst_unused:UNUSED_PAD src0_sel:DWORD src1_sel:DWORD
	v_or_b32_e32 v3, v4, v3
	ds_write_b32 v88, v3
	v_mad_u64_u32 v[3:4], s[2:3], v57, s14, v[1:2]
	v_add_co_u32_e64 v5, s[2:3], v3, v54
	v_addc_co_u32_e64 v6, s[2:3], 0, v4, s[2:3]
	global_load_dword v5, v[5:6], off offset:96
	s_nop 0
	global_load_dword v3, v[3:4], off offset:104
	s_waitcnt vmcnt(1)
	v_ashrrev_i32_e32 v5, v53, v5
	v_and_b32_e32 v5, 0xf0f0f0f, v5
	s_waitcnt vmcnt(0)
	v_ashrrev_i32_e32 v3, v55, v3
	v_lshlrev_b32_e32 v3, 4, v3
	v_and_or_b32 v3, v3, s23, v5
	v_lshlrev_b16_e32 v5, 8, v3
	v_and_b32_e32 v4, 0x3f00, v3
	v_add_u16_e32 v5, 0xe000, v5
	v_or_b32_sdwa v4, v4, v5 dst_sel:DWORD dst_unused:UNUSED_PAD src0_sel:DWORD src1_sel:BYTE_1
	v_and_b32_sdwa v5, v3, s24 dst_sel:DWORD dst_unused:UNUSED_PAD src0_sel:WORD_1 src1_sel:DWORD
	v_lshlrev_b16_sdwa v3, v92, v3 dst_sel:DWORD dst_unused:UNUSED_PAD src0_sel:DWORD src1_sel:WORD_1
	v_add_u16_e32 v3, 0xe000, v3
	v_or_b32_sdwa v3, v5, v3 dst_sel:DWORD dst_unused:UNUSED_PAD src0_sel:DWORD src1_sel:BYTE_1
	v_add_u16_e32 v4, 0xe000, v4
	v_add_u16_sdwa v3, v3, s25 dst_sel:WORD_1 dst_unused:UNUSED_PAD src0_sel:DWORD src1_sel:DWORD
	v_or_b32_e32 v3, v4, v3
	;; [unrolled: 25-line block ×4, first 2 shown]
	ds_write_b32 v91, v1
	s_cbranch_scc0 .LBB229_4
; %bb.6:                                ;   in Loop: Header=BB229_5 Depth=1
	s_lshl_b32 s27, s22, 3
	v_add_u32_e32 v1, s27, v50
	v_cmp_gt_i32_e64 s[2:3], s9, v1
	s_and_b64 s[16:17], s[0:1], s[2:3]
	s_and_saveexec_b64 s[2:3], s[16:17]
	s_cbranch_execz .LBB229_8
; %bb.7:                                ;   in Loop: Header=BB229_5 Depth=1
	v_add_u32_e32 v1, v69, v1
	v_mad_i64_i32 v[1:2], s[16:17], v1, 36, v[10:11]
	global_load_dword v1, v[1:2], off offset:4
	s_waitcnt vmcnt(0)
	ds_write_b32 v61, v1
.LBB229_8:                              ;   in Loop: Header=BB229_5 Depth=1
	s_or_b64 exec, exec, s[2:3]
	v_add_u32_e32 v109, s27, v0
	v_cmp_gt_i32_e64 s[2:3], s9, v109
	s_and_b64 s[16:17], s[4:5], s[2:3]
	s_and_saveexec_b64 s[2:3], s[16:17]
	s_cbranch_execz .LBB229_10
; %bb.9:                                ;   in Loop: Header=BB229_5 Depth=1
	v_add_u32_e32 v1, v69, v109
	v_mad_i64_i32 v[1:2], s[16:17], v1, 36, s[6:7]
	global_load_dword v1, v[1:2], off
	s_waitcnt vmcnt(0)
	v_cvt_f32_f16_e32 v1, v1
	ds_write_b32 v63, v1
.LBB229_10:                             ;   in Loop: Header=BB229_5 Depth=1
	s_or_b64 exec, exec, s[2:3]
	s_mov_b32 s17, -2
	s_mov_b32 s2, 0
	v_mov_b32_e32 v110, v62
	v_mov_b32_e32 v111, v60
	s_mov_b32 s3, 0
	s_waitcnt lgkmcnt(0)
	s_barrier
.LBB229_11:                             ;   Parent Loop BB229_5 Depth=1
                                        ; =>  This Inner Loop Header: Depth=2
	s_add_i32 s16, s17, 2
	s_and_b32 s29, s16, 0x3ffffff8
	v_lshl_add_u32 v113, s29, 2, v70
	ds_read_b32 v112, v110
	ds_read_b128 v[5:8], v111
	ds_read_b128 v[1:4], v111 offset:16
	ds_read2_b32 v[106:107], v113 offset1:1
	s_lshr_b32 s30, s16, 4
	s_lshl_b32 s29, s30, 5
	s_addk_i32 s29, 0x4200
	s_and_b32 s28, s3, -16
	s_waitcnt lgkmcnt(0)
	v_ashrrev_i32_e32 v106, s16, v106
	v_and_b32_e32 v108, 0x3030303, v106
	v_bfe_u32 v116, v106, 24, 2
	v_lshlrev_b32_e32 v106, 2, v37
	v_add3_u32 v120, s29, v106, v93
	ds_read2_b32 v[114:115], v120 offset1:1
	v_ashrrev_i32_e32 v107, s16, v107
	s_add_i32 s28, s17, s28
	s_lshl_b32 s17, s30, 2
	s_addk_i32 s17, 0x7380
	s_waitcnt lgkmcnt(0)
	v_ashrrev_i32_e32 v114, s2, v114
	v_lshlrev_b32_e32 v114, 2, v114
	v_and_b32_e32 v114, 0x4040404, v114
	v_sub_u16_e32 v117, v108, v114
	v_sub_u16_sdwa v118, v108, v114 dst_sel:BYTE_1 dst_unused:UNUSED_PAD src0_sel:BYTE_1 src1_sel:BYTE_1
	v_sub_u16_sdwa v116, v116, v114 dst_sel:BYTE_1 dst_unused:UNUSED_PAD src0_sel:DWORD src1_sel:BYTE_3
	v_sub_u16_sdwa v108, v108, v114 dst_sel:DWORD dst_unused:UNUSED_PAD src0_sel:WORD_1 src1_sel:WORD_1
	v_ashrrev_i32_e32 v115, s2, v115
	v_or_b32_sdwa v117, v117, v118 dst_sel:DWORD dst_unused:UNUSED_PAD src0_sel:BYTE_0 src1_sel:DWORD
	v_or_b32_sdwa v108, v108, v116 dst_sel:WORD_1 dst_unused:UNUSED_PAD src0_sel:BYTE_0 src1_sel:DWORD
	v_lshlrev_b32_e32 v115, 2, v115
	v_or_b32_sdwa v114, v117, v108 dst_sel:DWORD dst_unused:UNUSED_PAD src0_sel:WORD_0 src1_sel:DWORD
	v_and_b32_e32 v108, 0x3030303, v107
	v_bfe_u32 v107, v107, 24, 2
	v_and_b32_e32 v115, 0x4040404, v115
	v_sub_u16_e32 v116, v108, v115
	v_sub_u16_sdwa v117, v108, v115 dst_sel:BYTE_1 dst_unused:UNUSED_PAD src0_sel:BYTE_1 src1_sel:BYTE_1
	v_sub_u16_sdwa v107, v107, v115 dst_sel:BYTE_1 dst_unused:UNUSED_PAD src0_sel:DWORD src1_sel:BYTE_3
	v_sub_u16_sdwa v108, v108, v115 dst_sel:DWORD dst_unused:UNUSED_PAD src0_sel:WORD_1 src1_sel:WORD_1
	v_or_b32_sdwa v116, v116, v117 dst_sel:DWORD dst_unused:UNUSED_PAD src0_sel:BYTE_0 src1_sel:DWORD
	v_or_b32_sdwa v107, v108, v107 dst_sel:WORD_1 dst_unused:UNUSED_PAD src0_sel:BYTE_0 src1_sel:DWORD
	v_or_b32_sdwa v115, v116, v107 dst_sel:DWORD dst_unused:UNUSED_PAD src0_sel:WORD_0 src1_sel:DWORD
	ds_read2_b32 v[107:108], v113 offset0:2 offset1:3
	ds_read2_b32 v[116:117], v120 offset0:2 offset1:3
	v_dot4_i32_i8 v114, v114, v5, 0
	v_dot4_i32_i8 v114, v115, v6, v114
	s_add_i32 s3, s3, 2
	s_waitcnt lgkmcnt(1)
	v_ashrrev_i32_e32 v107, s16, v107
	s_waitcnt lgkmcnt(0)
	v_ashrrev_i32_e32 v116, s2, v116
	v_lshlrev_b32_e32 v116, 2, v116
	v_and_b32_e32 v118, 0x3030303, v107
	v_bfe_u32 v107, v107, 24, 2
	v_and_b32_e32 v116, 0x4040404, v116
	v_sub_u16_e32 v119, v118, v116
	v_sub_u16_sdwa v121, v118, v116 dst_sel:BYTE_1 dst_unused:UNUSED_PAD src0_sel:BYTE_1 src1_sel:BYTE_1
	v_sub_u16_sdwa v107, v107, v116 dst_sel:BYTE_1 dst_unused:UNUSED_PAD src0_sel:DWORD src1_sel:BYTE_3
	v_sub_u16_sdwa v116, v118, v116 dst_sel:DWORD dst_unused:UNUSED_PAD src0_sel:WORD_1 src1_sel:WORD_1
	v_or_b32_sdwa v119, v119, v121 dst_sel:DWORD dst_unused:UNUSED_PAD src0_sel:BYTE_0 src1_sel:DWORD
	v_or_b32_sdwa v107, v116, v107 dst_sel:WORD_1 dst_unused:UNUSED_PAD src0_sel:BYTE_0 src1_sel:DWORD
	v_ashrrev_i32_e32 v117, s2, v117
	v_or_b32_sdwa v116, v119, v107 dst_sel:DWORD dst_unused:UNUSED_PAD src0_sel:WORD_0 src1_sel:DWORD
	v_ashrrev_i32_e32 v107, s16, v108
	v_lshlrev_b32_e32 v117, 2, v117
	v_and_b32_e32 v108, 0x3030303, v107
	v_bfe_u32 v107, v107, 24, 2
	v_and_b32_e32 v117, 0x4040404, v117
	v_sub_u16_e32 v118, v108, v117
	v_sub_u16_sdwa v119, v108, v117 dst_sel:BYTE_1 dst_unused:UNUSED_PAD src0_sel:BYTE_1 src1_sel:BYTE_1
	v_sub_u16_sdwa v107, v107, v117 dst_sel:BYTE_1 dst_unused:UNUSED_PAD src0_sel:DWORD src1_sel:BYTE_3
	v_sub_u16_sdwa v108, v108, v117 dst_sel:DWORD dst_unused:UNUSED_PAD src0_sel:WORD_1 src1_sel:WORD_1
	v_or_b32_sdwa v118, v118, v119 dst_sel:DWORD dst_unused:UNUSED_PAD src0_sel:BYTE_0 src1_sel:DWORD
	v_or_b32_sdwa v107, v108, v107 dst_sel:WORD_1 dst_unused:UNUSED_PAD src0_sel:BYTE_0 src1_sel:DWORD
	v_or_b32_sdwa v117, v118, v107 dst_sel:DWORD dst_unused:UNUSED_PAD src0_sel:WORD_0 src1_sel:DWORD
	ds_read2_b32 v[107:108], v113 offset0:4 offset1:5
	ds_read2_b32 v[118:119], v120 offset0:4 offset1:5
	v_dot4_i32_i8 v114, v116, v7, v114
	v_dot4_i32_i8 v114, v117, v8, v114
	v_add_u32_e32 v111, 32, v111
	s_waitcnt lgkmcnt(1)
	v_ashrrev_i32_e32 v107, s16, v107
	s_waitcnt lgkmcnt(0)
	v_ashrrev_i32_e32 v118, s2, v118
	v_lshlrev_b32_e32 v118, 2, v118
	v_and_b32_e32 v121, 0x3030303, v107
	v_bfe_u32 v107, v107, 24, 2
	v_and_b32_e32 v118, 0x4040404, v118
	v_sub_u16_e32 v122, v121, v118
	v_sub_u16_sdwa v123, v121, v118 dst_sel:BYTE_1 dst_unused:UNUSED_PAD src0_sel:BYTE_1 src1_sel:BYTE_1
	v_sub_u16_sdwa v107, v107, v118 dst_sel:BYTE_1 dst_unused:UNUSED_PAD src0_sel:DWORD src1_sel:BYTE_3
	v_sub_u16_sdwa v118, v121, v118 dst_sel:DWORD dst_unused:UNUSED_PAD src0_sel:WORD_1 src1_sel:WORD_1
	v_or_b32_sdwa v122, v122, v123 dst_sel:DWORD dst_unused:UNUSED_PAD src0_sel:BYTE_0 src1_sel:DWORD
	v_or_b32_sdwa v107, v118, v107 dst_sel:WORD_1 dst_unused:UNUSED_PAD src0_sel:BYTE_0 src1_sel:DWORD
	v_ashrrev_i32_e32 v119, s2, v119
	v_or_b32_sdwa v118, v122, v107 dst_sel:DWORD dst_unused:UNUSED_PAD src0_sel:WORD_0 src1_sel:DWORD
	v_ashrrev_i32_e32 v107, s16, v108
	v_lshlrev_b32_e32 v119, 2, v119
	v_and_b32_e32 v108, 0x3030303, v107
	v_bfe_u32 v107, v107, 24, 2
	v_and_b32_e32 v119, 0x4040404, v119
	v_sub_u16_e32 v121, v108, v119
	v_sub_u16_sdwa v122, v108, v119 dst_sel:BYTE_1 dst_unused:UNUSED_PAD src0_sel:BYTE_1 src1_sel:BYTE_1
	v_sub_u16_sdwa v107, v107, v119 dst_sel:BYTE_1 dst_unused:UNUSED_PAD src0_sel:DWORD src1_sel:BYTE_3
	v_sub_u16_sdwa v108, v108, v119 dst_sel:DWORD dst_unused:UNUSED_PAD src0_sel:WORD_1 src1_sel:WORD_1
	v_or_b32_sdwa v121, v121, v122 dst_sel:DWORD dst_unused:UNUSED_PAD src0_sel:BYTE_0 src1_sel:DWORD
	v_or_b32_sdwa v107, v108, v107 dst_sel:WORD_1 dst_unused:UNUSED_PAD src0_sel:BYTE_0 src1_sel:DWORD
	v_or_b32_sdwa v119, v121, v107 dst_sel:DWORD dst_unused:UNUSED_PAD src0_sel:WORD_0 src1_sel:DWORD
	ds_read2_b32 v[107:108], v113 offset0:6 offset1:7
	ds_read2_b32 v[120:121], v120 offset0:6 offset1:7
	v_dot4_i32_i8 v115, v118, v1, 0
	v_dot4_i32_i8 v115, v119, v2, v115
	v_add_u32_e32 v110, 4, v110
	s_waitcnt lgkmcnt(1)
	v_ashrrev_i32_e32 v107, s16, v107
	s_waitcnt lgkmcnt(0)
	v_ashrrev_i32_e32 v120, s2, v120
	v_lshlrev_b32_e32 v120, 2, v120
	v_and_b32_e32 v122, 0x3030303, v107
	v_bfe_u32 v107, v107, 24, 2
	v_and_b32_e32 v120, 0x4040404, v120
	v_sub_u16_e32 v123, v122, v120
	v_sub_u16_sdwa v124, v122, v120 dst_sel:BYTE_1 dst_unused:UNUSED_PAD src0_sel:BYTE_1 src1_sel:BYTE_1
	v_sub_u16_sdwa v107, v107, v120 dst_sel:BYTE_1 dst_unused:UNUSED_PAD src0_sel:DWORD src1_sel:BYTE_3
	v_sub_u16_sdwa v120, v122, v120 dst_sel:DWORD dst_unused:UNUSED_PAD src0_sel:WORD_1 src1_sel:WORD_1
	v_or_b32_sdwa v123, v123, v124 dst_sel:DWORD dst_unused:UNUSED_PAD src0_sel:BYTE_0 src1_sel:DWORD
	v_or_b32_sdwa v107, v120, v107 dst_sel:WORD_1 dst_unused:UNUSED_PAD src0_sel:BYTE_0 src1_sel:DWORD
	v_ashrrev_i32_e32 v121, s2, v121
	v_or_b32_sdwa v120, v123, v107 dst_sel:DWORD dst_unused:UNUSED_PAD src0_sel:WORD_0 src1_sel:DWORD
	v_ashrrev_i32_e32 v107, s16, v108
	v_lshlrev_b32_e32 v121, 2, v121
	v_and_b32_e32 v108, 0x3030303, v107
	v_bfe_u32 v107, v107, 24, 2
	v_and_b32_e32 v121, 0x4040404, v121
	v_sub_u16_e32 v122, v108, v121
	v_sub_u16_sdwa v123, v108, v121 dst_sel:BYTE_1 dst_unused:UNUSED_PAD src0_sel:BYTE_1 src1_sel:BYTE_1
	v_sub_u16_sdwa v107, v107, v121 dst_sel:BYTE_1 dst_unused:UNUSED_PAD src0_sel:DWORD src1_sel:BYTE_3
	v_sub_u16_sdwa v108, v108, v121 dst_sel:DWORD dst_unused:UNUSED_PAD src0_sel:WORD_1 src1_sel:WORD_1
	v_or_b32_sdwa v122, v122, v123 dst_sel:DWORD dst_unused:UNUSED_PAD src0_sel:BYTE_0 src1_sel:DWORD
	v_or_b32_sdwa v107, v108, v107 dst_sel:WORD_1 dst_unused:UNUSED_PAD src0_sel:BYTE_0 src1_sel:DWORD
	v_or_b32_sdwa v121, v122, v107 dst_sel:DWORD dst_unused:UNUSED_PAD src0_sel:WORD_0 src1_sel:DWORD
	v_lshlrev_b32_e32 v107, 2, v14
	v_lshlrev_b32_e32 v108, 2, v52
	v_add_u32_e32 v122, s28, v79
	v_add3_u32 v123, s17, v107, v108
	ds_read_b32 v123, v123
	ds_read_u16 v116, v122 offset:2
	v_dot4_i32_i8 v115, v120, v3, v115
	v_dot4_i32_i8 v115, v121, v4, v115
	v_add3_u32 v122, s29, v94, v95
	s_waitcnt lgkmcnt(0)
	v_lshrrev_b16_e32 v117, 8, v116
	v_bfe_i32 v116, v116, 0, 8
	v_mul_lo_u32 v114, v114, v116
	v_bfe_i32 v117, v117, 0, 8
	v_mad_u64_u32 v[114:115], s[30:31], v115, v117, v[114:115]
	v_mul_f32_e32 v115, v112, v123
	ds_read2_b32 v[116:117], v122 offset1:1
	v_cvt_f32_i32_e32 v114, v114
	v_fmac_f32_e32 v13, v115, v114
	v_add_u32_e32 v114, 0x1080, v113
	ds_read2_b32 v[114:115], v114 offset1:1
	s_waitcnt lgkmcnt(1)
	v_ashrrev_i32_e32 v116, s2, v116
	v_lshlrev_b32_e32 v116, 2, v116
	v_and_b32_e32 v116, 0x4040404, v116
	v_ashrrev_i32_e32 v117, s2, v117
	s_waitcnt lgkmcnt(0)
	v_ashrrev_i32_e32 v114, s16, v114
	v_and_b32_e32 v118, 0x3030303, v114
	v_bfe_u32 v114, v114, 24, 2
	v_sub_u16_e32 v119, v118, v116
	v_sub_u16_sdwa v120, v118, v116 dst_sel:BYTE_1 dst_unused:UNUSED_PAD src0_sel:BYTE_1 src1_sel:BYTE_1
	v_sub_u16_sdwa v114, v114, v116 dst_sel:BYTE_1 dst_unused:UNUSED_PAD src0_sel:DWORD src1_sel:BYTE_3
	v_sub_u16_sdwa v116, v118, v116 dst_sel:DWORD dst_unused:UNUSED_PAD src0_sel:WORD_1 src1_sel:WORD_1
	v_ashrrev_i32_e32 v115, s16, v115
	v_lshlrev_b32_e32 v117, 2, v117
	v_or_b32_sdwa v119, v119, v120 dst_sel:DWORD dst_unused:UNUSED_PAD src0_sel:BYTE_0 src1_sel:DWORD
	v_or_b32_sdwa v114, v116, v114 dst_sel:WORD_1 dst_unused:UNUSED_PAD src0_sel:BYTE_0 src1_sel:DWORD
	v_and_b32_e32 v116, 0x3030303, v115
	v_bfe_u32 v115, v115, 24, 2
	v_and_b32_e32 v117, 0x4040404, v117
	v_or_b32_sdwa v114, v119, v114 dst_sel:DWORD dst_unused:UNUSED_PAD src0_sel:WORD_0 src1_sel:DWORD
	v_sub_u16_e32 v118, v116, v117
	v_sub_u16_sdwa v119, v116, v117 dst_sel:BYTE_1 dst_unused:UNUSED_PAD src0_sel:BYTE_1 src1_sel:BYTE_1
	v_sub_u16_sdwa v115, v115, v117 dst_sel:BYTE_1 dst_unused:UNUSED_PAD src0_sel:DWORD src1_sel:BYTE_3
	v_sub_u16_sdwa v116, v116, v117 dst_sel:DWORD dst_unused:UNUSED_PAD src0_sel:WORD_1 src1_sel:WORD_1
	v_or_b32_sdwa v118, v118, v119 dst_sel:DWORD dst_unused:UNUSED_PAD src0_sel:BYTE_0 src1_sel:DWORD
	v_or_b32_sdwa v115, v116, v115 dst_sel:WORD_1 dst_unused:UNUSED_PAD src0_sel:BYTE_0 src1_sel:DWORD
	v_add_u32_e32 v116, 0x1088, v113
	v_or_b32_sdwa v115, v118, v115 dst_sel:DWORD dst_unused:UNUSED_PAD src0_sel:WORD_0 src1_sel:DWORD
	ds_read2_b32 v[116:117], v116 offset1:1
	ds_read2_b32 v[118:119], v122 offset0:2 offset1:3
	v_dot4_i32_i8 v114, v114, v5, 0
	v_dot4_i32_i8 v114, v115, v6, v114
	s_waitcnt lgkmcnt(1)
	v_ashrrev_i32_e32 v116, s16, v116
	s_waitcnt lgkmcnt(0)
	v_ashrrev_i32_e32 v118, s2, v118
	v_lshlrev_b32_e32 v118, 2, v118
	v_and_b32_e32 v120, 0x3030303, v116
	v_bfe_u32 v116, v116, 24, 2
	v_and_b32_e32 v118, 0x4040404, v118
	v_ashrrev_i32_e32 v119, s2, v119
	v_sub_u16_e32 v121, v120, v118
	v_sub_u16_sdwa v123, v120, v118 dst_sel:BYTE_1 dst_unused:UNUSED_PAD src0_sel:BYTE_1 src1_sel:BYTE_1
	v_sub_u16_sdwa v116, v116, v118 dst_sel:BYTE_1 dst_unused:UNUSED_PAD src0_sel:DWORD src1_sel:BYTE_3
	v_sub_u16_sdwa v118, v120, v118 dst_sel:DWORD dst_unused:UNUSED_PAD src0_sel:WORD_1 src1_sel:WORD_1
	v_ashrrev_i32_e32 v117, s16, v117
	v_lshlrev_b32_e32 v119, 2, v119
	v_or_b32_sdwa v121, v121, v123 dst_sel:DWORD dst_unused:UNUSED_PAD src0_sel:BYTE_0 src1_sel:DWORD
	v_or_b32_sdwa v116, v118, v116 dst_sel:WORD_1 dst_unused:UNUSED_PAD src0_sel:BYTE_0 src1_sel:DWORD
	v_and_b32_e32 v118, 0x3030303, v117
	v_bfe_u32 v117, v117, 24, 2
	v_and_b32_e32 v119, 0x4040404, v119
	v_or_b32_sdwa v116, v121, v116 dst_sel:DWORD dst_unused:UNUSED_PAD src0_sel:WORD_0 src1_sel:DWORD
	v_sub_u16_e32 v120, v118, v119
	v_sub_u16_sdwa v121, v118, v119 dst_sel:BYTE_1 dst_unused:UNUSED_PAD src0_sel:BYTE_1 src1_sel:BYTE_1
	v_sub_u16_sdwa v117, v117, v119 dst_sel:BYTE_1 dst_unused:UNUSED_PAD src0_sel:DWORD src1_sel:BYTE_3
	v_sub_u16_sdwa v118, v118, v119 dst_sel:DWORD dst_unused:UNUSED_PAD src0_sel:WORD_1 src1_sel:WORD_1
	v_or_b32_sdwa v120, v120, v121 dst_sel:DWORD dst_unused:UNUSED_PAD src0_sel:BYTE_0 src1_sel:DWORD
	v_or_b32_sdwa v117, v118, v117 dst_sel:WORD_1 dst_unused:UNUSED_PAD src0_sel:BYTE_0 src1_sel:DWORD
	v_add_u32_e32 v118, 0x1090, v113
	v_or_b32_sdwa v117, v120, v117 dst_sel:DWORD dst_unused:UNUSED_PAD src0_sel:WORD_0 src1_sel:DWORD
	ds_read2_b32 v[118:119], v118 offset1:1
	ds_read2_b32 v[120:121], v122 offset0:4 offset1:5
	v_dot4_i32_i8 v114, v116, v7, v114
	v_dot4_i32_i8 v114, v117, v8, v114
	s_waitcnt lgkmcnt(1)
	v_ashrrev_i32_e32 v118, s16, v118
	s_waitcnt lgkmcnt(0)
	v_ashrrev_i32_e32 v120, s2, v120
	v_lshlrev_b32_e32 v120, 2, v120
	v_and_b32_e32 v123, 0x3030303, v118
	v_bfe_u32 v118, v118, 24, 2
	v_and_b32_e32 v120, 0x4040404, v120
	v_ashrrev_i32_e32 v121, s2, v121
	;; [unrolled: 33-line block ×3, first 2 shown]
	v_sub_u16_e32 v125, v124, v122
	v_sub_u16_sdwa v126, v124, v122 dst_sel:BYTE_1 dst_unused:UNUSED_PAD src0_sel:BYTE_1 src1_sel:BYTE_1
	v_sub_u16_sdwa v120, v120, v122 dst_sel:BYTE_1 dst_unused:UNUSED_PAD src0_sel:DWORD src1_sel:BYTE_3
	v_sub_u16_sdwa v122, v124, v122 dst_sel:DWORD dst_unused:UNUSED_PAD src0_sel:WORD_1 src1_sel:WORD_1
	v_ashrrev_i32_e32 v121, s16, v121
	v_lshlrev_b32_e32 v123, 2, v123
	v_or_b32_sdwa v125, v125, v126 dst_sel:DWORD dst_unused:UNUSED_PAD src0_sel:BYTE_0 src1_sel:DWORD
	v_or_b32_sdwa v120, v122, v120 dst_sel:WORD_1 dst_unused:UNUSED_PAD src0_sel:BYTE_0 src1_sel:DWORD
	v_and_b32_e32 v122, 0x3030303, v121
	v_bfe_u32 v121, v121, 24, 2
	v_and_b32_e32 v123, 0x4040404, v123
	v_or_b32_sdwa v120, v125, v120 dst_sel:DWORD dst_unused:UNUSED_PAD src0_sel:WORD_0 src1_sel:DWORD
	v_sub_u16_e32 v124, v122, v123
	v_sub_u16_sdwa v125, v122, v123 dst_sel:BYTE_1 dst_unused:UNUSED_PAD src0_sel:BYTE_1 src1_sel:BYTE_1
	v_sub_u16_sdwa v121, v121, v123 dst_sel:BYTE_1 dst_unused:UNUSED_PAD src0_sel:DWORD src1_sel:BYTE_3
	v_sub_u16_sdwa v122, v122, v123 dst_sel:DWORD dst_unused:UNUSED_PAD src0_sel:WORD_1 src1_sel:WORD_1
	v_or_b32_sdwa v121, v122, v121 dst_sel:WORD_1 dst_unused:UNUSED_PAD src0_sel:BYTE_0 src1_sel:DWORD
	v_add_u32_e32 v122, s28, v77
	v_add3_u32 v123, s17, v96, v97
	ds_read_b32 v123, v123
	ds_read_u16 v116, v122 offset:2
	v_or_b32_sdwa v124, v124, v125 dst_sel:DWORD dst_unused:UNUSED_PAD src0_sel:BYTE_0 src1_sel:DWORD
	v_or_b32_sdwa v121, v124, v121 dst_sel:DWORD dst_unused:UNUSED_PAD src0_sel:WORD_0 src1_sel:DWORD
	v_dot4_i32_i8 v115, v120, v3, v115
	v_dot4_i32_i8 v115, v121, v4, v115
	s_waitcnt lgkmcnt(0)
	v_lshrrev_b16_e32 v117, 8, v116
	v_bfe_i32 v116, v116, 0, 8
	v_mul_lo_u32 v114, v114, v116
	v_bfe_i32 v117, v117, 0, 8
	v_add3_u32 v122, s29, v98, v99
	v_mad_u64_u32 v[114:115], s[30:31], v115, v117, v[114:115]
	v_mul_f32_e32 v115, v112, v123
	ds_read2_b32 v[116:117], v122 offset1:1
	v_cvt_f32_i32_e32 v114, v114
	v_fmac_f32_e32 v68, v115, v114
	v_add_u32_e32 v114, 0x2100, v113
	ds_read2_b32 v[114:115], v114 offset1:1
	s_waitcnt lgkmcnt(1)
	v_ashrrev_i32_e32 v116, s2, v116
	v_lshlrev_b32_e32 v116, 2, v116
	v_and_b32_e32 v116, 0x4040404, v116
	v_ashrrev_i32_e32 v117, s2, v117
	s_waitcnt lgkmcnt(0)
	v_ashrrev_i32_e32 v114, s16, v114
	v_and_b32_e32 v118, 0x3030303, v114
	v_bfe_u32 v114, v114, 24, 2
	v_sub_u16_e32 v119, v118, v116
	v_sub_u16_sdwa v120, v118, v116 dst_sel:BYTE_1 dst_unused:UNUSED_PAD src0_sel:BYTE_1 src1_sel:BYTE_1
	v_sub_u16_sdwa v114, v114, v116 dst_sel:BYTE_1 dst_unused:UNUSED_PAD src0_sel:DWORD src1_sel:BYTE_3
	v_sub_u16_sdwa v116, v118, v116 dst_sel:DWORD dst_unused:UNUSED_PAD src0_sel:WORD_1 src1_sel:WORD_1
	v_ashrrev_i32_e32 v115, s16, v115
	v_lshlrev_b32_e32 v117, 2, v117
	v_or_b32_sdwa v119, v119, v120 dst_sel:DWORD dst_unused:UNUSED_PAD src0_sel:BYTE_0 src1_sel:DWORD
	v_or_b32_sdwa v114, v116, v114 dst_sel:WORD_1 dst_unused:UNUSED_PAD src0_sel:BYTE_0 src1_sel:DWORD
	v_and_b32_e32 v116, 0x3030303, v115
	v_bfe_u32 v115, v115, 24, 2
	v_and_b32_e32 v117, 0x4040404, v117
	v_or_b32_sdwa v114, v119, v114 dst_sel:DWORD dst_unused:UNUSED_PAD src0_sel:WORD_0 src1_sel:DWORD
	v_sub_u16_e32 v118, v116, v117
	v_sub_u16_sdwa v119, v116, v117 dst_sel:BYTE_1 dst_unused:UNUSED_PAD src0_sel:BYTE_1 src1_sel:BYTE_1
	v_sub_u16_sdwa v115, v115, v117 dst_sel:BYTE_1 dst_unused:UNUSED_PAD src0_sel:DWORD src1_sel:BYTE_3
	v_sub_u16_sdwa v116, v116, v117 dst_sel:DWORD dst_unused:UNUSED_PAD src0_sel:WORD_1 src1_sel:WORD_1
	v_or_b32_sdwa v118, v118, v119 dst_sel:DWORD dst_unused:UNUSED_PAD src0_sel:BYTE_0 src1_sel:DWORD
	v_or_b32_sdwa v115, v116, v115 dst_sel:WORD_1 dst_unused:UNUSED_PAD src0_sel:BYTE_0 src1_sel:DWORD
	v_add_u32_e32 v116, 0x2108, v113
	v_or_b32_sdwa v115, v118, v115 dst_sel:DWORD dst_unused:UNUSED_PAD src0_sel:WORD_0 src1_sel:DWORD
	ds_read2_b32 v[116:117], v116 offset1:1
	ds_read2_b32 v[118:119], v122 offset0:2 offset1:3
	v_dot4_i32_i8 v114, v114, v5, 0
	v_dot4_i32_i8 v114, v115, v6, v114
	s_waitcnt lgkmcnt(1)
	v_ashrrev_i32_e32 v116, s16, v116
	s_waitcnt lgkmcnt(0)
	v_ashrrev_i32_e32 v118, s2, v118
	v_lshlrev_b32_e32 v118, 2, v118
	v_and_b32_e32 v120, 0x3030303, v116
	v_bfe_u32 v116, v116, 24, 2
	v_and_b32_e32 v118, 0x4040404, v118
	v_ashrrev_i32_e32 v119, s2, v119
	v_sub_u16_e32 v121, v120, v118
	v_sub_u16_sdwa v123, v120, v118 dst_sel:BYTE_1 dst_unused:UNUSED_PAD src0_sel:BYTE_1 src1_sel:BYTE_1
	v_sub_u16_sdwa v116, v116, v118 dst_sel:BYTE_1 dst_unused:UNUSED_PAD src0_sel:DWORD src1_sel:BYTE_3
	v_sub_u16_sdwa v118, v120, v118 dst_sel:DWORD dst_unused:UNUSED_PAD src0_sel:WORD_1 src1_sel:WORD_1
	v_ashrrev_i32_e32 v117, s16, v117
	v_lshlrev_b32_e32 v119, 2, v119
	v_or_b32_sdwa v121, v121, v123 dst_sel:DWORD dst_unused:UNUSED_PAD src0_sel:BYTE_0 src1_sel:DWORD
	v_or_b32_sdwa v116, v118, v116 dst_sel:WORD_1 dst_unused:UNUSED_PAD src0_sel:BYTE_0 src1_sel:DWORD
	v_and_b32_e32 v118, 0x3030303, v117
	v_bfe_u32 v117, v117, 24, 2
	v_and_b32_e32 v119, 0x4040404, v119
	v_or_b32_sdwa v116, v121, v116 dst_sel:DWORD dst_unused:UNUSED_PAD src0_sel:WORD_0 src1_sel:DWORD
	v_sub_u16_e32 v120, v118, v119
	v_sub_u16_sdwa v121, v118, v119 dst_sel:BYTE_1 dst_unused:UNUSED_PAD src0_sel:BYTE_1 src1_sel:BYTE_1
	v_sub_u16_sdwa v117, v117, v119 dst_sel:BYTE_1 dst_unused:UNUSED_PAD src0_sel:DWORD src1_sel:BYTE_3
	v_sub_u16_sdwa v118, v118, v119 dst_sel:DWORD dst_unused:UNUSED_PAD src0_sel:WORD_1 src1_sel:WORD_1
	v_or_b32_sdwa v120, v120, v121 dst_sel:DWORD dst_unused:UNUSED_PAD src0_sel:BYTE_0 src1_sel:DWORD
	v_or_b32_sdwa v117, v118, v117 dst_sel:WORD_1 dst_unused:UNUSED_PAD src0_sel:BYTE_0 src1_sel:DWORD
	v_add_u32_e32 v118, 0x2110, v113
	v_or_b32_sdwa v117, v120, v117 dst_sel:DWORD dst_unused:UNUSED_PAD src0_sel:WORD_0 src1_sel:DWORD
	ds_read2_b32 v[118:119], v118 offset1:1
	ds_read2_b32 v[120:121], v122 offset0:4 offset1:5
	v_dot4_i32_i8 v114, v116, v7, v114
	v_dot4_i32_i8 v114, v117, v8, v114
	s_waitcnt lgkmcnt(1)
	v_ashrrev_i32_e32 v118, s16, v118
	s_waitcnt lgkmcnt(0)
	v_ashrrev_i32_e32 v120, s2, v120
	v_lshlrev_b32_e32 v120, 2, v120
	v_and_b32_e32 v123, 0x3030303, v118
	v_bfe_u32 v118, v118, 24, 2
	v_and_b32_e32 v120, 0x4040404, v120
	v_ashrrev_i32_e32 v121, s2, v121
	;; [unrolled: 33-line block ×3, first 2 shown]
	v_sub_u16_e32 v125, v124, v122
	v_sub_u16_sdwa v126, v124, v122 dst_sel:BYTE_1 dst_unused:UNUSED_PAD src0_sel:BYTE_1 src1_sel:BYTE_1
	v_sub_u16_sdwa v120, v120, v122 dst_sel:BYTE_1 dst_unused:UNUSED_PAD src0_sel:DWORD src1_sel:BYTE_3
	v_sub_u16_sdwa v122, v124, v122 dst_sel:DWORD dst_unused:UNUSED_PAD src0_sel:WORD_1 src1_sel:WORD_1
	v_ashrrev_i32_e32 v121, s16, v121
	v_lshlrev_b32_e32 v123, 2, v123
	v_or_b32_sdwa v125, v125, v126 dst_sel:DWORD dst_unused:UNUSED_PAD src0_sel:BYTE_0 src1_sel:DWORD
	v_or_b32_sdwa v120, v122, v120 dst_sel:WORD_1 dst_unused:UNUSED_PAD src0_sel:BYTE_0 src1_sel:DWORD
	v_and_b32_e32 v122, 0x3030303, v121
	v_bfe_u32 v121, v121, 24, 2
	v_and_b32_e32 v123, 0x4040404, v123
	v_or_b32_sdwa v120, v125, v120 dst_sel:DWORD dst_unused:UNUSED_PAD src0_sel:WORD_0 src1_sel:DWORD
	v_sub_u16_e32 v124, v122, v123
	v_sub_u16_sdwa v125, v122, v123 dst_sel:BYTE_1 dst_unused:UNUSED_PAD src0_sel:BYTE_1 src1_sel:BYTE_1
	v_sub_u16_sdwa v121, v121, v123 dst_sel:BYTE_1 dst_unused:UNUSED_PAD src0_sel:DWORD src1_sel:BYTE_3
	v_sub_u16_sdwa v122, v122, v123 dst_sel:DWORD dst_unused:UNUSED_PAD src0_sel:WORD_1 src1_sel:WORD_1
	v_or_b32_sdwa v121, v122, v121 dst_sel:WORD_1 dst_unused:UNUSED_PAD src0_sel:BYTE_0 src1_sel:DWORD
	v_add_u32_e32 v122, s28, v75
	v_add3_u32 v123, s17, v100, v101
	ds_read_b32 v123, v123
	ds_read_u16 v116, v122 offset:2
	v_or_b32_sdwa v124, v124, v125 dst_sel:DWORD dst_unused:UNUSED_PAD src0_sel:BYTE_0 src1_sel:DWORD
	v_or_b32_sdwa v121, v124, v121 dst_sel:DWORD dst_unused:UNUSED_PAD src0_sel:WORD_0 src1_sel:DWORD
	v_dot4_i32_i8 v115, v120, v3, v115
	v_dot4_i32_i8 v115, v121, v4, v115
	s_waitcnt lgkmcnt(0)
	v_lshrrev_b16_e32 v117, 8, v116
	v_bfe_i32 v116, v116, 0, 8
	v_mul_lo_u32 v114, v114, v116
	v_bfe_i32 v117, v117, 0, 8
	v_add3_u32 v122, s29, v102, v103
	v_mad_u64_u32 v[114:115], s[30:31], v115, v117, v[114:115]
	v_mul_f32_e32 v115, v112, v123
	ds_read2_b32 v[116:117], v122 offset1:1
	v_cvt_f32_i32_e32 v114, v114
	v_fmac_f32_e32 v64, v115, v114
	v_add_u32_e32 v114, 0x3180, v113
	ds_read2_b32 v[114:115], v114 offset1:1
	s_waitcnt lgkmcnt(1)
	v_ashrrev_i32_e32 v116, s2, v116
	v_lshlrev_b32_e32 v116, 2, v116
	v_and_b32_e32 v116, 0x4040404, v116
	v_ashrrev_i32_e32 v117, s2, v117
	s_waitcnt lgkmcnt(0)
	v_ashrrev_i32_e32 v114, s16, v114
	v_and_b32_e32 v118, 0x3030303, v114
	v_bfe_u32 v114, v114, 24, 2
	v_sub_u16_e32 v119, v118, v116
	v_sub_u16_sdwa v120, v118, v116 dst_sel:BYTE_1 dst_unused:UNUSED_PAD src0_sel:BYTE_1 src1_sel:BYTE_1
	v_sub_u16_sdwa v114, v114, v116 dst_sel:BYTE_1 dst_unused:UNUSED_PAD src0_sel:DWORD src1_sel:BYTE_3
	v_sub_u16_sdwa v116, v118, v116 dst_sel:DWORD dst_unused:UNUSED_PAD src0_sel:WORD_1 src1_sel:WORD_1
	v_ashrrev_i32_e32 v115, s16, v115
	v_lshlrev_b32_e32 v117, 2, v117
	v_or_b32_sdwa v119, v119, v120 dst_sel:DWORD dst_unused:UNUSED_PAD src0_sel:BYTE_0 src1_sel:DWORD
	v_or_b32_sdwa v114, v116, v114 dst_sel:WORD_1 dst_unused:UNUSED_PAD src0_sel:BYTE_0 src1_sel:DWORD
	v_and_b32_e32 v116, 0x3030303, v115
	v_bfe_u32 v115, v115, 24, 2
	v_and_b32_e32 v117, 0x4040404, v117
	v_or_b32_sdwa v114, v119, v114 dst_sel:DWORD dst_unused:UNUSED_PAD src0_sel:WORD_0 src1_sel:DWORD
	v_sub_u16_e32 v118, v116, v117
	v_sub_u16_sdwa v119, v116, v117 dst_sel:BYTE_1 dst_unused:UNUSED_PAD src0_sel:BYTE_1 src1_sel:BYTE_1
	v_sub_u16_sdwa v115, v115, v117 dst_sel:BYTE_1 dst_unused:UNUSED_PAD src0_sel:DWORD src1_sel:BYTE_3
	v_sub_u16_sdwa v116, v116, v117 dst_sel:DWORD dst_unused:UNUSED_PAD src0_sel:WORD_1 src1_sel:WORD_1
	v_or_b32_sdwa v118, v118, v119 dst_sel:DWORD dst_unused:UNUSED_PAD src0_sel:BYTE_0 src1_sel:DWORD
	v_or_b32_sdwa v115, v116, v115 dst_sel:WORD_1 dst_unused:UNUSED_PAD src0_sel:BYTE_0 src1_sel:DWORD
	v_add_u32_e32 v116, 0x3188, v113
	v_or_b32_sdwa v115, v118, v115 dst_sel:DWORD dst_unused:UNUSED_PAD src0_sel:WORD_0 src1_sel:DWORD
	ds_read2_b32 v[116:117], v116 offset1:1
	ds_read2_b32 v[118:119], v122 offset0:2 offset1:3
	v_dot4_i32_i8 v5, v114, v5, 0
	v_dot4_i32_i8 v5, v115, v6, v5
	s_waitcnt lgkmcnt(1)
	v_ashrrev_i32_e32 v116, s16, v116
	s_waitcnt lgkmcnt(0)
	v_ashrrev_i32_e32 v118, s2, v118
	v_lshlrev_b32_e32 v118, 2, v118
	v_and_b32_e32 v120, 0x3030303, v116
	v_bfe_u32 v116, v116, 24, 2
	v_and_b32_e32 v118, 0x4040404, v118
	v_ashrrev_i32_e32 v119, s2, v119
	v_sub_u16_e32 v121, v120, v118
	v_sub_u16_sdwa v123, v120, v118 dst_sel:BYTE_1 dst_unused:UNUSED_PAD src0_sel:BYTE_1 src1_sel:BYTE_1
	v_sub_u16_sdwa v116, v116, v118 dst_sel:BYTE_1 dst_unused:UNUSED_PAD src0_sel:DWORD src1_sel:BYTE_3
	v_sub_u16_sdwa v118, v120, v118 dst_sel:DWORD dst_unused:UNUSED_PAD src0_sel:WORD_1 src1_sel:WORD_1
	v_ashrrev_i32_e32 v117, s16, v117
	v_lshlrev_b32_e32 v119, 2, v119
	v_or_b32_sdwa v121, v121, v123 dst_sel:DWORD dst_unused:UNUSED_PAD src0_sel:BYTE_0 src1_sel:DWORD
	v_or_b32_sdwa v116, v118, v116 dst_sel:WORD_1 dst_unused:UNUSED_PAD src0_sel:BYTE_0 src1_sel:DWORD
	v_and_b32_e32 v118, 0x3030303, v117
	v_bfe_u32 v117, v117, 24, 2
	v_and_b32_e32 v119, 0x4040404, v119
	v_or_b32_sdwa v116, v121, v116 dst_sel:DWORD dst_unused:UNUSED_PAD src0_sel:WORD_0 src1_sel:DWORD
	v_sub_u16_e32 v120, v118, v119
	v_sub_u16_sdwa v121, v118, v119 dst_sel:BYTE_1 dst_unused:UNUSED_PAD src0_sel:BYTE_1 src1_sel:BYTE_1
	v_sub_u16_sdwa v117, v117, v119 dst_sel:BYTE_1 dst_unused:UNUSED_PAD src0_sel:DWORD src1_sel:BYTE_3
	v_sub_u16_sdwa v118, v118, v119 dst_sel:DWORD dst_unused:UNUSED_PAD src0_sel:WORD_1 src1_sel:WORD_1
	v_or_b32_sdwa v120, v120, v121 dst_sel:DWORD dst_unused:UNUSED_PAD src0_sel:BYTE_0 src1_sel:DWORD
	v_or_b32_sdwa v117, v118, v117 dst_sel:WORD_1 dst_unused:UNUSED_PAD src0_sel:BYTE_0 src1_sel:DWORD
	v_add_u32_e32 v118, 0x3190, v113
	v_or_b32_sdwa v117, v120, v117 dst_sel:DWORD dst_unused:UNUSED_PAD src0_sel:WORD_0 src1_sel:DWORD
	ds_read2_b32 v[118:119], v118 offset1:1
	ds_read2_b32 v[120:121], v122 offset0:4 offset1:5
	v_add_u32_e32 v113, 0x3198, v113
	v_dot4_i32_i8 v5, v116, v7, v5
	v_dot4_i32_i8 v5, v117, v8, v5
	s_waitcnt lgkmcnt(1)
	v_ashrrev_i32_e32 v118, s16, v118
	s_waitcnt lgkmcnt(0)
	v_ashrrev_i32_e32 v120, s2, v120
	v_lshlrev_b32_e32 v120, 2, v120
	v_and_b32_e32 v123, 0x3030303, v118
	v_bfe_u32 v118, v118, 24, 2
	v_and_b32_e32 v120, 0x4040404, v120
	v_ashrrev_i32_e32 v121, s2, v121
	v_sub_u16_e32 v124, v123, v120
	v_sub_u16_sdwa v125, v123, v120 dst_sel:BYTE_1 dst_unused:UNUSED_PAD src0_sel:BYTE_1 src1_sel:BYTE_1
	v_sub_u16_sdwa v118, v118, v120 dst_sel:BYTE_1 dst_unused:UNUSED_PAD src0_sel:DWORD src1_sel:BYTE_3
	v_sub_u16_sdwa v120, v123, v120 dst_sel:DWORD dst_unused:UNUSED_PAD src0_sel:WORD_1 src1_sel:WORD_1
	v_ashrrev_i32_e32 v119, s16, v119
	v_lshlrev_b32_e32 v121, 2, v121
	v_or_b32_sdwa v124, v124, v125 dst_sel:DWORD dst_unused:UNUSED_PAD src0_sel:BYTE_0 src1_sel:DWORD
	v_or_b32_sdwa v118, v120, v118 dst_sel:WORD_1 dst_unused:UNUSED_PAD src0_sel:BYTE_0 src1_sel:DWORD
	v_and_b32_e32 v120, 0x3030303, v119
	v_bfe_u32 v119, v119, 24, 2
	v_and_b32_e32 v121, 0x4040404, v121
	v_or_b32_sdwa v118, v124, v118 dst_sel:DWORD dst_unused:UNUSED_PAD src0_sel:WORD_0 src1_sel:DWORD
	v_sub_u16_e32 v123, v120, v121
	v_sub_u16_sdwa v124, v120, v121 dst_sel:BYTE_1 dst_unused:UNUSED_PAD src0_sel:BYTE_1 src1_sel:BYTE_1
	v_sub_u16_sdwa v119, v119, v121 dst_sel:BYTE_1 dst_unused:UNUSED_PAD src0_sel:DWORD src1_sel:BYTE_3
	v_sub_u16_sdwa v120, v120, v121 dst_sel:DWORD dst_unused:UNUSED_PAD src0_sel:WORD_1 src1_sel:WORD_1
	v_or_b32_sdwa v123, v123, v124 dst_sel:DWORD dst_unused:UNUSED_PAD src0_sel:BYTE_0 src1_sel:DWORD
	v_or_b32_sdwa v119, v120, v119 dst_sel:WORD_1 dst_unused:UNUSED_PAD src0_sel:BYTE_0 src1_sel:DWORD
	v_or_b32_sdwa v119, v123, v119 dst_sel:DWORD dst_unused:UNUSED_PAD src0_sel:WORD_0 src1_sel:DWORD
	ds_read2_b32 v[120:121], v113 offset1:1
	ds_read2_b32 v[122:123], v122 offset0:6 offset1:7
	v_dot4_i32_i8 v1, v118, v1, 0
	v_dot4_i32_i8 v1, v119, v2, v1
	s_waitcnt lgkmcnt(1)
	v_ashrrev_i32_e32 v113, s16, v120
	s_waitcnt lgkmcnt(0)
	v_ashrrev_i32_e32 v122, s2, v122
	v_lshlrev_b32_e32 v122, 2, v122
	v_and_b32_e32 v120, 0x3030303, v113
	v_bfe_u32 v113, v113, 24, 2
	v_and_b32_e32 v122, 0x4040404, v122
	v_sub_u16_e32 v124, v120, v122
	v_sub_u16_sdwa v125, v120, v122 dst_sel:BYTE_1 dst_unused:UNUSED_PAD src0_sel:BYTE_1 src1_sel:BYTE_1
	v_sub_u16_sdwa v113, v113, v122 dst_sel:BYTE_1 dst_unused:UNUSED_PAD src0_sel:DWORD src1_sel:BYTE_3
	v_sub_u16_sdwa v120, v120, v122 dst_sel:DWORD dst_unused:UNUSED_PAD src0_sel:WORD_1 src1_sel:WORD_1
	v_ashrrev_i32_e32 v122, s2, v123
	v_or_b32_sdwa v113, v120, v113 dst_sel:WORD_1 dst_unused:UNUSED_PAD src0_sel:BYTE_0 src1_sel:DWORD
	v_ashrrev_i32_e32 v120, s16, v121
	v_lshlrev_b32_e32 v122, 2, v122
	v_or_b32_sdwa v124, v124, v125 dst_sel:DWORD dst_unused:UNUSED_PAD src0_sel:BYTE_0 src1_sel:DWORD
	v_and_b32_e32 v121, 0x3030303, v120
	v_bfe_u32 v120, v120, 24, 2
	v_and_b32_e32 v122, 0x4040404, v122
	v_or_b32_sdwa v113, v124, v113 dst_sel:DWORD dst_unused:UNUSED_PAD src0_sel:WORD_0 src1_sel:DWORD
	v_sub_u16_e32 v123, v121, v122
	v_sub_u16_sdwa v124, v121, v122 dst_sel:BYTE_1 dst_unused:UNUSED_PAD src0_sel:BYTE_1 src1_sel:BYTE_1
	v_sub_u16_sdwa v120, v120, v122 dst_sel:BYTE_1 dst_unused:UNUSED_PAD src0_sel:DWORD src1_sel:BYTE_3
	v_sub_u16_sdwa v121, v121, v122 dst_sel:DWORD dst_unused:UNUSED_PAD src0_sel:WORD_1 src1_sel:WORD_1
	v_or_b32_sdwa v123, v123, v124 dst_sel:DWORD dst_unused:UNUSED_PAD src0_sel:BYTE_0 src1_sel:DWORD
	v_or_b32_sdwa v120, v121, v120 dst_sel:WORD_1 dst_unused:UNUSED_PAD src0_sel:BYTE_0 src1_sel:DWORD
	v_or_b32_sdwa v120, v123, v120 dst_sel:DWORD dst_unused:UNUSED_PAD src0_sel:WORD_0 src1_sel:DWORD
	v_add_u32_e32 v122, s28, v73
	v_add3_u32 v121, s17, v104, v105
	v_dot4_i32_i8 v1, v113, v3, v1
	ds_read_b32 v121, v121
	v_dot4_i32_i8 v2, v120, v4, v1
	ds_read_u16 v1, v122 offset:2
	s_add_i32 s2, s2, 1
	s_cmp_lt_u32 s16, 6
	s_mov_b32 s17, s16
	s_waitcnt lgkmcnt(0)
	v_lshrrev_b16_e32 v3, 8, v1
	v_bfe_i32 v1, v1, 0, 8
	v_mul_lo_u32 v1, v5, v1
	v_bfe_i32 v3, v3, 0, 8
	v_mad_u64_u32 v[1:2], s[28:29], v2, v3, v[1:2]
	v_mul_f32_e32 v2, v112, v121
	v_cvt_f32_i32_e32 v1, v1
	v_fmac_f32_e32 v9, v2, v1
	s_cbranch_scc1 .LBB229_11
; %bb.12:                               ;   in Loop: Header=BB229_5 Depth=1
	s_or_b32 s2, s26, 0x80
	s_cmp_ge_i32 s2, s15
	s_barrier
	s_cbranch_scc1 .LBB229_4
; %bb.13:                               ;   in Loop: Header=BB229_5 Depth=1
	v_add_u32_e32 v1, s27, v65
	v_cmp_gt_i32_e64 s[2:3], s9, v1
	s_and_b64 s[16:17], s[0:1], s[2:3]
	s_and_saveexec_b64 s[2:3], s[16:17]
	s_cbranch_execz .LBB229_15
; %bb.14:                               ;   in Loop: Header=BB229_5 Depth=1
	v_add_u32_e32 v1, v69, v1
	v_mad_i64_i32 v[1:2], s[16:17], v1, 36, v[10:11]
	global_load_dword v1, v[1:2], off offset:4
	s_waitcnt vmcnt(0)
	ds_write_b32 v61, v1
.LBB229_15:                             ;   in Loop: Header=BB229_5 Depth=1
	s_or_b64 exec, exec, s[2:3]
	s_and_saveexec_b64 s[16:17], vcc
	s_cbranch_execz .LBB229_18
; %bb.16:                               ;   in Loop: Header=BB229_5 Depth=1
	v_or_b32_e32 v1, 4, v109
	v_cmp_gt_i32_e64 s[2:3], s9, v1
	s_and_b64 s[2:3], s[0:1], s[2:3]
	s_and_b64 exec, exec, s[2:3]
	s_cbranch_execz .LBB229_18
; %bb.17:                               ;   in Loop: Header=BB229_5 Depth=1
	v_ashrrev_i32_e32 v1, 31, v109
	v_add_co_u32_e64 v2, s[2:3], v69, v109
	v_addc_co_u32_e64 v3, s[2:3], v71, v1, s[2:3]
	v_mad_u64_u32 v[1:2], s[2:3], v2, 36, s[6:7]
	v_mad_i32_i24 v2, v3, 36, v2
	global_load_dword v1, v[1:2], off offset:144
	s_waitcnt vmcnt(0)
	v_cvt_f32_f16_e32 v1, v1
	ds_write_b32 v63, v1
.LBB229_18:                             ;   in Loop: Header=BB229_5 Depth=1
	s_or_b64 exec, exec, s[16:17]
	s_mov_b32 s2, 8
	s_mov_b32 s17, 6
	;; [unrolled: 1-line block ×3, first 2 shown]
	v_mov_b32_e32 v110, v60
	v_mov_b32_e32 v111, v62
	s_waitcnt lgkmcnt(0)
	s_barrier
.LBB229_19:                             ;   Parent Loop BB229_5 Depth=1
                                        ; =>  This Inner Loop Header: Depth=2
	s_add_i32 s16, s17, 2
	s_lshr_b32 s31, s16, 4
	s_and_b32 s30, s16, 0x3ffffff8
	v_lshl_add_u32 v113, s30, 2, v70
	s_lshl_b32 s30, s31, 5
	s_addk_i32 s30, 0x4200
	v_add3_u32 v122, s30, v106, v93
	ds_read_b32 v112, v111
	ds_read_b128 v[5:8], v110
	ds_read_b128 v[1:4], v110 offset:16
	ds_read2_b32 v[114:115], v113 offset1:1
	ds_read2_b32 v[116:117], v122 offset1:1
	s_add_i32 s29, s17, -6
	s_and_b32 s28, s2, -16
	s_add_i32 s28, s17, s28
	s_waitcnt lgkmcnt(1)
	v_ashrrev_i32_e32 v114, s29, v114
	s_waitcnt lgkmcnt(0)
	v_ashrrev_i32_e32 v116, s3, v116
	v_lshlrev_b32_e32 v116, 2, v116
	v_and_b32_e32 v118, 0x3030303, v114
	v_bfe_u32 v114, v114, 24, 2
	v_and_b32_e32 v116, 0x4040404, v116
	v_ashrrev_i32_e32 v117, s3, v117
	v_sub_u16_e32 v119, v118, v116
	v_sub_u16_sdwa v120, v118, v116 dst_sel:BYTE_1 dst_unused:UNUSED_PAD src0_sel:BYTE_1 src1_sel:BYTE_1
	v_sub_u16_sdwa v114, v114, v116 dst_sel:BYTE_1 dst_unused:UNUSED_PAD src0_sel:DWORD src1_sel:BYTE_3
	v_sub_u16_sdwa v116, v118, v116 dst_sel:DWORD dst_unused:UNUSED_PAD src0_sel:WORD_1 src1_sel:WORD_1
	v_ashrrev_i32_e32 v115, s29, v115
	v_lshlrev_b32_e32 v117, 2, v117
	v_or_b32_sdwa v119, v119, v120 dst_sel:DWORD dst_unused:UNUSED_PAD src0_sel:BYTE_0 src1_sel:DWORD
	v_or_b32_sdwa v114, v116, v114 dst_sel:WORD_1 dst_unused:UNUSED_PAD src0_sel:BYTE_0 src1_sel:DWORD
	v_and_b32_e32 v116, 0x3030303, v115
	v_bfe_u32 v115, v115, 24, 2
	v_and_b32_e32 v117, 0x4040404, v117
	v_or_b32_sdwa v114, v119, v114 dst_sel:DWORD dst_unused:UNUSED_PAD src0_sel:WORD_0 src1_sel:DWORD
	v_sub_u16_e32 v118, v116, v117
	v_sub_u16_sdwa v119, v116, v117 dst_sel:BYTE_1 dst_unused:UNUSED_PAD src0_sel:BYTE_1 src1_sel:BYTE_1
	v_sub_u16_sdwa v115, v115, v117 dst_sel:BYTE_1 dst_unused:UNUSED_PAD src0_sel:DWORD src1_sel:BYTE_3
	v_sub_u16_sdwa v116, v116, v117 dst_sel:DWORD dst_unused:UNUSED_PAD src0_sel:WORD_1 src1_sel:WORD_1
	v_or_b32_sdwa v118, v118, v119 dst_sel:DWORD dst_unused:UNUSED_PAD src0_sel:BYTE_0 src1_sel:DWORD
	v_or_b32_sdwa v115, v116, v115 dst_sel:WORD_1 dst_unused:UNUSED_PAD src0_sel:BYTE_0 src1_sel:DWORD
	v_or_b32_sdwa v115, v118, v115 dst_sel:DWORD dst_unused:UNUSED_PAD src0_sel:WORD_0 src1_sel:DWORD
	ds_read2_b32 v[116:117], v113 offset0:2 offset1:3
	ds_read2_b32 v[118:119], v122 offset0:2 offset1:3
	s_lshl_b32 s17, s31, 2
	s_addk_i32 s17, 0x7380
	v_dot4_i32_i8 v114, v114, v5, 0
	s_waitcnt lgkmcnt(1)
	v_ashrrev_i32_e32 v116, s29, v116
	s_waitcnt lgkmcnt(0)
	v_ashrrev_i32_e32 v118, s3, v118
	v_lshlrev_b32_e32 v118, 2, v118
	v_and_b32_e32 v120, 0x3030303, v116
	v_bfe_u32 v116, v116, 24, 2
	v_and_b32_e32 v118, 0x4040404, v118
	v_ashrrev_i32_e32 v119, s3, v119
	v_sub_u16_e32 v121, v120, v118
	v_sub_u16_sdwa v123, v120, v118 dst_sel:BYTE_1 dst_unused:UNUSED_PAD src0_sel:BYTE_1 src1_sel:BYTE_1
	v_sub_u16_sdwa v116, v116, v118 dst_sel:BYTE_1 dst_unused:UNUSED_PAD src0_sel:DWORD src1_sel:BYTE_3
	v_sub_u16_sdwa v118, v120, v118 dst_sel:DWORD dst_unused:UNUSED_PAD src0_sel:WORD_1 src1_sel:WORD_1
	v_ashrrev_i32_e32 v117, s29, v117
	v_lshlrev_b32_e32 v119, 2, v119
	v_or_b32_sdwa v121, v121, v123 dst_sel:DWORD dst_unused:UNUSED_PAD src0_sel:BYTE_0 src1_sel:DWORD
	v_or_b32_sdwa v116, v118, v116 dst_sel:WORD_1 dst_unused:UNUSED_PAD src0_sel:BYTE_0 src1_sel:DWORD
	v_and_b32_e32 v118, 0x3030303, v117
	v_bfe_u32 v117, v117, 24, 2
	v_and_b32_e32 v119, 0x4040404, v119
	v_or_b32_sdwa v116, v121, v116 dst_sel:DWORD dst_unused:UNUSED_PAD src0_sel:WORD_0 src1_sel:DWORD
	v_sub_u16_e32 v120, v118, v119
	v_sub_u16_sdwa v121, v118, v119 dst_sel:BYTE_1 dst_unused:UNUSED_PAD src0_sel:BYTE_1 src1_sel:BYTE_1
	v_sub_u16_sdwa v117, v117, v119 dst_sel:BYTE_1 dst_unused:UNUSED_PAD src0_sel:DWORD src1_sel:BYTE_3
	v_sub_u16_sdwa v118, v118, v119 dst_sel:DWORD dst_unused:UNUSED_PAD src0_sel:WORD_1 src1_sel:WORD_1
	v_or_b32_sdwa v120, v120, v121 dst_sel:DWORD dst_unused:UNUSED_PAD src0_sel:BYTE_0 src1_sel:DWORD
	v_or_b32_sdwa v117, v118, v117 dst_sel:WORD_1 dst_unused:UNUSED_PAD src0_sel:BYTE_0 src1_sel:DWORD
	v_or_b32_sdwa v117, v120, v117 dst_sel:DWORD dst_unused:UNUSED_PAD src0_sel:WORD_0 src1_sel:DWORD
	ds_read2_b32 v[118:119], v113 offset0:4 offset1:5
	ds_read2_b32 v[120:121], v122 offset0:4 offset1:5
	v_dot4_i32_i8 v114, v115, v6, v114
	v_dot4_i32_i8 v114, v116, v7, v114
	;; [unrolled: 1-line block ×3, first 2 shown]
	s_waitcnt lgkmcnt(1)
	v_ashrrev_i32_e32 v118, s29, v118
	s_waitcnt lgkmcnt(0)
	v_ashrrev_i32_e32 v120, s3, v120
	v_lshlrev_b32_e32 v120, 2, v120
	v_and_b32_e32 v123, 0x3030303, v118
	v_bfe_u32 v118, v118, 24, 2
	v_and_b32_e32 v120, 0x4040404, v120
	v_ashrrev_i32_e32 v121, s3, v121
	v_sub_u16_e32 v124, v123, v120
	v_sub_u16_sdwa v125, v123, v120 dst_sel:BYTE_1 dst_unused:UNUSED_PAD src0_sel:BYTE_1 src1_sel:BYTE_1
	v_sub_u16_sdwa v118, v118, v120 dst_sel:BYTE_1 dst_unused:UNUSED_PAD src0_sel:DWORD src1_sel:BYTE_3
	v_sub_u16_sdwa v120, v123, v120 dst_sel:DWORD dst_unused:UNUSED_PAD src0_sel:WORD_1 src1_sel:WORD_1
	v_ashrrev_i32_e32 v119, s29, v119
	v_lshlrev_b32_e32 v121, 2, v121
	v_or_b32_sdwa v124, v124, v125 dst_sel:DWORD dst_unused:UNUSED_PAD src0_sel:BYTE_0 src1_sel:DWORD
	v_or_b32_sdwa v118, v120, v118 dst_sel:WORD_1 dst_unused:UNUSED_PAD src0_sel:BYTE_0 src1_sel:DWORD
	v_and_b32_e32 v120, 0x3030303, v119
	v_bfe_u32 v119, v119, 24, 2
	v_and_b32_e32 v121, 0x4040404, v121
	v_or_b32_sdwa v118, v124, v118 dst_sel:DWORD dst_unused:UNUSED_PAD src0_sel:WORD_0 src1_sel:DWORD
	v_sub_u16_e32 v123, v120, v121
	v_sub_u16_sdwa v124, v120, v121 dst_sel:BYTE_1 dst_unused:UNUSED_PAD src0_sel:BYTE_1 src1_sel:BYTE_1
	v_sub_u16_sdwa v119, v119, v121 dst_sel:BYTE_1 dst_unused:UNUSED_PAD src0_sel:DWORD src1_sel:BYTE_3
	v_sub_u16_sdwa v120, v120, v121 dst_sel:DWORD dst_unused:UNUSED_PAD src0_sel:WORD_1 src1_sel:WORD_1
	v_or_b32_sdwa v123, v123, v124 dst_sel:DWORD dst_unused:UNUSED_PAD src0_sel:BYTE_0 src1_sel:DWORD
	v_or_b32_sdwa v119, v120, v119 dst_sel:WORD_1 dst_unused:UNUSED_PAD src0_sel:BYTE_0 src1_sel:DWORD
	v_or_b32_sdwa v119, v123, v119 dst_sel:DWORD dst_unused:UNUSED_PAD src0_sel:WORD_0 src1_sel:DWORD
	ds_read2_b32 v[120:121], v113 offset0:6 offset1:7
	ds_read2_b32 v[122:123], v122 offset0:6 offset1:7
	v_dot4_i32_i8 v115, v118, v1, 0
	v_dot4_i32_i8 v115, v119, v2, v115
	s_add_i32 s2, s2, 2
	s_waitcnt lgkmcnt(1)
	v_ashrrev_i32_e32 v120, s29, v120
	s_waitcnt lgkmcnt(0)
	v_ashrrev_i32_e32 v122, s3, v122
	v_lshlrev_b32_e32 v122, 2, v122
	v_and_b32_e32 v124, 0x3030303, v120
	v_bfe_u32 v120, v120, 24, 2
	v_and_b32_e32 v122, 0x4040404, v122
	v_ashrrev_i32_e32 v123, s3, v123
	v_sub_u16_e32 v125, v124, v122
	v_sub_u16_sdwa v126, v124, v122 dst_sel:BYTE_1 dst_unused:UNUSED_PAD src0_sel:BYTE_1 src1_sel:BYTE_1
	v_sub_u16_sdwa v120, v120, v122 dst_sel:BYTE_1 dst_unused:UNUSED_PAD src0_sel:DWORD src1_sel:BYTE_3
	v_sub_u16_sdwa v122, v124, v122 dst_sel:DWORD dst_unused:UNUSED_PAD src0_sel:WORD_1 src1_sel:WORD_1
	v_ashrrev_i32_e32 v121, s29, v121
	v_lshlrev_b32_e32 v123, 2, v123
	v_or_b32_sdwa v125, v125, v126 dst_sel:DWORD dst_unused:UNUSED_PAD src0_sel:BYTE_0 src1_sel:DWORD
	v_or_b32_sdwa v120, v122, v120 dst_sel:WORD_1 dst_unused:UNUSED_PAD src0_sel:BYTE_0 src1_sel:DWORD
	v_and_b32_e32 v122, 0x3030303, v121
	v_bfe_u32 v121, v121, 24, 2
	v_and_b32_e32 v123, 0x4040404, v123
	v_or_b32_sdwa v120, v125, v120 dst_sel:DWORD dst_unused:UNUSED_PAD src0_sel:WORD_0 src1_sel:DWORD
	v_sub_u16_e32 v124, v122, v123
	v_sub_u16_sdwa v125, v122, v123 dst_sel:BYTE_1 dst_unused:UNUSED_PAD src0_sel:BYTE_1 src1_sel:BYTE_1
	v_sub_u16_sdwa v121, v121, v123 dst_sel:BYTE_1 dst_unused:UNUSED_PAD src0_sel:DWORD src1_sel:BYTE_3
	v_sub_u16_sdwa v122, v122, v123 dst_sel:DWORD dst_unused:UNUSED_PAD src0_sel:WORD_1 src1_sel:WORD_1
	v_or_b32_sdwa v121, v122, v121 dst_sel:WORD_1 dst_unused:UNUSED_PAD src0_sel:BYTE_0 src1_sel:DWORD
	v_add_u32_e32 v122, s28, v78
	v_add3_u32 v123, s17, v107, v108
	ds_read_b32 v123, v123
	ds_read_u16 v116, v122 offset:25346
	v_or_b32_sdwa v124, v124, v125 dst_sel:DWORD dst_unused:UNUSED_PAD src0_sel:BYTE_0 src1_sel:DWORD
	v_or_b32_sdwa v121, v124, v121 dst_sel:DWORD dst_unused:UNUSED_PAD src0_sel:WORD_0 src1_sel:DWORD
	v_dot4_i32_i8 v115, v120, v3, v115
	v_dot4_i32_i8 v115, v121, v4, v115
	s_waitcnt lgkmcnt(0)
	v_lshrrev_b16_e32 v117, 8, v116
	v_bfe_i32 v116, v116, 0, 8
	v_mul_lo_u32 v114, v114, v116
	v_bfe_i32 v117, v117, 0, 8
	v_add3_u32 v122, s30, v94, v95
	v_add_u32_e32 v111, 4, v111
	v_mad_u64_u32 v[114:115], s[34:35], v115, v117, v[114:115]
	v_mul_f32_e32 v115, v112, v123
	ds_read2_b32 v[116:117], v122 offset1:1
	v_cvt_f32_i32_e32 v114, v114
	v_add_u32_e32 v110, 32, v110
	v_fmac_f32_e32 v13, v115, v114
	v_add_u32_e32 v114, 0x1080, v113
	ds_read2_b32 v[114:115], v114 offset1:1
	s_waitcnt lgkmcnt(1)
	v_ashrrev_i32_e32 v116, s3, v116
	v_lshlrev_b32_e32 v116, 2, v116
	v_and_b32_e32 v116, 0x4040404, v116
	v_ashrrev_i32_e32 v117, s3, v117
	s_waitcnt lgkmcnt(0)
	v_ashrrev_i32_e32 v114, s29, v114
	v_and_b32_e32 v118, 0x3030303, v114
	v_bfe_u32 v114, v114, 24, 2
	v_sub_u16_e32 v119, v118, v116
	v_sub_u16_sdwa v120, v118, v116 dst_sel:BYTE_1 dst_unused:UNUSED_PAD src0_sel:BYTE_1 src1_sel:BYTE_1
	v_sub_u16_sdwa v114, v114, v116 dst_sel:BYTE_1 dst_unused:UNUSED_PAD src0_sel:DWORD src1_sel:BYTE_3
	v_sub_u16_sdwa v116, v118, v116 dst_sel:DWORD dst_unused:UNUSED_PAD src0_sel:WORD_1 src1_sel:WORD_1
	v_ashrrev_i32_e32 v115, s29, v115
	v_lshlrev_b32_e32 v117, 2, v117
	v_or_b32_sdwa v119, v119, v120 dst_sel:DWORD dst_unused:UNUSED_PAD src0_sel:BYTE_0 src1_sel:DWORD
	v_or_b32_sdwa v114, v116, v114 dst_sel:WORD_1 dst_unused:UNUSED_PAD src0_sel:BYTE_0 src1_sel:DWORD
	v_and_b32_e32 v116, 0x3030303, v115
	v_bfe_u32 v115, v115, 24, 2
	v_and_b32_e32 v117, 0x4040404, v117
	v_or_b32_sdwa v114, v119, v114 dst_sel:DWORD dst_unused:UNUSED_PAD src0_sel:WORD_0 src1_sel:DWORD
	v_sub_u16_e32 v118, v116, v117
	v_sub_u16_sdwa v119, v116, v117 dst_sel:BYTE_1 dst_unused:UNUSED_PAD src0_sel:BYTE_1 src1_sel:BYTE_1
	v_sub_u16_sdwa v115, v115, v117 dst_sel:BYTE_1 dst_unused:UNUSED_PAD src0_sel:DWORD src1_sel:BYTE_3
	v_sub_u16_sdwa v116, v116, v117 dst_sel:DWORD dst_unused:UNUSED_PAD src0_sel:WORD_1 src1_sel:WORD_1
	v_or_b32_sdwa v118, v118, v119 dst_sel:DWORD dst_unused:UNUSED_PAD src0_sel:BYTE_0 src1_sel:DWORD
	v_or_b32_sdwa v115, v116, v115 dst_sel:WORD_1 dst_unused:UNUSED_PAD src0_sel:BYTE_0 src1_sel:DWORD
	v_add_u32_e32 v116, 0x1088, v113
	v_or_b32_sdwa v115, v118, v115 dst_sel:DWORD dst_unused:UNUSED_PAD src0_sel:WORD_0 src1_sel:DWORD
	ds_read2_b32 v[116:117], v116 offset1:1
	ds_read2_b32 v[118:119], v122 offset0:2 offset1:3
	v_dot4_i32_i8 v114, v114, v5, 0
	v_dot4_i32_i8 v114, v115, v6, v114
	s_waitcnt lgkmcnt(1)
	v_ashrrev_i32_e32 v116, s29, v116
	s_waitcnt lgkmcnt(0)
	v_ashrrev_i32_e32 v118, s3, v118
	v_lshlrev_b32_e32 v118, 2, v118
	v_and_b32_e32 v120, 0x3030303, v116
	v_bfe_u32 v116, v116, 24, 2
	v_and_b32_e32 v118, 0x4040404, v118
	v_ashrrev_i32_e32 v119, s3, v119
	v_sub_u16_e32 v121, v120, v118
	v_sub_u16_sdwa v123, v120, v118 dst_sel:BYTE_1 dst_unused:UNUSED_PAD src0_sel:BYTE_1 src1_sel:BYTE_1
	v_sub_u16_sdwa v116, v116, v118 dst_sel:BYTE_1 dst_unused:UNUSED_PAD src0_sel:DWORD src1_sel:BYTE_3
	v_sub_u16_sdwa v118, v120, v118 dst_sel:DWORD dst_unused:UNUSED_PAD src0_sel:WORD_1 src1_sel:WORD_1
	v_ashrrev_i32_e32 v117, s29, v117
	v_lshlrev_b32_e32 v119, 2, v119
	v_or_b32_sdwa v121, v121, v123 dst_sel:DWORD dst_unused:UNUSED_PAD src0_sel:BYTE_0 src1_sel:DWORD
	v_or_b32_sdwa v116, v118, v116 dst_sel:WORD_1 dst_unused:UNUSED_PAD src0_sel:BYTE_0 src1_sel:DWORD
	v_and_b32_e32 v118, 0x3030303, v117
	v_bfe_u32 v117, v117, 24, 2
	v_and_b32_e32 v119, 0x4040404, v119
	v_or_b32_sdwa v116, v121, v116 dst_sel:DWORD dst_unused:UNUSED_PAD src0_sel:WORD_0 src1_sel:DWORD
	v_sub_u16_e32 v120, v118, v119
	v_sub_u16_sdwa v121, v118, v119 dst_sel:BYTE_1 dst_unused:UNUSED_PAD src0_sel:BYTE_1 src1_sel:BYTE_1
	v_sub_u16_sdwa v117, v117, v119 dst_sel:BYTE_1 dst_unused:UNUSED_PAD src0_sel:DWORD src1_sel:BYTE_3
	v_sub_u16_sdwa v118, v118, v119 dst_sel:DWORD dst_unused:UNUSED_PAD src0_sel:WORD_1 src1_sel:WORD_1
	v_or_b32_sdwa v120, v120, v121 dst_sel:DWORD dst_unused:UNUSED_PAD src0_sel:BYTE_0 src1_sel:DWORD
	v_or_b32_sdwa v117, v118, v117 dst_sel:WORD_1 dst_unused:UNUSED_PAD src0_sel:BYTE_0 src1_sel:DWORD
	v_add_u32_e32 v118, 0x1090, v113
	v_or_b32_sdwa v117, v120, v117 dst_sel:DWORD dst_unused:UNUSED_PAD src0_sel:WORD_0 src1_sel:DWORD
	ds_read2_b32 v[118:119], v118 offset1:1
	ds_read2_b32 v[120:121], v122 offset0:4 offset1:5
	v_dot4_i32_i8 v114, v116, v7, v114
	v_dot4_i32_i8 v114, v117, v8, v114
	s_waitcnt lgkmcnt(1)
	v_ashrrev_i32_e32 v118, s29, v118
	s_waitcnt lgkmcnt(0)
	v_ashrrev_i32_e32 v120, s3, v120
	v_lshlrev_b32_e32 v120, 2, v120
	v_and_b32_e32 v123, 0x3030303, v118
	v_bfe_u32 v118, v118, 24, 2
	v_and_b32_e32 v120, 0x4040404, v120
	v_ashrrev_i32_e32 v121, s3, v121
	;; [unrolled: 33-line block ×3, first 2 shown]
	v_sub_u16_e32 v125, v124, v122
	v_sub_u16_sdwa v126, v124, v122 dst_sel:BYTE_1 dst_unused:UNUSED_PAD src0_sel:BYTE_1 src1_sel:BYTE_1
	v_sub_u16_sdwa v120, v120, v122 dst_sel:BYTE_1 dst_unused:UNUSED_PAD src0_sel:DWORD src1_sel:BYTE_3
	v_sub_u16_sdwa v122, v124, v122 dst_sel:DWORD dst_unused:UNUSED_PAD src0_sel:WORD_1 src1_sel:WORD_1
	v_ashrrev_i32_e32 v121, s29, v121
	v_lshlrev_b32_e32 v123, 2, v123
	v_or_b32_sdwa v125, v125, v126 dst_sel:DWORD dst_unused:UNUSED_PAD src0_sel:BYTE_0 src1_sel:DWORD
	v_or_b32_sdwa v120, v122, v120 dst_sel:WORD_1 dst_unused:UNUSED_PAD src0_sel:BYTE_0 src1_sel:DWORD
	v_and_b32_e32 v122, 0x3030303, v121
	v_bfe_u32 v121, v121, 24, 2
	v_and_b32_e32 v123, 0x4040404, v123
	v_or_b32_sdwa v120, v125, v120 dst_sel:DWORD dst_unused:UNUSED_PAD src0_sel:WORD_0 src1_sel:DWORD
	v_sub_u16_e32 v124, v122, v123
	v_sub_u16_sdwa v125, v122, v123 dst_sel:BYTE_1 dst_unused:UNUSED_PAD src0_sel:BYTE_1 src1_sel:BYTE_1
	v_sub_u16_sdwa v121, v121, v123 dst_sel:BYTE_1 dst_unused:UNUSED_PAD src0_sel:DWORD src1_sel:BYTE_3
	v_sub_u16_sdwa v122, v122, v123 dst_sel:DWORD dst_unused:UNUSED_PAD src0_sel:WORD_1 src1_sel:WORD_1
	v_or_b32_sdwa v121, v122, v121 dst_sel:WORD_1 dst_unused:UNUSED_PAD src0_sel:BYTE_0 src1_sel:DWORD
	v_add_u32_e32 v122, s28, v76
	v_add3_u32 v123, s17, v96, v97
	ds_read_b32 v123, v123
	ds_read_u16 v116, v122 offset:26370
	v_or_b32_sdwa v124, v124, v125 dst_sel:DWORD dst_unused:UNUSED_PAD src0_sel:BYTE_0 src1_sel:DWORD
	v_or_b32_sdwa v121, v124, v121 dst_sel:DWORD dst_unused:UNUSED_PAD src0_sel:WORD_0 src1_sel:DWORD
	v_dot4_i32_i8 v115, v120, v3, v115
	v_dot4_i32_i8 v115, v121, v4, v115
	s_waitcnt lgkmcnt(0)
	v_lshrrev_b16_e32 v117, 8, v116
	v_bfe_i32 v116, v116, 0, 8
	v_mul_lo_u32 v114, v114, v116
	v_bfe_i32 v117, v117, 0, 8
	v_add3_u32 v122, s30, v98, v99
	v_mad_u64_u32 v[114:115], s[34:35], v115, v117, v[114:115]
	v_mul_f32_e32 v115, v112, v123
	ds_read2_b32 v[116:117], v122 offset1:1
	v_cvt_f32_i32_e32 v114, v114
	v_fmac_f32_e32 v68, v115, v114
	v_add_u32_e32 v114, 0x2100, v113
	ds_read2_b32 v[114:115], v114 offset1:1
	s_waitcnt lgkmcnt(1)
	v_ashrrev_i32_e32 v116, s3, v116
	v_lshlrev_b32_e32 v116, 2, v116
	v_and_b32_e32 v116, 0x4040404, v116
	v_ashrrev_i32_e32 v117, s3, v117
	s_waitcnt lgkmcnt(0)
	v_ashrrev_i32_e32 v114, s29, v114
	v_and_b32_e32 v118, 0x3030303, v114
	v_bfe_u32 v114, v114, 24, 2
	v_sub_u16_e32 v119, v118, v116
	v_sub_u16_sdwa v120, v118, v116 dst_sel:BYTE_1 dst_unused:UNUSED_PAD src0_sel:BYTE_1 src1_sel:BYTE_1
	v_sub_u16_sdwa v114, v114, v116 dst_sel:BYTE_1 dst_unused:UNUSED_PAD src0_sel:DWORD src1_sel:BYTE_3
	v_sub_u16_sdwa v116, v118, v116 dst_sel:DWORD dst_unused:UNUSED_PAD src0_sel:WORD_1 src1_sel:WORD_1
	v_ashrrev_i32_e32 v115, s29, v115
	v_lshlrev_b32_e32 v117, 2, v117
	v_or_b32_sdwa v119, v119, v120 dst_sel:DWORD dst_unused:UNUSED_PAD src0_sel:BYTE_0 src1_sel:DWORD
	v_or_b32_sdwa v114, v116, v114 dst_sel:WORD_1 dst_unused:UNUSED_PAD src0_sel:BYTE_0 src1_sel:DWORD
	v_and_b32_e32 v116, 0x3030303, v115
	v_bfe_u32 v115, v115, 24, 2
	v_and_b32_e32 v117, 0x4040404, v117
	v_or_b32_sdwa v114, v119, v114 dst_sel:DWORD dst_unused:UNUSED_PAD src0_sel:WORD_0 src1_sel:DWORD
	v_sub_u16_e32 v118, v116, v117
	v_sub_u16_sdwa v119, v116, v117 dst_sel:BYTE_1 dst_unused:UNUSED_PAD src0_sel:BYTE_1 src1_sel:BYTE_1
	v_sub_u16_sdwa v115, v115, v117 dst_sel:BYTE_1 dst_unused:UNUSED_PAD src0_sel:DWORD src1_sel:BYTE_3
	v_sub_u16_sdwa v116, v116, v117 dst_sel:DWORD dst_unused:UNUSED_PAD src0_sel:WORD_1 src1_sel:WORD_1
	v_or_b32_sdwa v118, v118, v119 dst_sel:DWORD dst_unused:UNUSED_PAD src0_sel:BYTE_0 src1_sel:DWORD
	v_or_b32_sdwa v115, v116, v115 dst_sel:WORD_1 dst_unused:UNUSED_PAD src0_sel:BYTE_0 src1_sel:DWORD
	v_add_u32_e32 v116, 0x2108, v113
	v_or_b32_sdwa v115, v118, v115 dst_sel:DWORD dst_unused:UNUSED_PAD src0_sel:WORD_0 src1_sel:DWORD
	ds_read2_b32 v[116:117], v116 offset1:1
	ds_read2_b32 v[118:119], v122 offset0:2 offset1:3
	v_dot4_i32_i8 v114, v114, v5, 0
	v_dot4_i32_i8 v114, v115, v6, v114
	s_waitcnt lgkmcnt(1)
	v_ashrrev_i32_e32 v116, s29, v116
	s_waitcnt lgkmcnt(0)
	v_ashrrev_i32_e32 v118, s3, v118
	v_lshlrev_b32_e32 v118, 2, v118
	v_and_b32_e32 v120, 0x3030303, v116
	v_bfe_u32 v116, v116, 24, 2
	v_and_b32_e32 v118, 0x4040404, v118
	v_ashrrev_i32_e32 v119, s3, v119
	v_sub_u16_e32 v121, v120, v118
	v_sub_u16_sdwa v123, v120, v118 dst_sel:BYTE_1 dst_unused:UNUSED_PAD src0_sel:BYTE_1 src1_sel:BYTE_1
	v_sub_u16_sdwa v116, v116, v118 dst_sel:BYTE_1 dst_unused:UNUSED_PAD src0_sel:DWORD src1_sel:BYTE_3
	v_sub_u16_sdwa v118, v120, v118 dst_sel:DWORD dst_unused:UNUSED_PAD src0_sel:WORD_1 src1_sel:WORD_1
	v_ashrrev_i32_e32 v117, s29, v117
	v_lshlrev_b32_e32 v119, 2, v119
	v_or_b32_sdwa v121, v121, v123 dst_sel:DWORD dst_unused:UNUSED_PAD src0_sel:BYTE_0 src1_sel:DWORD
	v_or_b32_sdwa v116, v118, v116 dst_sel:WORD_1 dst_unused:UNUSED_PAD src0_sel:BYTE_0 src1_sel:DWORD
	v_and_b32_e32 v118, 0x3030303, v117
	v_bfe_u32 v117, v117, 24, 2
	v_and_b32_e32 v119, 0x4040404, v119
	v_or_b32_sdwa v116, v121, v116 dst_sel:DWORD dst_unused:UNUSED_PAD src0_sel:WORD_0 src1_sel:DWORD
	v_sub_u16_e32 v120, v118, v119
	v_sub_u16_sdwa v121, v118, v119 dst_sel:BYTE_1 dst_unused:UNUSED_PAD src0_sel:BYTE_1 src1_sel:BYTE_1
	v_sub_u16_sdwa v117, v117, v119 dst_sel:BYTE_1 dst_unused:UNUSED_PAD src0_sel:DWORD src1_sel:BYTE_3
	v_sub_u16_sdwa v118, v118, v119 dst_sel:DWORD dst_unused:UNUSED_PAD src0_sel:WORD_1 src1_sel:WORD_1
	v_or_b32_sdwa v120, v120, v121 dst_sel:DWORD dst_unused:UNUSED_PAD src0_sel:BYTE_0 src1_sel:DWORD
	v_or_b32_sdwa v117, v118, v117 dst_sel:WORD_1 dst_unused:UNUSED_PAD src0_sel:BYTE_0 src1_sel:DWORD
	v_add_u32_e32 v118, 0x2110, v113
	v_or_b32_sdwa v117, v120, v117 dst_sel:DWORD dst_unused:UNUSED_PAD src0_sel:WORD_0 src1_sel:DWORD
	ds_read2_b32 v[118:119], v118 offset1:1
	ds_read2_b32 v[120:121], v122 offset0:4 offset1:5
	v_dot4_i32_i8 v114, v116, v7, v114
	v_dot4_i32_i8 v114, v117, v8, v114
	s_waitcnt lgkmcnt(1)
	v_ashrrev_i32_e32 v118, s29, v118
	s_waitcnt lgkmcnt(0)
	v_ashrrev_i32_e32 v120, s3, v120
	v_lshlrev_b32_e32 v120, 2, v120
	v_and_b32_e32 v123, 0x3030303, v118
	v_bfe_u32 v118, v118, 24, 2
	v_and_b32_e32 v120, 0x4040404, v120
	v_ashrrev_i32_e32 v121, s3, v121
	;; [unrolled: 33-line block ×3, first 2 shown]
	v_sub_u16_e32 v125, v124, v122
	v_sub_u16_sdwa v126, v124, v122 dst_sel:BYTE_1 dst_unused:UNUSED_PAD src0_sel:BYTE_1 src1_sel:BYTE_1
	v_sub_u16_sdwa v120, v120, v122 dst_sel:BYTE_1 dst_unused:UNUSED_PAD src0_sel:DWORD src1_sel:BYTE_3
	v_sub_u16_sdwa v122, v124, v122 dst_sel:DWORD dst_unused:UNUSED_PAD src0_sel:WORD_1 src1_sel:WORD_1
	v_ashrrev_i32_e32 v121, s29, v121
	v_lshlrev_b32_e32 v123, 2, v123
	v_or_b32_sdwa v125, v125, v126 dst_sel:DWORD dst_unused:UNUSED_PAD src0_sel:BYTE_0 src1_sel:DWORD
	v_or_b32_sdwa v120, v122, v120 dst_sel:WORD_1 dst_unused:UNUSED_PAD src0_sel:BYTE_0 src1_sel:DWORD
	v_and_b32_e32 v122, 0x3030303, v121
	v_bfe_u32 v121, v121, 24, 2
	v_and_b32_e32 v123, 0x4040404, v123
	v_or_b32_sdwa v120, v125, v120 dst_sel:DWORD dst_unused:UNUSED_PAD src0_sel:WORD_0 src1_sel:DWORD
	v_sub_u16_e32 v124, v122, v123
	v_sub_u16_sdwa v125, v122, v123 dst_sel:BYTE_1 dst_unused:UNUSED_PAD src0_sel:BYTE_1 src1_sel:BYTE_1
	v_sub_u16_sdwa v121, v121, v123 dst_sel:BYTE_1 dst_unused:UNUSED_PAD src0_sel:DWORD src1_sel:BYTE_3
	v_sub_u16_sdwa v122, v122, v123 dst_sel:DWORD dst_unused:UNUSED_PAD src0_sel:WORD_1 src1_sel:WORD_1
	v_or_b32_sdwa v121, v122, v121 dst_sel:WORD_1 dst_unused:UNUSED_PAD src0_sel:BYTE_0 src1_sel:DWORD
	v_add_u32_e32 v122, s28, v74
	v_add3_u32 v123, s17, v100, v101
	ds_read_b32 v123, v123
	ds_read_u16 v116, v122 offset:27394
	v_or_b32_sdwa v124, v124, v125 dst_sel:DWORD dst_unused:UNUSED_PAD src0_sel:BYTE_0 src1_sel:DWORD
	v_or_b32_sdwa v121, v124, v121 dst_sel:DWORD dst_unused:UNUSED_PAD src0_sel:WORD_0 src1_sel:DWORD
	v_dot4_i32_i8 v115, v120, v3, v115
	v_dot4_i32_i8 v115, v121, v4, v115
	s_waitcnt lgkmcnt(0)
	v_lshrrev_b16_e32 v117, 8, v116
	v_bfe_i32 v116, v116, 0, 8
	v_mul_lo_u32 v114, v114, v116
	v_bfe_i32 v117, v117, 0, 8
	v_add3_u32 v122, s30, v102, v103
	v_mad_u64_u32 v[114:115], s[34:35], v115, v117, v[114:115]
	v_mul_f32_e32 v115, v112, v123
	ds_read2_b32 v[116:117], v122 offset1:1
	v_cvt_f32_i32_e32 v114, v114
	v_fmac_f32_e32 v64, v115, v114
	v_add_u32_e32 v114, 0x3180, v113
	ds_read2_b32 v[114:115], v114 offset1:1
	s_waitcnt lgkmcnt(1)
	v_ashrrev_i32_e32 v116, s3, v116
	v_lshlrev_b32_e32 v116, 2, v116
	v_and_b32_e32 v116, 0x4040404, v116
	v_ashrrev_i32_e32 v117, s3, v117
	s_waitcnt lgkmcnt(0)
	v_ashrrev_i32_e32 v114, s29, v114
	v_and_b32_e32 v118, 0x3030303, v114
	v_bfe_u32 v114, v114, 24, 2
	v_sub_u16_e32 v119, v118, v116
	v_sub_u16_sdwa v120, v118, v116 dst_sel:BYTE_1 dst_unused:UNUSED_PAD src0_sel:BYTE_1 src1_sel:BYTE_1
	v_sub_u16_sdwa v114, v114, v116 dst_sel:BYTE_1 dst_unused:UNUSED_PAD src0_sel:DWORD src1_sel:BYTE_3
	v_sub_u16_sdwa v116, v118, v116 dst_sel:DWORD dst_unused:UNUSED_PAD src0_sel:WORD_1 src1_sel:WORD_1
	v_ashrrev_i32_e32 v115, s29, v115
	v_lshlrev_b32_e32 v117, 2, v117
	v_or_b32_sdwa v119, v119, v120 dst_sel:DWORD dst_unused:UNUSED_PAD src0_sel:BYTE_0 src1_sel:DWORD
	v_or_b32_sdwa v114, v116, v114 dst_sel:WORD_1 dst_unused:UNUSED_PAD src0_sel:BYTE_0 src1_sel:DWORD
	v_and_b32_e32 v116, 0x3030303, v115
	v_bfe_u32 v115, v115, 24, 2
	v_and_b32_e32 v117, 0x4040404, v117
	v_or_b32_sdwa v114, v119, v114 dst_sel:DWORD dst_unused:UNUSED_PAD src0_sel:WORD_0 src1_sel:DWORD
	v_sub_u16_e32 v118, v116, v117
	v_sub_u16_sdwa v119, v116, v117 dst_sel:BYTE_1 dst_unused:UNUSED_PAD src0_sel:BYTE_1 src1_sel:BYTE_1
	v_sub_u16_sdwa v115, v115, v117 dst_sel:BYTE_1 dst_unused:UNUSED_PAD src0_sel:DWORD src1_sel:BYTE_3
	v_sub_u16_sdwa v116, v116, v117 dst_sel:DWORD dst_unused:UNUSED_PAD src0_sel:WORD_1 src1_sel:WORD_1
	v_or_b32_sdwa v118, v118, v119 dst_sel:DWORD dst_unused:UNUSED_PAD src0_sel:BYTE_0 src1_sel:DWORD
	v_or_b32_sdwa v115, v116, v115 dst_sel:WORD_1 dst_unused:UNUSED_PAD src0_sel:BYTE_0 src1_sel:DWORD
	v_add_u32_e32 v116, 0x3188, v113
	v_or_b32_sdwa v115, v118, v115 dst_sel:DWORD dst_unused:UNUSED_PAD src0_sel:WORD_0 src1_sel:DWORD
	ds_read2_b32 v[116:117], v116 offset1:1
	ds_read2_b32 v[118:119], v122 offset0:2 offset1:3
	v_dot4_i32_i8 v5, v114, v5, 0
	v_dot4_i32_i8 v5, v115, v6, v5
	s_waitcnt lgkmcnt(1)
	v_ashrrev_i32_e32 v116, s29, v116
	s_waitcnt lgkmcnt(0)
	v_ashrrev_i32_e32 v118, s3, v118
	v_lshlrev_b32_e32 v118, 2, v118
	v_and_b32_e32 v120, 0x3030303, v116
	v_bfe_u32 v116, v116, 24, 2
	v_and_b32_e32 v118, 0x4040404, v118
	v_ashrrev_i32_e32 v119, s3, v119
	v_sub_u16_e32 v121, v120, v118
	v_sub_u16_sdwa v123, v120, v118 dst_sel:BYTE_1 dst_unused:UNUSED_PAD src0_sel:BYTE_1 src1_sel:BYTE_1
	v_sub_u16_sdwa v116, v116, v118 dst_sel:BYTE_1 dst_unused:UNUSED_PAD src0_sel:DWORD src1_sel:BYTE_3
	v_sub_u16_sdwa v118, v120, v118 dst_sel:DWORD dst_unused:UNUSED_PAD src0_sel:WORD_1 src1_sel:WORD_1
	v_ashrrev_i32_e32 v117, s29, v117
	v_lshlrev_b32_e32 v119, 2, v119
	v_or_b32_sdwa v121, v121, v123 dst_sel:DWORD dst_unused:UNUSED_PAD src0_sel:BYTE_0 src1_sel:DWORD
	v_or_b32_sdwa v116, v118, v116 dst_sel:WORD_1 dst_unused:UNUSED_PAD src0_sel:BYTE_0 src1_sel:DWORD
	v_and_b32_e32 v118, 0x3030303, v117
	v_bfe_u32 v117, v117, 24, 2
	v_and_b32_e32 v119, 0x4040404, v119
	v_or_b32_sdwa v116, v121, v116 dst_sel:DWORD dst_unused:UNUSED_PAD src0_sel:WORD_0 src1_sel:DWORD
	v_sub_u16_e32 v120, v118, v119
	v_sub_u16_sdwa v121, v118, v119 dst_sel:BYTE_1 dst_unused:UNUSED_PAD src0_sel:BYTE_1 src1_sel:BYTE_1
	v_sub_u16_sdwa v117, v117, v119 dst_sel:BYTE_1 dst_unused:UNUSED_PAD src0_sel:DWORD src1_sel:BYTE_3
	v_sub_u16_sdwa v118, v118, v119 dst_sel:DWORD dst_unused:UNUSED_PAD src0_sel:WORD_1 src1_sel:WORD_1
	v_or_b32_sdwa v120, v120, v121 dst_sel:DWORD dst_unused:UNUSED_PAD src0_sel:BYTE_0 src1_sel:DWORD
	v_or_b32_sdwa v117, v118, v117 dst_sel:WORD_1 dst_unused:UNUSED_PAD src0_sel:BYTE_0 src1_sel:DWORD
	v_add_u32_e32 v118, 0x3190, v113
	v_or_b32_sdwa v117, v120, v117 dst_sel:DWORD dst_unused:UNUSED_PAD src0_sel:WORD_0 src1_sel:DWORD
	ds_read2_b32 v[118:119], v118 offset1:1
	ds_read2_b32 v[120:121], v122 offset0:4 offset1:5
	v_add_u32_e32 v113, 0x3198, v113
	v_dot4_i32_i8 v5, v116, v7, v5
	v_dot4_i32_i8 v5, v117, v8, v5
	s_waitcnt lgkmcnt(1)
	v_ashrrev_i32_e32 v118, s29, v118
	s_waitcnt lgkmcnt(0)
	v_ashrrev_i32_e32 v120, s3, v120
	v_lshlrev_b32_e32 v120, 2, v120
	v_and_b32_e32 v123, 0x3030303, v118
	v_bfe_u32 v118, v118, 24, 2
	v_and_b32_e32 v120, 0x4040404, v120
	v_ashrrev_i32_e32 v121, s3, v121
	v_sub_u16_e32 v124, v123, v120
	v_sub_u16_sdwa v125, v123, v120 dst_sel:BYTE_1 dst_unused:UNUSED_PAD src0_sel:BYTE_1 src1_sel:BYTE_1
	v_sub_u16_sdwa v118, v118, v120 dst_sel:BYTE_1 dst_unused:UNUSED_PAD src0_sel:DWORD src1_sel:BYTE_3
	v_sub_u16_sdwa v120, v123, v120 dst_sel:DWORD dst_unused:UNUSED_PAD src0_sel:WORD_1 src1_sel:WORD_1
	v_ashrrev_i32_e32 v119, s29, v119
	v_lshlrev_b32_e32 v121, 2, v121
	v_or_b32_sdwa v124, v124, v125 dst_sel:DWORD dst_unused:UNUSED_PAD src0_sel:BYTE_0 src1_sel:DWORD
	v_or_b32_sdwa v118, v120, v118 dst_sel:WORD_1 dst_unused:UNUSED_PAD src0_sel:BYTE_0 src1_sel:DWORD
	v_and_b32_e32 v120, 0x3030303, v119
	v_bfe_u32 v119, v119, 24, 2
	v_and_b32_e32 v121, 0x4040404, v121
	v_or_b32_sdwa v118, v124, v118 dst_sel:DWORD dst_unused:UNUSED_PAD src0_sel:WORD_0 src1_sel:DWORD
	v_sub_u16_e32 v123, v120, v121
	v_sub_u16_sdwa v124, v120, v121 dst_sel:BYTE_1 dst_unused:UNUSED_PAD src0_sel:BYTE_1 src1_sel:BYTE_1
	v_sub_u16_sdwa v119, v119, v121 dst_sel:BYTE_1 dst_unused:UNUSED_PAD src0_sel:DWORD src1_sel:BYTE_3
	v_sub_u16_sdwa v120, v120, v121 dst_sel:DWORD dst_unused:UNUSED_PAD src0_sel:WORD_1 src1_sel:WORD_1
	v_or_b32_sdwa v123, v123, v124 dst_sel:DWORD dst_unused:UNUSED_PAD src0_sel:BYTE_0 src1_sel:DWORD
	v_or_b32_sdwa v119, v120, v119 dst_sel:WORD_1 dst_unused:UNUSED_PAD src0_sel:BYTE_0 src1_sel:DWORD
	v_or_b32_sdwa v119, v123, v119 dst_sel:DWORD dst_unused:UNUSED_PAD src0_sel:WORD_0 src1_sel:DWORD
	ds_read2_b32 v[120:121], v113 offset1:1
	ds_read2_b32 v[122:123], v122 offset0:6 offset1:7
	v_dot4_i32_i8 v1, v118, v1, 0
	v_dot4_i32_i8 v1, v119, v2, v1
	s_waitcnt lgkmcnt(1)
	v_ashrrev_i32_e32 v113, s29, v120
	s_waitcnt lgkmcnt(0)
	v_ashrrev_i32_e32 v122, s3, v122
	v_lshlrev_b32_e32 v122, 2, v122
	v_and_b32_e32 v120, 0x3030303, v113
	v_bfe_u32 v113, v113, 24, 2
	v_and_b32_e32 v122, 0x4040404, v122
	v_sub_u16_e32 v124, v120, v122
	v_sub_u16_sdwa v125, v120, v122 dst_sel:BYTE_1 dst_unused:UNUSED_PAD src0_sel:BYTE_1 src1_sel:BYTE_1
	v_sub_u16_sdwa v113, v113, v122 dst_sel:BYTE_1 dst_unused:UNUSED_PAD src0_sel:DWORD src1_sel:BYTE_3
	v_sub_u16_sdwa v120, v120, v122 dst_sel:DWORD dst_unused:UNUSED_PAD src0_sel:WORD_1 src1_sel:WORD_1
	v_ashrrev_i32_e32 v122, s3, v123
	v_or_b32_sdwa v113, v120, v113 dst_sel:WORD_1 dst_unused:UNUSED_PAD src0_sel:BYTE_0 src1_sel:DWORD
	v_ashrrev_i32_e32 v120, s29, v121
	v_lshlrev_b32_e32 v122, 2, v122
	v_or_b32_sdwa v124, v124, v125 dst_sel:DWORD dst_unused:UNUSED_PAD src0_sel:BYTE_0 src1_sel:DWORD
	v_and_b32_e32 v121, 0x3030303, v120
	v_bfe_u32 v120, v120, 24, 2
	v_and_b32_e32 v122, 0x4040404, v122
	v_or_b32_sdwa v113, v124, v113 dst_sel:DWORD dst_unused:UNUSED_PAD src0_sel:WORD_0 src1_sel:DWORD
	v_sub_u16_e32 v123, v121, v122
	v_sub_u16_sdwa v124, v121, v122 dst_sel:BYTE_1 dst_unused:UNUSED_PAD src0_sel:BYTE_1 src1_sel:BYTE_1
	v_sub_u16_sdwa v120, v120, v122 dst_sel:BYTE_1 dst_unused:UNUSED_PAD src0_sel:DWORD src1_sel:BYTE_3
	v_sub_u16_sdwa v121, v121, v122 dst_sel:DWORD dst_unused:UNUSED_PAD src0_sel:WORD_1 src1_sel:WORD_1
	v_or_b32_sdwa v123, v123, v124 dst_sel:DWORD dst_unused:UNUSED_PAD src0_sel:BYTE_0 src1_sel:DWORD
	v_or_b32_sdwa v120, v121, v120 dst_sel:WORD_1 dst_unused:UNUSED_PAD src0_sel:BYTE_0 src1_sel:DWORD
	v_or_b32_sdwa v120, v123, v120 dst_sel:DWORD dst_unused:UNUSED_PAD src0_sel:WORD_0 src1_sel:DWORD
	v_add_u32_e32 v122, s28, v72
	v_add3_u32 v121, s17, v104, v105
	v_dot4_i32_i8 v1, v113, v3, v1
	ds_read_b32 v121, v121
	v_dot4_i32_i8 v2, v120, v4, v1
	ds_read_u16 v1, v122 offset:28418
	s_add_i32 s3, s3, 1
	s_cmp_lt_u32 s16, 14
	s_mov_b32 s17, s16
	s_waitcnt lgkmcnt(0)
	v_lshrrev_b16_e32 v3, 8, v1
	v_bfe_i32 v1, v1, 0, 8
	v_mul_lo_u32 v1, v5, v1
	v_bfe_i32 v3, v3, 0, 8
	v_mad_u64_u32 v[1:2], s[28:29], v2, v3, v[1:2]
	v_mul_f32_e32 v2, v112, v121
	v_cvt_f32_i32_e32 v1, v1
	v_fmac_f32_e32 v9, v2, v1
	s_cbranch_scc1 .LBB229_19
; %bb.20:                               ;   in Loop: Header=BB229_5 Depth=1
	s_or_b32 s2, s26, 0x100
	s_cmp_ge_i32 s2, s15
	s_barrier
	s_cbranch_scc1 .LBB229_4
; %bb.21:                               ;   in Loop: Header=BB229_5 Depth=1
	v_add_u32_e32 v1, s27, v66
	v_cmp_gt_i32_e64 s[2:3], s9, v1
	s_and_b64 s[16:17], s[0:1], s[2:3]
	s_and_saveexec_b64 s[2:3], s[16:17]
	s_cbranch_execz .LBB229_23
; %bb.22:                               ;   in Loop: Header=BB229_5 Depth=1
	v_add_u32_e32 v1, v69, v1
	v_mad_i64_i32 v[1:2], s[16:17], v1, 36, v[10:11]
	global_load_dword v1, v[1:2], off offset:4
	s_waitcnt vmcnt(0)
	ds_write_b32 v61, v1
.LBB229_23:                             ;   in Loop: Header=BB229_5 Depth=1
	s_or_b64 exec, exec, s[2:3]
	s_and_saveexec_b64 s[16:17], vcc
	s_cbranch_execz .LBB229_26
; %bb.24:                               ;   in Loop: Header=BB229_5 Depth=1
	v_or_b32_e32 v1, 8, v109
	v_cmp_gt_i32_e64 s[2:3], s9, v1
	s_and_b64 s[2:3], s[0:1], s[2:3]
	s_and_b64 exec, exec, s[2:3]
	s_cbranch_execz .LBB229_26
; %bb.25:                               ;   in Loop: Header=BB229_5 Depth=1
	v_ashrrev_i32_e32 v1, 31, v109
	v_add_co_u32_e64 v2, s[2:3], v69, v109
	v_addc_co_u32_e64 v3, s[2:3], v71, v1, s[2:3]
	v_mad_u64_u32 v[1:2], s[2:3], v2, 36, s[6:7]
	v_mad_i32_i24 v2, v3, 36, v2
	global_load_dword v1, v[1:2], off offset:288
	s_waitcnt vmcnt(0)
	v_cvt_f32_f16_e32 v1, v1
	ds_write_b32 v63, v1
.LBB229_26:                             ;   in Loop: Header=BB229_5 Depth=1
	s_or_b64 exec, exec, s[16:17]
	s_mov_b32 s2, 16
	s_mov_b32 s17, 14
	;; [unrolled: 1-line block ×3, first 2 shown]
	v_mov_b32_e32 v110, v60
	v_mov_b32_e32 v111, v62
	s_waitcnt lgkmcnt(0)
	s_barrier
.LBB229_27:                             ;   Parent Loop BB229_5 Depth=1
                                        ; =>  This Inner Loop Header: Depth=2
	s_add_i32 s16, s17, 2
	s_lshr_b32 s31, s16, 4
	s_and_b32 s30, s16, 0x3ffffff8
	v_lshl_add_u32 v113, s30, 2, v70
	s_lshl_b32 s30, s31, 5
	s_addk_i32 s30, 0x4200
	v_add3_u32 v122, s30, v106, v93
	ds_read_b32 v112, v111
	ds_read_b128 v[5:8], v110
	ds_read_b128 v[1:4], v110 offset:16
	ds_read2_b32 v[114:115], v113 offset1:1
	ds_read2_b32 v[116:117], v122 offset1:1
	s_add_i32 s29, s17, -14
	s_and_b32 s28, s2, -16
	s_add_i32 s28, s17, s28
	s_waitcnt lgkmcnt(1)
	v_ashrrev_i32_e32 v114, s29, v114
	s_waitcnt lgkmcnt(0)
	v_ashrrev_i32_e32 v116, s3, v116
	v_lshlrev_b32_e32 v116, 2, v116
	v_and_b32_e32 v118, 0x3030303, v114
	v_bfe_u32 v114, v114, 24, 2
	v_and_b32_e32 v116, 0x4040404, v116
	v_ashrrev_i32_e32 v117, s3, v117
	v_sub_u16_e32 v119, v118, v116
	v_sub_u16_sdwa v120, v118, v116 dst_sel:BYTE_1 dst_unused:UNUSED_PAD src0_sel:BYTE_1 src1_sel:BYTE_1
	v_sub_u16_sdwa v114, v114, v116 dst_sel:BYTE_1 dst_unused:UNUSED_PAD src0_sel:DWORD src1_sel:BYTE_3
	v_sub_u16_sdwa v116, v118, v116 dst_sel:DWORD dst_unused:UNUSED_PAD src0_sel:WORD_1 src1_sel:WORD_1
	v_ashrrev_i32_e32 v115, s29, v115
	v_lshlrev_b32_e32 v117, 2, v117
	v_or_b32_sdwa v119, v119, v120 dst_sel:DWORD dst_unused:UNUSED_PAD src0_sel:BYTE_0 src1_sel:DWORD
	v_or_b32_sdwa v114, v116, v114 dst_sel:WORD_1 dst_unused:UNUSED_PAD src0_sel:BYTE_0 src1_sel:DWORD
	v_and_b32_e32 v116, 0x3030303, v115
	v_bfe_u32 v115, v115, 24, 2
	v_and_b32_e32 v117, 0x4040404, v117
	v_or_b32_sdwa v114, v119, v114 dst_sel:DWORD dst_unused:UNUSED_PAD src0_sel:WORD_0 src1_sel:DWORD
	v_sub_u16_e32 v118, v116, v117
	v_sub_u16_sdwa v119, v116, v117 dst_sel:BYTE_1 dst_unused:UNUSED_PAD src0_sel:BYTE_1 src1_sel:BYTE_1
	v_sub_u16_sdwa v115, v115, v117 dst_sel:BYTE_1 dst_unused:UNUSED_PAD src0_sel:DWORD src1_sel:BYTE_3
	v_sub_u16_sdwa v116, v116, v117 dst_sel:DWORD dst_unused:UNUSED_PAD src0_sel:WORD_1 src1_sel:WORD_1
	v_or_b32_sdwa v118, v118, v119 dst_sel:DWORD dst_unused:UNUSED_PAD src0_sel:BYTE_0 src1_sel:DWORD
	v_or_b32_sdwa v115, v116, v115 dst_sel:WORD_1 dst_unused:UNUSED_PAD src0_sel:BYTE_0 src1_sel:DWORD
	v_or_b32_sdwa v115, v118, v115 dst_sel:DWORD dst_unused:UNUSED_PAD src0_sel:WORD_0 src1_sel:DWORD
	ds_read2_b32 v[116:117], v113 offset0:2 offset1:3
	ds_read2_b32 v[118:119], v122 offset0:2 offset1:3
	s_lshl_b32 s17, s31, 2
	s_addk_i32 s17, 0x7380
	v_dot4_i32_i8 v114, v114, v5, 0
	s_waitcnt lgkmcnt(1)
	v_ashrrev_i32_e32 v116, s29, v116
	s_waitcnt lgkmcnt(0)
	v_ashrrev_i32_e32 v118, s3, v118
	v_lshlrev_b32_e32 v118, 2, v118
	v_and_b32_e32 v120, 0x3030303, v116
	v_bfe_u32 v116, v116, 24, 2
	v_and_b32_e32 v118, 0x4040404, v118
	v_ashrrev_i32_e32 v119, s3, v119
	v_sub_u16_e32 v121, v120, v118
	v_sub_u16_sdwa v123, v120, v118 dst_sel:BYTE_1 dst_unused:UNUSED_PAD src0_sel:BYTE_1 src1_sel:BYTE_1
	v_sub_u16_sdwa v116, v116, v118 dst_sel:BYTE_1 dst_unused:UNUSED_PAD src0_sel:DWORD src1_sel:BYTE_3
	v_sub_u16_sdwa v118, v120, v118 dst_sel:DWORD dst_unused:UNUSED_PAD src0_sel:WORD_1 src1_sel:WORD_1
	v_ashrrev_i32_e32 v117, s29, v117
	v_lshlrev_b32_e32 v119, 2, v119
	v_or_b32_sdwa v121, v121, v123 dst_sel:DWORD dst_unused:UNUSED_PAD src0_sel:BYTE_0 src1_sel:DWORD
	v_or_b32_sdwa v116, v118, v116 dst_sel:WORD_1 dst_unused:UNUSED_PAD src0_sel:BYTE_0 src1_sel:DWORD
	v_and_b32_e32 v118, 0x3030303, v117
	v_bfe_u32 v117, v117, 24, 2
	v_and_b32_e32 v119, 0x4040404, v119
	v_or_b32_sdwa v116, v121, v116 dst_sel:DWORD dst_unused:UNUSED_PAD src0_sel:WORD_0 src1_sel:DWORD
	v_sub_u16_e32 v120, v118, v119
	v_sub_u16_sdwa v121, v118, v119 dst_sel:BYTE_1 dst_unused:UNUSED_PAD src0_sel:BYTE_1 src1_sel:BYTE_1
	v_sub_u16_sdwa v117, v117, v119 dst_sel:BYTE_1 dst_unused:UNUSED_PAD src0_sel:DWORD src1_sel:BYTE_3
	v_sub_u16_sdwa v118, v118, v119 dst_sel:DWORD dst_unused:UNUSED_PAD src0_sel:WORD_1 src1_sel:WORD_1
	v_or_b32_sdwa v120, v120, v121 dst_sel:DWORD dst_unused:UNUSED_PAD src0_sel:BYTE_0 src1_sel:DWORD
	v_or_b32_sdwa v117, v118, v117 dst_sel:WORD_1 dst_unused:UNUSED_PAD src0_sel:BYTE_0 src1_sel:DWORD
	v_or_b32_sdwa v117, v120, v117 dst_sel:DWORD dst_unused:UNUSED_PAD src0_sel:WORD_0 src1_sel:DWORD
	ds_read2_b32 v[118:119], v113 offset0:4 offset1:5
	ds_read2_b32 v[120:121], v122 offset0:4 offset1:5
	v_dot4_i32_i8 v114, v115, v6, v114
	v_dot4_i32_i8 v114, v116, v7, v114
	;; [unrolled: 1-line block ×3, first 2 shown]
	s_waitcnt lgkmcnt(1)
	v_ashrrev_i32_e32 v118, s29, v118
	s_waitcnt lgkmcnt(0)
	v_ashrrev_i32_e32 v120, s3, v120
	v_lshlrev_b32_e32 v120, 2, v120
	v_and_b32_e32 v123, 0x3030303, v118
	v_bfe_u32 v118, v118, 24, 2
	v_and_b32_e32 v120, 0x4040404, v120
	v_ashrrev_i32_e32 v121, s3, v121
	v_sub_u16_e32 v124, v123, v120
	v_sub_u16_sdwa v125, v123, v120 dst_sel:BYTE_1 dst_unused:UNUSED_PAD src0_sel:BYTE_1 src1_sel:BYTE_1
	v_sub_u16_sdwa v118, v118, v120 dst_sel:BYTE_1 dst_unused:UNUSED_PAD src0_sel:DWORD src1_sel:BYTE_3
	v_sub_u16_sdwa v120, v123, v120 dst_sel:DWORD dst_unused:UNUSED_PAD src0_sel:WORD_1 src1_sel:WORD_1
	v_ashrrev_i32_e32 v119, s29, v119
	v_lshlrev_b32_e32 v121, 2, v121
	v_or_b32_sdwa v124, v124, v125 dst_sel:DWORD dst_unused:UNUSED_PAD src0_sel:BYTE_0 src1_sel:DWORD
	v_or_b32_sdwa v118, v120, v118 dst_sel:WORD_1 dst_unused:UNUSED_PAD src0_sel:BYTE_0 src1_sel:DWORD
	v_and_b32_e32 v120, 0x3030303, v119
	v_bfe_u32 v119, v119, 24, 2
	v_and_b32_e32 v121, 0x4040404, v121
	v_or_b32_sdwa v118, v124, v118 dst_sel:DWORD dst_unused:UNUSED_PAD src0_sel:WORD_0 src1_sel:DWORD
	v_sub_u16_e32 v123, v120, v121
	v_sub_u16_sdwa v124, v120, v121 dst_sel:BYTE_1 dst_unused:UNUSED_PAD src0_sel:BYTE_1 src1_sel:BYTE_1
	v_sub_u16_sdwa v119, v119, v121 dst_sel:BYTE_1 dst_unused:UNUSED_PAD src0_sel:DWORD src1_sel:BYTE_3
	v_sub_u16_sdwa v120, v120, v121 dst_sel:DWORD dst_unused:UNUSED_PAD src0_sel:WORD_1 src1_sel:WORD_1
	v_or_b32_sdwa v123, v123, v124 dst_sel:DWORD dst_unused:UNUSED_PAD src0_sel:BYTE_0 src1_sel:DWORD
	v_or_b32_sdwa v119, v120, v119 dst_sel:WORD_1 dst_unused:UNUSED_PAD src0_sel:BYTE_0 src1_sel:DWORD
	v_or_b32_sdwa v119, v123, v119 dst_sel:DWORD dst_unused:UNUSED_PAD src0_sel:WORD_0 src1_sel:DWORD
	ds_read2_b32 v[120:121], v113 offset0:6 offset1:7
	ds_read2_b32 v[122:123], v122 offset0:6 offset1:7
	v_dot4_i32_i8 v115, v118, v1, 0
	v_dot4_i32_i8 v115, v119, v2, v115
	s_add_i32 s2, s2, 2
	s_waitcnt lgkmcnt(1)
	v_ashrrev_i32_e32 v120, s29, v120
	s_waitcnt lgkmcnt(0)
	v_ashrrev_i32_e32 v122, s3, v122
	v_lshlrev_b32_e32 v122, 2, v122
	v_and_b32_e32 v124, 0x3030303, v120
	v_bfe_u32 v120, v120, 24, 2
	v_and_b32_e32 v122, 0x4040404, v122
	v_ashrrev_i32_e32 v123, s3, v123
	v_sub_u16_e32 v125, v124, v122
	v_sub_u16_sdwa v126, v124, v122 dst_sel:BYTE_1 dst_unused:UNUSED_PAD src0_sel:BYTE_1 src1_sel:BYTE_1
	v_sub_u16_sdwa v120, v120, v122 dst_sel:BYTE_1 dst_unused:UNUSED_PAD src0_sel:DWORD src1_sel:BYTE_3
	v_sub_u16_sdwa v122, v124, v122 dst_sel:DWORD dst_unused:UNUSED_PAD src0_sel:WORD_1 src1_sel:WORD_1
	v_ashrrev_i32_e32 v121, s29, v121
	v_lshlrev_b32_e32 v123, 2, v123
	v_or_b32_sdwa v125, v125, v126 dst_sel:DWORD dst_unused:UNUSED_PAD src0_sel:BYTE_0 src1_sel:DWORD
	v_or_b32_sdwa v120, v122, v120 dst_sel:WORD_1 dst_unused:UNUSED_PAD src0_sel:BYTE_0 src1_sel:DWORD
	v_and_b32_e32 v122, 0x3030303, v121
	v_bfe_u32 v121, v121, 24, 2
	v_and_b32_e32 v123, 0x4040404, v123
	v_or_b32_sdwa v120, v125, v120 dst_sel:DWORD dst_unused:UNUSED_PAD src0_sel:WORD_0 src1_sel:DWORD
	v_sub_u16_e32 v124, v122, v123
	v_sub_u16_sdwa v125, v122, v123 dst_sel:BYTE_1 dst_unused:UNUSED_PAD src0_sel:BYTE_1 src1_sel:BYTE_1
	v_sub_u16_sdwa v121, v121, v123 dst_sel:BYTE_1 dst_unused:UNUSED_PAD src0_sel:DWORD src1_sel:BYTE_3
	v_sub_u16_sdwa v122, v122, v123 dst_sel:DWORD dst_unused:UNUSED_PAD src0_sel:WORD_1 src1_sel:WORD_1
	v_or_b32_sdwa v121, v122, v121 dst_sel:WORD_1 dst_unused:UNUSED_PAD src0_sel:BYTE_0 src1_sel:DWORD
	v_add_u32_e32 v122, s28, v78
	v_add3_u32 v123, s17, v107, v108
	ds_read_b32 v123, v123
	ds_read_u16 v116, v122 offset:25330
	v_or_b32_sdwa v124, v124, v125 dst_sel:DWORD dst_unused:UNUSED_PAD src0_sel:BYTE_0 src1_sel:DWORD
	v_or_b32_sdwa v121, v124, v121 dst_sel:DWORD dst_unused:UNUSED_PAD src0_sel:WORD_0 src1_sel:DWORD
	v_dot4_i32_i8 v115, v120, v3, v115
	v_dot4_i32_i8 v115, v121, v4, v115
	s_waitcnt lgkmcnt(0)
	v_lshrrev_b16_e32 v117, 8, v116
	v_bfe_i32 v116, v116, 0, 8
	v_mul_lo_u32 v114, v114, v116
	v_bfe_i32 v117, v117, 0, 8
	v_add3_u32 v122, s30, v94, v95
	v_add_u32_e32 v111, 4, v111
	v_mad_u64_u32 v[114:115], s[34:35], v115, v117, v[114:115]
	v_mul_f32_e32 v115, v112, v123
	ds_read2_b32 v[116:117], v122 offset1:1
	v_cvt_f32_i32_e32 v114, v114
	v_add_u32_e32 v110, 32, v110
	v_fmac_f32_e32 v13, v115, v114
	v_add_u32_e32 v114, 0x1080, v113
	ds_read2_b32 v[114:115], v114 offset1:1
	s_waitcnt lgkmcnt(1)
	v_ashrrev_i32_e32 v116, s3, v116
	v_lshlrev_b32_e32 v116, 2, v116
	v_and_b32_e32 v116, 0x4040404, v116
	v_ashrrev_i32_e32 v117, s3, v117
	s_waitcnt lgkmcnt(0)
	v_ashrrev_i32_e32 v114, s29, v114
	v_and_b32_e32 v118, 0x3030303, v114
	v_bfe_u32 v114, v114, 24, 2
	v_sub_u16_e32 v119, v118, v116
	v_sub_u16_sdwa v120, v118, v116 dst_sel:BYTE_1 dst_unused:UNUSED_PAD src0_sel:BYTE_1 src1_sel:BYTE_1
	v_sub_u16_sdwa v114, v114, v116 dst_sel:BYTE_1 dst_unused:UNUSED_PAD src0_sel:DWORD src1_sel:BYTE_3
	v_sub_u16_sdwa v116, v118, v116 dst_sel:DWORD dst_unused:UNUSED_PAD src0_sel:WORD_1 src1_sel:WORD_1
	v_ashrrev_i32_e32 v115, s29, v115
	v_lshlrev_b32_e32 v117, 2, v117
	v_or_b32_sdwa v119, v119, v120 dst_sel:DWORD dst_unused:UNUSED_PAD src0_sel:BYTE_0 src1_sel:DWORD
	v_or_b32_sdwa v114, v116, v114 dst_sel:WORD_1 dst_unused:UNUSED_PAD src0_sel:BYTE_0 src1_sel:DWORD
	v_and_b32_e32 v116, 0x3030303, v115
	v_bfe_u32 v115, v115, 24, 2
	v_and_b32_e32 v117, 0x4040404, v117
	v_or_b32_sdwa v114, v119, v114 dst_sel:DWORD dst_unused:UNUSED_PAD src0_sel:WORD_0 src1_sel:DWORD
	v_sub_u16_e32 v118, v116, v117
	v_sub_u16_sdwa v119, v116, v117 dst_sel:BYTE_1 dst_unused:UNUSED_PAD src0_sel:BYTE_1 src1_sel:BYTE_1
	v_sub_u16_sdwa v115, v115, v117 dst_sel:BYTE_1 dst_unused:UNUSED_PAD src0_sel:DWORD src1_sel:BYTE_3
	v_sub_u16_sdwa v116, v116, v117 dst_sel:DWORD dst_unused:UNUSED_PAD src0_sel:WORD_1 src1_sel:WORD_1
	v_or_b32_sdwa v118, v118, v119 dst_sel:DWORD dst_unused:UNUSED_PAD src0_sel:BYTE_0 src1_sel:DWORD
	v_or_b32_sdwa v115, v116, v115 dst_sel:WORD_1 dst_unused:UNUSED_PAD src0_sel:BYTE_0 src1_sel:DWORD
	v_add_u32_e32 v116, 0x1088, v113
	v_or_b32_sdwa v115, v118, v115 dst_sel:DWORD dst_unused:UNUSED_PAD src0_sel:WORD_0 src1_sel:DWORD
	ds_read2_b32 v[116:117], v116 offset1:1
	ds_read2_b32 v[118:119], v122 offset0:2 offset1:3
	v_dot4_i32_i8 v114, v114, v5, 0
	v_dot4_i32_i8 v114, v115, v6, v114
	s_waitcnt lgkmcnt(1)
	v_ashrrev_i32_e32 v116, s29, v116
	s_waitcnt lgkmcnt(0)
	v_ashrrev_i32_e32 v118, s3, v118
	v_lshlrev_b32_e32 v118, 2, v118
	v_and_b32_e32 v120, 0x3030303, v116
	v_bfe_u32 v116, v116, 24, 2
	v_and_b32_e32 v118, 0x4040404, v118
	v_ashrrev_i32_e32 v119, s3, v119
	v_sub_u16_e32 v121, v120, v118
	v_sub_u16_sdwa v123, v120, v118 dst_sel:BYTE_1 dst_unused:UNUSED_PAD src0_sel:BYTE_1 src1_sel:BYTE_1
	v_sub_u16_sdwa v116, v116, v118 dst_sel:BYTE_1 dst_unused:UNUSED_PAD src0_sel:DWORD src1_sel:BYTE_3
	v_sub_u16_sdwa v118, v120, v118 dst_sel:DWORD dst_unused:UNUSED_PAD src0_sel:WORD_1 src1_sel:WORD_1
	v_ashrrev_i32_e32 v117, s29, v117
	v_lshlrev_b32_e32 v119, 2, v119
	v_or_b32_sdwa v121, v121, v123 dst_sel:DWORD dst_unused:UNUSED_PAD src0_sel:BYTE_0 src1_sel:DWORD
	v_or_b32_sdwa v116, v118, v116 dst_sel:WORD_1 dst_unused:UNUSED_PAD src0_sel:BYTE_0 src1_sel:DWORD
	v_and_b32_e32 v118, 0x3030303, v117
	v_bfe_u32 v117, v117, 24, 2
	v_and_b32_e32 v119, 0x4040404, v119
	v_or_b32_sdwa v116, v121, v116 dst_sel:DWORD dst_unused:UNUSED_PAD src0_sel:WORD_0 src1_sel:DWORD
	v_sub_u16_e32 v120, v118, v119
	v_sub_u16_sdwa v121, v118, v119 dst_sel:BYTE_1 dst_unused:UNUSED_PAD src0_sel:BYTE_1 src1_sel:BYTE_1
	v_sub_u16_sdwa v117, v117, v119 dst_sel:BYTE_1 dst_unused:UNUSED_PAD src0_sel:DWORD src1_sel:BYTE_3
	v_sub_u16_sdwa v118, v118, v119 dst_sel:DWORD dst_unused:UNUSED_PAD src0_sel:WORD_1 src1_sel:WORD_1
	v_or_b32_sdwa v120, v120, v121 dst_sel:DWORD dst_unused:UNUSED_PAD src0_sel:BYTE_0 src1_sel:DWORD
	v_or_b32_sdwa v117, v118, v117 dst_sel:WORD_1 dst_unused:UNUSED_PAD src0_sel:BYTE_0 src1_sel:DWORD
	v_add_u32_e32 v118, 0x1090, v113
	v_or_b32_sdwa v117, v120, v117 dst_sel:DWORD dst_unused:UNUSED_PAD src0_sel:WORD_0 src1_sel:DWORD
	ds_read2_b32 v[118:119], v118 offset1:1
	ds_read2_b32 v[120:121], v122 offset0:4 offset1:5
	v_dot4_i32_i8 v114, v116, v7, v114
	v_dot4_i32_i8 v114, v117, v8, v114
	s_waitcnt lgkmcnt(1)
	v_ashrrev_i32_e32 v118, s29, v118
	s_waitcnt lgkmcnt(0)
	v_ashrrev_i32_e32 v120, s3, v120
	v_lshlrev_b32_e32 v120, 2, v120
	v_and_b32_e32 v123, 0x3030303, v118
	v_bfe_u32 v118, v118, 24, 2
	v_and_b32_e32 v120, 0x4040404, v120
	v_ashrrev_i32_e32 v121, s3, v121
	;; [unrolled: 33-line block ×3, first 2 shown]
	v_sub_u16_e32 v125, v124, v122
	v_sub_u16_sdwa v126, v124, v122 dst_sel:BYTE_1 dst_unused:UNUSED_PAD src0_sel:BYTE_1 src1_sel:BYTE_1
	v_sub_u16_sdwa v120, v120, v122 dst_sel:BYTE_1 dst_unused:UNUSED_PAD src0_sel:DWORD src1_sel:BYTE_3
	v_sub_u16_sdwa v122, v124, v122 dst_sel:DWORD dst_unused:UNUSED_PAD src0_sel:WORD_1 src1_sel:WORD_1
	v_ashrrev_i32_e32 v121, s29, v121
	v_lshlrev_b32_e32 v123, 2, v123
	v_or_b32_sdwa v125, v125, v126 dst_sel:DWORD dst_unused:UNUSED_PAD src0_sel:BYTE_0 src1_sel:DWORD
	v_or_b32_sdwa v120, v122, v120 dst_sel:WORD_1 dst_unused:UNUSED_PAD src0_sel:BYTE_0 src1_sel:DWORD
	v_and_b32_e32 v122, 0x3030303, v121
	v_bfe_u32 v121, v121, 24, 2
	v_and_b32_e32 v123, 0x4040404, v123
	v_or_b32_sdwa v120, v125, v120 dst_sel:DWORD dst_unused:UNUSED_PAD src0_sel:WORD_0 src1_sel:DWORD
	v_sub_u16_e32 v124, v122, v123
	v_sub_u16_sdwa v125, v122, v123 dst_sel:BYTE_1 dst_unused:UNUSED_PAD src0_sel:BYTE_1 src1_sel:BYTE_1
	v_sub_u16_sdwa v121, v121, v123 dst_sel:BYTE_1 dst_unused:UNUSED_PAD src0_sel:DWORD src1_sel:BYTE_3
	v_sub_u16_sdwa v122, v122, v123 dst_sel:DWORD dst_unused:UNUSED_PAD src0_sel:WORD_1 src1_sel:WORD_1
	v_or_b32_sdwa v121, v122, v121 dst_sel:WORD_1 dst_unused:UNUSED_PAD src0_sel:BYTE_0 src1_sel:DWORD
	v_add_u32_e32 v122, s28, v76
	v_add3_u32 v123, s17, v96, v97
	ds_read_b32 v123, v123
	ds_read_u16 v116, v122 offset:26354
	v_or_b32_sdwa v124, v124, v125 dst_sel:DWORD dst_unused:UNUSED_PAD src0_sel:BYTE_0 src1_sel:DWORD
	v_or_b32_sdwa v121, v124, v121 dst_sel:DWORD dst_unused:UNUSED_PAD src0_sel:WORD_0 src1_sel:DWORD
	v_dot4_i32_i8 v115, v120, v3, v115
	v_dot4_i32_i8 v115, v121, v4, v115
	s_waitcnt lgkmcnt(0)
	v_lshrrev_b16_e32 v117, 8, v116
	v_bfe_i32 v116, v116, 0, 8
	v_mul_lo_u32 v114, v114, v116
	v_bfe_i32 v117, v117, 0, 8
	v_add3_u32 v122, s30, v98, v99
	v_mad_u64_u32 v[114:115], s[34:35], v115, v117, v[114:115]
	v_mul_f32_e32 v115, v112, v123
	ds_read2_b32 v[116:117], v122 offset1:1
	v_cvt_f32_i32_e32 v114, v114
	v_fmac_f32_e32 v68, v115, v114
	v_add_u32_e32 v114, 0x2100, v113
	ds_read2_b32 v[114:115], v114 offset1:1
	s_waitcnt lgkmcnt(1)
	v_ashrrev_i32_e32 v116, s3, v116
	v_lshlrev_b32_e32 v116, 2, v116
	v_and_b32_e32 v116, 0x4040404, v116
	v_ashrrev_i32_e32 v117, s3, v117
	s_waitcnt lgkmcnt(0)
	v_ashrrev_i32_e32 v114, s29, v114
	v_and_b32_e32 v118, 0x3030303, v114
	v_bfe_u32 v114, v114, 24, 2
	v_sub_u16_e32 v119, v118, v116
	v_sub_u16_sdwa v120, v118, v116 dst_sel:BYTE_1 dst_unused:UNUSED_PAD src0_sel:BYTE_1 src1_sel:BYTE_1
	v_sub_u16_sdwa v114, v114, v116 dst_sel:BYTE_1 dst_unused:UNUSED_PAD src0_sel:DWORD src1_sel:BYTE_3
	v_sub_u16_sdwa v116, v118, v116 dst_sel:DWORD dst_unused:UNUSED_PAD src0_sel:WORD_1 src1_sel:WORD_1
	v_ashrrev_i32_e32 v115, s29, v115
	v_lshlrev_b32_e32 v117, 2, v117
	v_or_b32_sdwa v119, v119, v120 dst_sel:DWORD dst_unused:UNUSED_PAD src0_sel:BYTE_0 src1_sel:DWORD
	v_or_b32_sdwa v114, v116, v114 dst_sel:WORD_1 dst_unused:UNUSED_PAD src0_sel:BYTE_0 src1_sel:DWORD
	v_and_b32_e32 v116, 0x3030303, v115
	v_bfe_u32 v115, v115, 24, 2
	v_and_b32_e32 v117, 0x4040404, v117
	v_or_b32_sdwa v114, v119, v114 dst_sel:DWORD dst_unused:UNUSED_PAD src0_sel:WORD_0 src1_sel:DWORD
	v_sub_u16_e32 v118, v116, v117
	v_sub_u16_sdwa v119, v116, v117 dst_sel:BYTE_1 dst_unused:UNUSED_PAD src0_sel:BYTE_1 src1_sel:BYTE_1
	v_sub_u16_sdwa v115, v115, v117 dst_sel:BYTE_1 dst_unused:UNUSED_PAD src0_sel:DWORD src1_sel:BYTE_3
	v_sub_u16_sdwa v116, v116, v117 dst_sel:DWORD dst_unused:UNUSED_PAD src0_sel:WORD_1 src1_sel:WORD_1
	v_or_b32_sdwa v118, v118, v119 dst_sel:DWORD dst_unused:UNUSED_PAD src0_sel:BYTE_0 src1_sel:DWORD
	v_or_b32_sdwa v115, v116, v115 dst_sel:WORD_1 dst_unused:UNUSED_PAD src0_sel:BYTE_0 src1_sel:DWORD
	v_add_u32_e32 v116, 0x2108, v113
	v_or_b32_sdwa v115, v118, v115 dst_sel:DWORD dst_unused:UNUSED_PAD src0_sel:WORD_0 src1_sel:DWORD
	ds_read2_b32 v[116:117], v116 offset1:1
	ds_read2_b32 v[118:119], v122 offset0:2 offset1:3
	v_dot4_i32_i8 v114, v114, v5, 0
	v_dot4_i32_i8 v114, v115, v6, v114
	s_waitcnt lgkmcnt(1)
	v_ashrrev_i32_e32 v116, s29, v116
	s_waitcnt lgkmcnt(0)
	v_ashrrev_i32_e32 v118, s3, v118
	v_lshlrev_b32_e32 v118, 2, v118
	v_and_b32_e32 v120, 0x3030303, v116
	v_bfe_u32 v116, v116, 24, 2
	v_and_b32_e32 v118, 0x4040404, v118
	v_ashrrev_i32_e32 v119, s3, v119
	v_sub_u16_e32 v121, v120, v118
	v_sub_u16_sdwa v123, v120, v118 dst_sel:BYTE_1 dst_unused:UNUSED_PAD src0_sel:BYTE_1 src1_sel:BYTE_1
	v_sub_u16_sdwa v116, v116, v118 dst_sel:BYTE_1 dst_unused:UNUSED_PAD src0_sel:DWORD src1_sel:BYTE_3
	v_sub_u16_sdwa v118, v120, v118 dst_sel:DWORD dst_unused:UNUSED_PAD src0_sel:WORD_1 src1_sel:WORD_1
	v_ashrrev_i32_e32 v117, s29, v117
	v_lshlrev_b32_e32 v119, 2, v119
	v_or_b32_sdwa v121, v121, v123 dst_sel:DWORD dst_unused:UNUSED_PAD src0_sel:BYTE_0 src1_sel:DWORD
	v_or_b32_sdwa v116, v118, v116 dst_sel:WORD_1 dst_unused:UNUSED_PAD src0_sel:BYTE_0 src1_sel:DWORD
	v_and_b32_e32 v118, 0x3030303, v117
	v_bfe_u32 v117, v117, 24, 2
	v_and_b32_e32 v119, 0x4040404, v119
	v_or_b32_sdwa v116, v121, v116 dst_sel:DWORD dst_unused:UNUSED_PAD src0_sel:WORD_0 src1_sel:DWORD
	v_sub_u16_e32 v120, v118, v119
	v_sub_u16_sdwa v121, v118, v119 dst_sel:BYTE_1 dst_unused:UNUSED_PAD src0_sel:BYTE_1 src1_sel:BYTE_1
	v_sub_u16_sdwa v117, v117, v119 dst_sel:BYTE_1 dst_unused:UNUSED_PAD src0_sel:DWORD src1_sel:BYTE_3
	v_sub_u16_sdwa v118, v118, v119 dst_sel:DWORD dst_unused:UNUSED_PAD src0_sel:WORD_1 src1_sel:WORD_1
	v_or_b32_sdwa v120, v120, v121 dst_sel:DWORD dst_unused:UNUSED_PAD src0_sel:BYTE_0 src1_sel:DWORD
	v_or_b32_sdwa v117, v118, v117 dst_sel:WORD_1 dst_unused:UNUSED_PAD src0_sel:BYTE_0 src1_sel:DWORD
	v_add_u32_e32 v118, 0x2110, v113
	v_or_b32_sdwa v117, v120, v117 dst_sel:DWORD dst_unused:UNUSED_PAD src0_sel:WORD_0 src1_sel:DWORD
	ds_read2_b32 v[118:119], v118 offset1:1
	ds_read2_b32 v[120:121], v122 offset0:4 offset1:5
	v_dot4_i32_i8 v114, v116, v7, v114
	v_dot4_i32_i8 v114, v117, v8, v114
	s_waitcnt lgkmcnt(1)
	v_ashrrev_i32_e32 v118, s29, v118
	s_waitcnt lgkmcnt(0)
	v_ashrrev_i32_e32 v120, s3, v120
	v_lshlrev_b32_e32 v120, 2, v120
	v_and_b32_e32 v123, 0x3030303, v118
	v_bfe_u32 v118, v118, 24, 2
	v_and_b32_e32 v120, 0x4040404, v120
	v_ashrrev_i32_e32 v121, s3, v121
	;; [unrolled: 33-line block ×3, first 2 shown]
	v_sub_u16_e32 v125, v124, v122
	v_sub_u16_sdwa v126, v124, v122 dst_sel:BYTE_1 dst_unused:UNUSED_PAD src0_sel:BYTE_1 src1_sel:BYTE_1
	v_sub_u16_sdwa v120, v120, v122 dst_sel:BYTE_1 dst_unused:UNUSED_PAD src0_sel:DWORD src1_sel:BYTE_3
	v_sub_u16_sdwa v122, v124, v122 dst_sel:DWORD dst_unused:UNUSED_PAD src0_sel:WORD_1 src1_sel:WORD_1
	v_ashrrev_i32_e32 v121, s29, v121
	v_lshlrev_b32_e32 v123, 2, v123
	v_or_b32_sdwa v125, v125, v126 dst_sel:DWORD dst_unused:UNUSED_PAD src0_sel:BYTE_0 src1_sel:DWORD
	v_or_b32_sdwa v120, v122, v120 dst_sel:WORD_1 dst_unused:UNUSED_PAD src0_sel:BYTE_0 src1_sel:DWORD
	v_and_b32_e32 v122, 0x3030303, v121
	v_bfe_u32 v121, v121, 24, 2
	v_and_b32_e32 v123, 0x4040404, v123
	v_or_b32_sdwa v120, v125, v120 dst_sel:DWORD dst_unused:UNUSED_PAD src0_sel:WORD_0 src1_sel:DWORD
	v_sub_u16_e32 v124, v122, v123
	v_sub_u16_sdwa v125, v122, v123 dst_sel:BYTE_1 dst_unused:UNUSED_PAD src0_sel:BYTE_1 src1_sel:BYTE_1
	v_sub_u16_sdwa v121, v121, v123 dst_sel:BYTE_1 dst_unused:UNUSED_PAD src0_sel:DWORD src1_sel:BYTE_3
	v_sub_u16_sdwa v122, v122, v123 dst_sel:DWORD dst_unused:UNUSED_PAD src0_sel:WORD_1 src1_sel:WORD_1
	v_or_b32_sdwa v121, v122, v121 dst_sel:WORD_1 dst_unused:UNUSED_PAD src0_sel:BYTE_0 src1_sel:DWORD
	v_add_u32_e32 v122, s28, v74
	v_add3_u32 v123, s17, v100, v101
	ds_read_b32 v123, v123
	ds_read_u16 v116, v122 offset:27378
	v_or_b32_sdwa v124, v124, v125 dst_sel:DWORD dst_unused:UNUSED_PAD src0_sel:BYTE_0 src1_sel:DWORD
	v_or_b32_sdwa v121, v124, v121 dst_sel:DWORD dst_unused:UNUSED_PAD src0_sel:WORD_0 src1_sel:DWORD
	v_dot4_i32_i8 v115, v120, v3, v115
	v_dot4_i32_i8 v115, v121, v4, v115
	s_waitcnt lgkmcnt(0)
	v_lshrrev_b16_e32 v117, 8, v116
	v_bfe_i32 v116, v116, 0, 8
	v_mul_lo_u32 v114, v114, v116
	v_bfe_i32 v117, v117, 0, 8
	v_add3_u32 v122, s30, v102, v103
	v_mad_u64_u32 v[114:115], s[34:35], v115, v117, v[114:115]
	v_mul_f32_e32 v115, v112, v123
	ds_read2_b32 v[116:117], v122 offset1:1
	v_cvt_f32_i32_e32 v114, v114
	v_fmac_f32_e32 v64, v115, v114
	v_add_u32_e32 v114, 0x3180, v113
	ds_read2_b32 v[114:115], v114 offset1:1
	s_waitcnt lgkmcnt(1)
	v_ashrrev_i32_e32 v116, s3, v116
	v_lshlrev_b32_e32 v116, 2, v116
	v_and_b32_e32 v116, 0x4040404, v116
	v_ashrrev_i32_e32 v117, s3, v117
	s_waitcnt lgkmcnt(0)
	v_ashrrev_i32_e32 v114, s29, v114
	v_and_b32_e32 v118, 0x3030303, v114
	v_bfe_u32 v114, v114, 24, 2
	v_sub_u16_e32 v119, v118, v116
	v_sub_u16_sdwa v120, v118, v116 dst_sel:BYTE_1 dst_unused:UNUSED_PAD src0_sel:BYTE_1 src1_sel:BYTE_1
	v_sub_u16_sdwa v114, v114, v116 dst_sel:BYTE_1 dst_unused:UNUSED_PAD src0_sel:DWORD src1_sel:BYTE_3
	v_sub_u16_sdwa v116, v118, v116 dst_sel:DWORD dst_unused:UNUSED_PAD src0_sel:WORD_1 src1_sel:WORD_1
	v_ashrrev_i32_e32 v115, s29, v115
	v_lshlrev_b32_e32 v117, 2, v117
	v_or_b32_sdwa v119, v119, v120 dst_sel:DWORD dst_unused:UNUSED_PAD src0_sel:BYTE_0 src1_sel:DWORD
	v_or_b32_sdwa v114, v116, v114 dst_sel:WORD_1 dst_unused:UNUSED_PAD src0_sel:BYTE_0 src1_sel:DWORD
	v_and_b32_e32 v116, 0x3030303, v115
	v_bfe_u32 v115, v115, 24, 2
	v_and_b32_e32 v117, 0x4040404, v117
	v_or_b32_sdwa v114, v119, v114 dst_sel:DWORD dst_unused:UNUSED_PAD src0_sel:WORD_0 src1_sel:DWORD
	v_sub_u16_e32 v118, v116, v117
	v_sub_u16_sdwa v119, v116, v117 dst_sel:BYTE_1 dst_unused:UNUSED_PAD src0_sel:BYTE_1 src1_sel:BYTE_1
	v_sub_u16_sdwa v115, v115, v117 dst_sel:BYTE_1 dst_unused:UNUSED_PAD src0_sel:DWORD src1_sel:BYTE_3
	v_sub_u16_sdwa v116, v116, v117 dst_sel:DWORD dst_unused:UNUSED_PAD src0_sel:WORD_1 src1_sel:WORD_1
	v_or_b32_sdwa v118, v118, v119 dst_sel:DWORD dst_unused:UNUSED_PAD src0_sel:BYTE_0 src1_sel:DWORD
	v_or_b32_sdwa v115, v116, v115 dst_sel:WORD_1 dst_unused:UNUSED_PAD src0_sel:BYTE_0 src1_sel:DWORD
	v_add_u32_e32 v116, 0x3188, v113
	v_or_b32_sdwa v115, v118, v115 dst_sel:DWORD dst_unused:UNUSED_PAD src0_sel:WORD_0 src1_sel:DWORD
	ds_read2_b32 v[116:117], v116 offset1:1
	ds_read2_b32 v[118:119], v122 offset0:2 offset1:3
	v_dot4_i32_i8 v5, v114, v5, 0
	v_dot4_i32_i8 v5, v115, v6, v5
	s_waitcnt lgkmcnt(1)
	v_ashrrev_i32_e32 v116, s29, v116
	s_waitcnt lgkmcnt(0)
	v_ashrrev_i32_e32 v118, s3, v118
	v_lshlrev_b32_e32 v118, 2, v118
	v_and_b32_e32 v120, 0x3030303, v116
	v_bfe_u32 v116, v116, 24, 2
	v_and_b32_e32 v118, 0x4040404, v118
	v_ashrrev_i32_e32 v119, s3, v119
	v_sub_u16_e32 v121, v120, v118
	v_sub_u16_sdwa v123, v120, v118 dst_sel:BYTE_1 dst_unused:UNUSED_PAD src0_sel:BYTE_1 src1_sel:BYTE_1
	v_sub_u16_sdwa v116, v116, v118 dst_sel:BYTE_1 dst_unused:UNUSED_PAD src0_sel:DWORD src1_sel:BYTE_3
	v_sub_u16_sdwa v118, v120, v118 dst_sel:DWORD dst_unused:UNUSED_PAD src0_sel:WORD_1 src1_sel:WORD_1
	v_ashrrev_i32_e32 v117, s29, v117
	v_lshlrev_b32_e32 v119, 2, v119
	v_or_b32_sdwa v121, v121, v123 dst_sel:DWORD dst_unused:UNUSED_PAD src0_sel:BYTE_0 src1_sel:DWORD
	v_or_b32_sdwa v116, v118, v116 dst_sel:WORD_1 dst_unused:UNUSED_PAD src0_sel:BYTE_0 src1_sel:DWORD
	v_and_b32_e32 v118, 0x3030303, v117
	v_bfe_u32 v117, v117, 24, 2
	v_and_b32_e32 v119, 0x4040404, v119
	v_or_b32_sdwa v116, v121, v116 dst_sel:DWORD dst_unused:UNUSED_PAD src0_sel:WORD_0 src1_sel:DWORD
	v_sub_u16_e32 v120, v118, v119
	v_sub_u16_sdwa v121, v118, v119 dst_sel:BYTE_1 dst_unused:UNUSED_PAD src0_sel:BYTE_1 src1_sel:BYTE_1
	v_sub_u16_sdwa v117, v117, v119 dst_sel:BYTE_1 dst_unused:UNUSED_PAD src0_sel:DWORD src1_sel:BYTE_3
	v_sub_u16_sdwa v118, v118, v119 dst_sel:DWORD dst_unused:UNUSED_PAD src0_sel:WORD_1 src1_sel:WORD_1
	v_or_b32_sdwa v120, v120, v121 dst_sel:DWORD dst_unused:UNUSED_PAD src0_sel:BYTE_0 src1_sel:DWORD
	v_or_b32_sdwa v117, v118, v117 dst_sel:WORD_1 dst_unused:UNUSED_PAD src0_sel:BYTE_0 src1_sel:DWORD
	v_add_u32_e32 v118, 0x3190, v113
	v_or_b32_sdwa v117, v120, v117 dst_sel:DWORD dst_unused:UNUSED_PAD src0_sel:WORD_0 src1_sel:DWORD
	ds_read2_b32 v[118:119], v118 offset1:1
	ds_read2_b32 v[120:121], v122 offset0:4 offset1:5
	v_add_u32_e32 v113, 0x3198, v113
	v_dot4_i32_i8 v5, v116, v7, v5
	v_dot4_i32_i8 v5, v117, v8, v5
	s_waitcnt lgkmcnt(1)
	v_ashrrev_i32_e32 v118, s29, v118
	s_waitcnt lgkmcnt(0)
	v_ashrrev_i32_e32 v120, s3, v120
	v_lshlrev_b32_e32 v120, 2, v120
	v_and_b32_e32 v123, 0x3030303, v118
	v_bfe_u32 v118, v118, 24, 2
	v_and_b32_e32 v120, 0x4040404, v120
	v_ashrrev_i32_e32 v121, s3, v121
	v_sub_u16_e32 v124, v123, v120
	v_sub_u16_sdwa v125, v123, v120 dst_sel:BYTE_1 dst_unused:UNUSED_PAD src0_sel:BYTE_1 src1_sel:BYTE_1
	v_sub_u16_sdwa v118, v118, v120 dst_sel:BYTE_1 dst_unused:UNUSED_PAD src0_sel:DWORD src1_sel:BYTE_3
	v_sub_u16_sdwa v120, v123, v120 dst_sel:DWORD dst_unused:UNUSED_PAD src0_sel:WORD_1 src1_sel:WORD_1
	v_ashrrev_i32_e32 v119, s29, v119
	v_lshlrev_b32_e32 v121, 2, v121
	v_or_b32_sdwa v124, v124, v125 dst_sel:DWORD dst_unused:UNUSED_PAD src0_sel:BYTE_0 src1_sel:DWORD
	v_or_b32_sdwa v118, v120, v118 dst_sel:WORD_1 dst_unused:UNUSED_PAD src0_sel:BYTE_0 src1_sel:DWORD
	v_and_b32_e32 v120, 0x3030303, v119
	v_bfe_u32 v119, v119, 24, 2
	v_and_b32_e32 v121, 0x4040404, v121
	v_or_b32_sdwa v118, v124, v118 dst_sel:DWORD dst_unused:UNUSED_PAD src0_sel:WORD_0 src1_sel:DWORD
	v_sub_u16_e32 v123, v120, v121
	v_sub_u16_sdwa v124, v120, v121 dst_sel:BYTE_1 dst_unused:UNUSED_PAD src0_sel:BYTE_1 src1_sel:BYTE_1
	v_sub_u16_sdwa v119, v119, v121 dst_sel:BYTE_1 dst_unused:UNUSED_PAD src0_sel:DWORD src1_sel:BYTE_3
	v_sub_u16_sdwa v120, v120, v121 dst_sel:DWORD dst_unused:UNUSED_PAD src0_sel:WORD_1 src1_sel:WORD_1
	v_or_b32_sdwa v123, v123, v124 dst_sel:DWORD dst_unused:UNUSED_PAD src0_sel:BYTE_0 src1_sel:DWORD
	v_or_b32_sdwa v119, v120, v119 dst_sel:WORD_1 dst_unused:UNUSED_PAD src0_sel:BYTE_0 src1_sel:DWORD
	v_or_b32_sdwa v119, v123, v119 dst_sel:DWORD dst_unused:UNUSED_PAD src0_sel:WORD_0 src1_sel:DWORD
	ds_read2_b32 v[120:121], v113 offset1:1
	ds_read2_b32 v[122:123], v122 offset0:6 offset1:7
	v_dot4_i32_i8 v1, v118, v1, 0
	v_dot4_i32_i8 v1, v119, v2, v1
	s_waitcnt lgkmcnt(1)
	v_ashrrev_i32_e32 v113, s29, v120
	s_waitcnt lgkmcnt(0)
	v_ashrrev_i32_e32 v122, s3, v122
	v_lshlrev_b32_e32 v122, 2, v122
	v_and_b32_e32 v120, 0x3030303, v113
	v_bfe_u32 v113, v113, 24, 2
	v_and_b32_e32 v122, 0x4040404, v122
	v_sub_u16_e32 v124, v120, v122
	v_sub_u16_sdwa v125, v120, v122 dst_sel:BYTE_1 dst_unused:UNUSED_PAD src0_sel:BYTE_1 src1_sel:BYTE_1
	v_sub_u16_sdwa v113, v113, v122 dst_sel:BYTE_1 dst_unused:UNUSED_PAD src0_sel:DWORD src1_sel:BYTE_3
	v_sub_u16_sdwa v120, v120, v122 dst_sel:DWORD dst_unused:UNUSED_PAD src0_sel:WORD_1 src1_sel:WORD_1
	v_ashrrev_i32_e32 v122, s3, v123
	v_or_b32_sdwa v113, v120, v113 dst_sel:WORD_1 dst_unused:UNUSED_PAD src0_sel:BYTE_0 src1_sel:DWORD
	v_ashrrev_i32_e32 v120, s29, v121
	v_lshlrev_b32_e32 v122, 2, v122
	v_or_b32_sdwa v124, v124, v125 dst_sel:DWORD dst_unused:UNUSED_PAD src0_sel:BYTE_0 src1_sel:DWORD
	v_and_b32_e32 v121, 0x3030303, v120
	v_bfe_u32 v120, v120, 24, 2
	v_and_b32_e32 v122, 0x4040404, v122
	v_or_b32_sdwa v113, v124, v113 dst_sel:DWORD dst_unused:UNUSED_PAD src0_sel:WORD_0 src1_sel:DWORD
	v_sub_u16_e32 v123, v121, v122
	v_sub_u16_sdwa v124, v121, v122 dst_sel:BYTE_1 dst_unused:UNUSED_PAD src0_sel:BYTE_1 src1_sel:BYTE_1
	v_sub_u16_sdwa v120, v120, v122 dst_sel:BYTE_1 dst_unused:UNUSED_PAD src0_sel:DWORD src1_sel:BYTE_3
	v_sub_u16_sdwa v121, v121, v122 dst_sel:DWORD dst_unused:UNUSED_PAD src0_sel:WORD_1 src1_sel:WORD_1
	v_or_b32_sdwa v123, v123, v124 dst_sel:DWORD dst_unused:UNUSED_PAD src0_sel:BYTE_0 src1_sel:DWORD
	v_or_b32_sdwa v120, v121, v120 dst_sel:WORD_1 dst_unused:UNUSED_PAD src0_sel:BYTE_0 src1_sel:DWORD
	v_or_b32_sdwa v120, v123, v120 dst_sel:DWORD dst_unused:UNUSED_PAD src0_sel:WORD_0 src1_sel:DWORD
	v_add_u32_e32 v122, s28, v72
	v_add3_u32 v121, s17, v104, v105
	v_dot4_i32_i8 v1, v113, v3, v1
	ds_read_b32 v121, v121
	v_dot4_i32_i8 v2, v120, v4, v1
	ds_read_u16 v1, v122 offset:28402
	s_add_i32 s3, s3, 1
	s_cmp_lt_u32 s16, 22
	s_mov_b32 s17, s16
	s_waitcnt lgkmcnt(0)
	v_lshrrev_b16_e32 v3, 8, v1
	v_bfe_i32 v1, v1, 0, 8
	v_mul_lo_u32 v1, v5, v1
	v_bfe_i32 v3, v3, 0, 8
	v_mad_u64_u32 v[1:2], s[28:29], v2, v3, v[1:2]
	v_mul_f32_e32 v2, v112, v121
	v_cvt_f32_i32_e32 v1, v1
	v_fmac_f32_e32 v9, v2, v1
	s_cbranch_scc1 .LBB229_27
; %bb.28:                               ;   in Loop: Header=BB229_5 Depth=1
	s_or_b32 s2, s26, 0x180
	s_cmp_ge_i32 s2, s15
	s_barrier
	s_cbranch_scc1 .LBB229_4
; %bb.29:                               ;   in Loop: Header=BB229_5 Depth=1
	v_add_u32_e32 v1, s27, v67
	v_cmp_gt_i32_e64 s[2:3], s9, v1
	s_and_b64 s[16:17], s[0:1], s[2:3]
	s_and_saveexec_b64 s[2:3], s[16:17]
	s_cbranch_execz .LBB229_31
; %bb.30:                               ;   in Loop: Header=BB229_5 Depth=1
	v_add_u32_e32 v1, v69, v1
	v_mad_i64_i32 v[1:2], s[16:17], v1, 36, v[10:11]
	global_load_dword v1, v[1:2], off offset:4
	s_waitcnt vmcnt(0)
	ds_write_b32 v61, v1
.LBB229_31:                             ;   in Loop: Header=BB229_5 Depth=1
	s_or_b64 exec, exec, s[2:3]
	s_and_saveexec_b64 s[16:17], vcc
	s_cbranch_execz .LBB229_34
; %bb.32:                               ;   in Loop: Header=BB229_5 Depth=1
	v_or_b32_e32 v1, 12, v109
	v_cmp_gt_i32_e64 s[2:3], s9, v1
	s_and_b64 s[2:3], s[0:1], s[2:3]
	s_and_b64 exec, exec, s[2:3]
	s_cbranch_execz .LBB229_34
; %bb.33:                               ;   in Loop: Header=BB229_5 Depth=1
	v_ashrrev_i32_e32 v1, 31, v109
	v_add_co_u32_e64 v2, s[2:3], v69, v109
	v_addc_co_u32_e64 v3, s[2:3], v71, v1, s[2:3]
	v_mad_u64_u32 v[1:2], s[2:3], v2, 36, s[6:7]
	v_mad_i32_i24 v2, v3, 36, v2
	global_load_dword v1, v[1:2], off offset:432
	s_waitcnt vmcnt(0)
	v_cvt_f32_f16_e32 v1, v1
	ds_write_b32 v63, v1
.LBB229_34:                             ;   in Loop: Header=BB229_5 Depth=1
	s_or_b64 exec, exec, s[16:17]
	s_mov_b32 s2, 24
	s_mov_b32 s17, 22
	;; [unrolled: 1-line block ×3, first 2 shown]
	v_mov_b32_e32 v109, v60
	v_mov_b32_e32 v110, v62
	s_waitcnt lgkmcnt(0)
	s_barrier
.LBB229_35:                             ;   Parent Loop BB229_5 Depth=1
                                        ; =>  This Inner Loop Header: Depth=2
	s_add_i32 s16, s17, 2
	s_lshr_b32 s29, s16, 4
	s_and_b32 s28, s16, 0x3ffffff8
	v_lshl_add_u32 v112, s28, 2, v70
	s_lshl_b32 s28, s29, 5
	s_addk_i32 s28, 0x4200
	v_add3_u32 v121, s28, v106, v93
	ds_read_b32 v111, v110
	ds_read_b128 v[5:8], v109
	ds_read_b128 v[1:4], v109 offset:16
	ds_read2_b32 v[113:114], v112 offset1:1
	ds_read2_b32 v[115:116], v121 offset1:1
	s_sub_i32 s27, s17, 22
	s_and_b32 s26, s2, -16
	s_add_i32 s26, s17, s26
	s_waitcnt lgkmcnt(1)
	v_ashrrev_i32_e32 v113, s27, v113
	s_waitcnt lgkmcnt(0)
	v_ashrrev_i32_e32 v115, s3, v115
	v_lshlrev_b32_e32 v115, 2, v115
	v_and_b32_e32 v117, 0x3030303, v113
	v_bfe_u32 v113, v113, 24, 2
	v_and_b32_e32 v115, 0x4040404, v115
	v_ashrrev_i32_e32 v116, s3, v116
	v_sub_u16_e32 v118, v117, v115
	v_sub_u16_sdwa v119, v117, v115 dst_sel:BYTE_1 dst_unused:UNUSED_PAD src0_sel:BYTE_1 src1_sel:BYTE_1
	v_sub_u16_sdwa v113, v113, v115 dst_sel:BYTE_1 dst_unused:UNUSED_PAD src0_sel:DWORD src1_sel:BYTE_3
	v_sub_u16_sdwa v115, v117, v115 dst_sel:DWORD dst_unused:UNUSED_PAD src0_sel:WORD_1 src1_sel:WORD_1
	v_ashrrev_i32_e32 v114, s27, v114
	v_lshlrev_b32_e32 v116, 2, v116
	v_or_b32_sdwa v118, v118, v119 dst_sel:DWORD dst_unused:UNUSED_PAD src0_sel:BYTE_0 src1_sel:DWORD
	v_or_b32_sdwa v113, v115, v113 dst_sel:WORD_1 dst_unused:UNUSED_PAD src0_sel:BYTE_0 src1_sel:DWORD
	v_and_b32_e32 v115, 0x3030303, v114
	v_bfe_u32 v114, v114, 24, 2
	v_and_b32_e32 v116, 0x4040404, v116
	v_or_b32_sdwa v113, v118, v113 dst_sel:DWORD dst_unused:UNUSED_PAD src0_sel:WORD_0 src1_sel:DWORD
	v_sub_u16_e32 v117, v115, v116
	v_sub_u16_sdwa v118, v115, v116 dst_sel:BYTE_1 dst_unused:UNUSED_PAD src0_sel:BYTE_1 src1_sel:BYTE_1
	v_sub_u16_sdwa v114, v114, v116 dst_sel:BYTE_1 dst_unused:UNUSED_PAD src0_sel:DWORD src1_sel:BYTE_3
	v_sub_u16_sdwa v115, v115, v116 dst_sel:DWORD dst_unused:UNUSED_PAD src0_sel:WORD_1 src1_sel:WORD_1
	v_or_b32_sdwa v117, v117, v118 dst_sel:DWORD dst_unused:UNUSED_PAD src0_sel:BYTE_0 src1_sel:DWORD
	v_or_b32_sdwa v114, v115, v114 dst_sel:WORD_1 dst_unused:UNUSED_PAD src0_sel:BYTE_0 src1_sel:DWORD
	v_or_b32_sdwa v114, v117, v114 dst_sel:DWORD dst_unused:UNUSED_PAD src0_sel:WORD_0 src1_sel:DWORD
	ds_read2_b32 v[115:116], v112 offset0:2 offset1:3
	ds_read2_b32 v[117:118], v121 offset0:2 offset1:3
	s_lshl_b32 s17, s29, 2
	s_addk_i32 s17, 0x7380
	v_dot4_i32_i8 v113, v113, v5, 0
	s_waitcnt lgkmcnt(1)
	v_ashrrev_i32_e32 v115, s27, v115
	s_waitcnt lgkmcnt(0)
	v_ashrrev_i32_e32 v117, s3, v117
	v_lshlrev_b32_e32 v117, 2, v117
	v_and_b32_e32 v119, 0x3030303, v115
	v_bfe_u32 v115, v115, 24, 2
	v_and_b32_e32 v117, 0x4040404, v117
	v_ashrrev_i32_e32 v118, s3, v118
	v_sub_u16_e32 v120, v119, v117
	v_sub_u16_sdwa v122, v119, v117 dst_sel:BYTE_1 dst_unused:UNUSED_PAD src0_sel:BYTE_1 src1_sel:BYTE_1
	v_sub_u16_sdwa v115, v115, v117 dst_sel:BYTE_1 dst_unused:UNUSED_PAD src0_sel:DWORD src1_sel:BYTE_3
	v_sub_u16_sdwa v117, v119, v117 dst_sel:DWORD dst_unused:UNUSED_PAD src0_sel:WORD_1 src1_sel:WORD_1
	v_ashrrev_i32_e32 v116, s27, v116
	v_lshlrev_b32_e32 v118, 2, v118
	v_or_b32_sdwa v120, v120, v122 dst_sel:DWORD dst_unused:UNUSED_PAD src0_sel:BYTE_0 src1_sel:DWORD
	v_or_b32_sdwa v115, v117, v115 dst_sel:WORD_1 dst_unused:UNUSED_PAD src0_sel:BYTE_0 src1_sel:DWORD
	v_and_b32_e32 v117, 0x3030303, v116
	v_bfe_u32 v116, v116, 24, 2
	v_and_b32_e32 v118, 0x4040404, v118
	v_or_b32_sdwa v115, v120, v115 dst_sel:DWORD dst_unused:UNUSED_PAD src0_sel:WORD_0 src1_sel:DWORD
	v_sub_u16_e32 v119, v117, v118
	v_sub_u16_sdwa v120, v117, v118 dst_sel:BYTE_1 dst_unused:UNUSED_PAD src0_sel:BYTE_1 src1_sel:BYTE_1
	v_sub_u16_sdwa v116, v116, v118 dst_sel:BYTE_1 dst_unused:UNUSED_PAD src0_sel:DWORD src1_sel:BYTE_3
	v_sub_u16_sdwa v117, v117, v118 dst_sel:DWORD dst_unused:UNUSED_PAD src0_sel:WORD_1 src1_sel:WORD_1
	v_or_b32_sdwa v119, v119, v120 dst_sel:DWORD dst_unused:UNUSED_PAD src0_sel:BYTE_0 src1_sel:DWORD
	v_or_b32_sdwa v116, v117, v116 dst_sel:WORD_1 dst_unused:UNUSED_PAD src0_sel:BYTE_0 src1_sel:DWORD
	v_or_b32_sdwa v116, v119, v116 dst_sel:DWORD dst_unused:UNUSED_PAD src0_sel:WORD_0 src1_sel:DWORD
	ds_read2_b32 v[117:118], v112 offset0:4 offset1:5
	ds_read2_b32 v[119:120], v121 offset0:4 offset1:5
	v_dot4_i32_i8 v113, v114, v6, v113
	v_dot4_i32_i8 v113, v115, v7, v113
	;; [unrolled: 1-line block ×3, first 2 shown]
	s_waitcnt lgkmcnt(1)
	v_ashrrev_i32_e32 v117, s27, v117
	s_waitcnt lgkmcnt(0)
	v_ashrrev_i32_e32 v119, s3, v119
	v_lshlrev_b32_e32 v119, 2, v119
	v_and_b32_e32 v122, 0x3030303, v117
	v_bfe_u32 v117, v117, 24, 2
	v_and_b32_e32 v119, 0x4040404, v119
	v_ashrrev_i32_e32 v120, s3, v120
	v_sub_u16_e32 v123, v122, v119
	v_sub_u16_sdwa v124, v122, v119 dst_sel:BYTE_1 dst_unused:UNUSED_PAD src0_sel:BYTE_1 src1_sel:BYTE_1
	v_sub_u16_sdwa v117, v117, v119 dst_sel:BYTE_1 dst_unused:UNUSED_PAD src0_sel:DWORD src1_sel:BYTE_3
	v_sub_u16_sdwa v119, v122, v119 dst_sel:DWORD dst_unused:UNUSED_PAD src0_sel:WORD_1 src1_sel:WORD_1
	v_ashrrev_i32_e32 v118, s27, v118
	v_lshlrev_b32_e32 v120, 2, v120
	v_or_b32_sdwa v123, v123, v124 dst_sel:DWORD dst_unused:UNUSED_PAD src0_sel:BYTE_0 src1_sel:DWORD
	v_or_b32_sdwa v117, v119, v117 dst_sel:WORD_1 dst_unused:UNUSED_PAD src0_sel:BYTE_0 src1_sel:DWORD
	v_and_b32_e32 v119, 0x3030303, v118
	v_bfe_u32 v118, v118, 24, 2
	v_and_b32_e32 v120, 0x4040404, v120
	v_or_b32_sdwa v117, v123, v117 dst_sel:DWORD dst_unused:UNUSED_PAD src0_sel:WORD_0 src1_sel:DWORD
	v_sub_u16_e32 v122, v119, v120
	v_sub_u16_sdwa v123, v119, v120 dst_sel:BYTE_1 dst_unused:UNUSED_PAD src0_sel:BYTE_1 src1_sel:BYTE_1
	v_sub_u16_sdwa v118, v118, v120 dst_sel:BYTE_1 dst_unused:UNUSED_PAD src0_sel:DWORD src1_sel:BYTE_3
	v_sub_u16_sdwa v119, v119, v120 dst_sel:DWORD dst_unused:UNUSED_PAD src0_sel:WORD_1 src1_sel:WORD_1
	v_or_b32_sdwa v122, v122, v123 dst_sel:DWORD dst_unused:UNUSED_PAD src0_sel:BYTE_0 src1_sel:DWORD
	v_or_b32_sdwa v118, v119, v118 dst_sel:WORD_1 dst_unused:UNUSED_PAD src0_sel:BYTE_0 src1_sel:DWORD
	v_or_b32_sdwa v118, v122, v118 dst_sel:DWORD dst_unused:UNUSED_PAD src0_sel:WORD_0 src1_sel:DWORD
	ds_read2_b32 v[119:120], v112 offset0:6 offset1:7
	ds_read2_b32 v[121:122], v121 offset0:6 offset1:7
	v_dot4_i32_i8 v114, v117, v1, 0
	v_dot4_i32_i8 v114, v118, v2, v114
	s_add_i32 s2, s2, 2
	s_waitcnt lgkmcnt(1)
	v_ashrrev_i32_e32 v119, s27, v119
	s_waitcnt lgkmcnt(0)
	v_ashrrev_i32_e32 v121, s3, v121
	v_lshlrev_b32_e32 v121, 2, v121
	v_and_b32_e32 v123, 0x3030303, v119
	v_bfe_u32 v119, v119, 24, 2
	v_and_b32_e32 v121, 0x4040404, v121
	v_ashrrev_i32_e32 v122, s3, v122
	v_sub_u16_e32 v124, v123, v121
	v_sub_u16_sdwa v125, v123, v121 dst_sel:BYTE_1 dst_unused:UNUSED_PAD src0_sel:BYTE_1 src1_sel:BYTE_1
	v_sub_u16_sdwa v119, v119, v121 dst_sel:BYTE_1 dst_unused:UNUSED_PAD src0_sel:DWORD src1_sel:BYTE_3
	v_sub_u16_sdwa v121, v123, v121 dst_sel:DWORD dst_unused:UNUSED_PAD src0_sel:WORD_1 src1_sel:WORD_1
	v_ashrrev_i32_e32 v120, s27, v120
	v_lshlrev_b32_e32 v122, 2, v122
	v_or_b32_sdwa v124, v124, v125 dst_sel:DWORD dst_unused:UNUSED_PAD src0_sel:BYTE_0 src1_sel:DWORD
	v_or_b32_sdwa v119, v121, v119 dst_sel:WORD_1 dst_unused:UNUSED_PAD src0_sel:BYTE_0 src1_sel:DWORD
	v_and_b32_e32 v121, 0x3030303, v120
	v_bfe_u32 v120, v120, 24, 2
	v_and_b32_e32 v122, 0x4040404, v122
	v_or_b32_sdwa v119, v124, v119 dst_sel:DWORD dst_unused:UNUSED_PAD src0_sel:WORD_0 src1_sel:DWORD
	v_sub_u16_e32 v123, v121, v122
	v_sub_u16_sdwa v124, v121, v122 dst_sel:BYTE_1 dst_unused:UNUSED_PAD src0_sel:BYTE_1 src1_sel:BYTE_1
	v_sub_u16_sdwa v120, v120, v122 dst_sel:BYTE_1 dst_unused:UNUSED_PAD src0_sel:DWORD src1_sel:BYTE_3
	v_sub_u16_sdwa v121, v121, v122 dst_sel:DWORD dst_unused:UNUSED_PAD src0_sel:WORD_1 src1_sel:WORD_1
	v_or_b32_sdwa v120, v121, v120 dst_sel:WORD_1 dst_unused:UNUSED_PAD src0_sel:BYTE_0 src1_sel:DWORD
	v_add_u32_e32 v121, s26, v78
	v_add3_u32 v122, s17, v107, v108
	ds_read_b32 v122, v122
	ds_read_u16 v115, v121 offset:25330
	v_or_b32_sdwa v123, v123, v124 dst_sel:DWORD dst_unused:UNUSED_PAD src0_sel:BYTE_0 src1_sel:DWORD
	v_or_b32_sdwa v120, v123, v120 dst_sel:DWORD dst_unused:UNUSED_PAD src0_sel:WORD_0 src1_sel:DWORD
	v_dot4_i32_i8 v114, v119, v3, v114
	v_dot4_i32_i8 v114, v120, v4, v114
	s_waitcnt lgkmcnt(0)
	v_lshrrev_b16_e32 v116, 8, v115
	v_bfe_i32 v115, v115, 0, 8
	v_mul_lo_u32 v113, v113, v115
	v_bfe_i32 v116, v116, 0, 8
	v_add3_u32 v121, s28, v94, v95
	v_add_u32_e32 v110, 4, v110
	v_mad_u64_u32 v[113:114], s[30:31], v114, v116, v[113:114]
	v_mul_f32_e32 v114, v111, v122
	ds_read2_b32 v[115:116], v121 offset1:1
	v_cvt_f32_i32_e32 v113, v113
	v_add_u32_e32 v109, 32, v109
	v_fmac_f32_e32 v13, v114, v113
	v_add_u32_e32 v113, 0x1080, v112
	ds_read2_b32 v[113:114], v113 offset1:1
	s_waitcnt lgkmcnt(1)
	v_ashrrev_i32_e32 v115, s3, v115
	v_lshlrev_b32_e32 v115, 2, v115
	v_and_b32_e32 v115, 0x4040404, v115
	v_ashrrev_i32_e32 v116, s3, v116
	s_waitcnt lgkmcnt(0)
	v_ashrrev_i32_e32 v113, s27, v113
	v_and_b32_e32 v117, 0x3030303, v113
	v_bfe_u32 v113, v113, 24, 2
	v_sub_u16_e32 v118, v117, v115
	v_sub_u16_sdwa v119, v117, v115 dst_sel:BYTE_1 dst_unused:UNUSED_PAD src0_sel:BYTE_1 src1_sel:BYTE_1
	v_sub_u16_sdwa v113, v113, v115 dst_sel:BYTE_1 dst_unused:UNUSED_PAD src0_sel:DWORD src1_sel:BYTE_3
	v_sub_u16_sdwa v115, v117, v115 dst_sel:DWORD dst_unused:UNUSED_PAD src0_sel:WORD_1 src1_sel:WORD_1
	v_ashrrev_i32_e32 v114, s27, v114
	v_lshlrev_b32_e32 v116, 2, v116
	v_or_b32_sdwa v118, v118, v119 dst_sel:DWORD dst_unused:UNUSED_PAD src0_sel:BYTE_0 src1_sel:DWORD
	v_or_b32_sdwa v113, v115, v113 dst_sel:WORD_1 dst_unused:UNUSED_PAD src0_sel:BYTE_0 src1_sel:DWORD
	v_and_b32_e32 v115, 0x3030303, v114
	v_bfe_u32 v114, v114, 24, 2
	v_and_b32_e32 v116, 0x4040404, v116
	v_or_b32_sdwa v113, v118, v113 dst_sel:DWORD dst_unused:UNUSED_PAD src0_sel:WORD_0 src1_sel:DWORD
	v_sub_u16_e32 v117, v115, v116
	v_sub_u16_sdwa v118, v115, v116 dst_sel:BYTE_1 dst_unused:UNUSED_PAD src0_sel:BYTE_1 src1_sel:BYTE_1
	v_sub_u16_sdwa v114, v114, v116 dst_sel:BYTE_1 dst_unused:UNUSED_PAD src0_sel:DWORD src1_sel:BYTE_3
	v_sub_u16_sdwa v115, v115, v116 dst_sel:DWORD dst_unused:UNUSED_PAD src0_sel:WORD_1 src1_sel:WORD_1
	v_or_b32_sdwa v117, v117, v118 dst_sel:DWORD dst_unused:UNUSED_PAD src0_sel:BYTE_0 src1_sel:DWORD
	v_or_b32_sdwa v114, v115, v114 dst_sel:WORD_1 dst_unused:UNUSED_PAD src0_sel:BYTE_0 src1_sel:DWORD
	v_add_u32_e32 v115, 0x1088, v112
	v_or_b32_sdwa v114, v117, v114 dst_sel:DWORD dst_unused:UNUSED_PAD src0_sel:WORD_0 src1_sel:DWORD
	ds_read2_b32 v[115:116], v115 offset1:1
	ds_read2_b32 v[117:118], v121 offset0:2 offset1:3
	v_dot4_i32_i8 v113, v113, v5, 0
	v_dot4_i32_i8 v113, v114, v6, v113
	s_waitcnt lgkmcnt(1)
	v_ashrrev_i32_e32 v115, s27, v115
	s_waitcnt lgkmcnt(0)
	v_ashrrev_i32_e32 v117, s3, v117
	v_lshlrev_b32_e32 v117, 2, v117
	v_and_b32_e32 v119, 0x3030303, v115
	v_bfe_u32 v115, v115, 24, 2
	v_and_b32_e32 v117, 0x4040404, v117
	v_ashrrev_i32_e32 v118, s3, v118
	v_sub_u16_e32 v120, v119, v117
	v_sub_u16_sdwa v122, v119, v117 dst_sel:BYTE_1 dst_unused:UNUSED_PAD src0_sel:BYTE_1 src1_sel:BYTE_1
	v_sub_u16_sdwa v115, v115, v117 dst_sel:BYTE_1 dst_unused:UNUSED_PAD src0_sel:DWORD src1_sel:BYTE_3
	v_sub_u16_sdwa v117, v119, v117 dst_sel:DWORD dst_unused:UNUSED_PAD src0_sel:WORD_1 src1_sel:WORD_1
	v_ashrrev_i32_e32 v116, s27, v116
	v_lshlrev_b32_e32 v118, 2, v118
	v_or_b32_sdwa v120, v120, v122 dst_sel:DWORD dst_unused:UNUSED_PAD src0_sel:BYTE_0 src1_sel:DWORD
	v_or_b32_sdwa v115, v117, v115 dst_sel:WORD_1 dst_unused:UNUSED_PAD src0_sel:BYTE_0 src1_sel:DWORD
	v_and_b32_e32 v117, 0x3030303, v116
	v_bfe_u32 v116, v116, 24, 2
	v_and_b32_e32 v118, 0x4040404, v118
	v_or_b32_sdwa v115, v120, v115 dst_sel:DWORD dst_unused:UNUSED_PAD src0_sel:WORD_0 src1_sel:DWORD
	v_sub_u16_e32 v119, v117, v118
	v_sub_u16_sdwa v120, v117, v118 dst_sel:BYTE_1 dst_unused:UNUSED_PAD src0_sel:BYTE_1 src1_sel:BYTE_1
	v_sub_u16_sdwa v116, v116, v118 dst_sel:BYTE_1 dst_unused:UNUSED_PAD src0_sel:DWORD src1_sel:BYTE_3
	v_sub_u16_sdwa v117, v117, v118 dst_sel:DWORD dst_unused:UNUSED_PAD src0_sel:WORD_1 src1_sel:WORD_1
	v_or_b32_sdwa v119, v119, v120 dst_sel:DWORD dst_unused:UNUSED_PAD src0_sel:BYTE_0 src1_sel:DWORD
	v_or_b32_sdwa v116, v117, v116 dst_sel:WORD_1 dst_unused:UNUSED_PAD src0_sel:BYTE_0 src1_sel:DWORD
	v_add_u32_e32 v117, 0x1090, v112
	v_or_b32_sdwa v116, v119, v116 dst_sel:DWORD dst_unused:UNUSED_PAD src0_sel:WORD_0 src1_sel:DWORD
	ds_read2_b32 v[117:118], v117 offset1:1
	ds_read2_b32 v[119:120], v121 offset0:4 offset1:5
	v_dot4_i32_i8 v113, v115, v7, v113
	v_dot4_i32_i8 v113, v116, v8, v113
	s_waitcnt lgkmcnt(1)
	v_ashrrev_i32_e32 v117, s27, v117
	s_waitcnt lgkmcnt(0)
	v_ashrrev_i32_e32 v119, s3, v119
	v_lshlrev_b32_e32 v119, 2, v119
	v_and_b32_e32 v122, 0x3030303, v117
	v_bfe_u32 v117, v117, 24, 2
	v_and_b32_e32 v119, 0x4040404, v119
	v_ashrrev_i32_e32 v120, s3, v120
	;; [unrolled: 33-line block ×3, first 2 shown]
	v_sub_u16_e32 v124, v123, v121
	v_sub_u16_sdwa v125, v123, v121 dst_sel:BYTE_1 dst_unused:UNUSED_PAD src0_sel:BYTE_1 src1_sel:BYTE_1
	v_sub_u16_sdwa v119, v119, v121 dst_sel:BYTE_1 dst_unused:UNUSED_PAD src0_sel:DWORD src1_sel:BYTE_3
	v_sub_u16_sdwa v121, v123, v121 dst_sel:DWORD dst_unused:UNUSED_PAD src0_sel:WORD_1 src1_sel:WORD_1
	v_ashrrev_i32_e32 v120, s27, v120
	v_lshlrev_b32_e32 v122, 2, v122
	v_or_b32_sdwa v124, v124, v125 dst_sel:DWORD dst_unused:UNUSED_PAD src0_sel:BYTE_0 src1_sel:DWORD
	v_or_b32_sdwa v119, v121, v119 dst_sel:WORD_1 dst_unused:UNUSED_PAD src0_sel:BYTE_0 src1_sel:DWORD
	v_and_b32_e32 v121, 0x3030303, v120
	v_bfe_u32 v120, v120, 24, 2
	v_and_b32_e32 v122, 0x4040404, v122
	v_or_b32_sdwa v119, v124, v119 dst_sel:DWORD dst_unused:UNUSED_PAD src0_sel:WORD_0 src1_sel:DWORD
	v_sub_u16_e32 v123, v121, v122
	v_sub_u16_sdwa v124, v121, v122 dst_sel:BYTE_1 dst_unused:UNUSED_PAD src0_sel:BYTE_1 src1_sel:BYTE_1
	v_sub_u16_sdwa v120, v120, v122 dst_sel:BYTE_1 dst_unused:UNUSED_PAD src0_sel:DWORD src1_sel:BYTE_3
	v_sub_u16_sdwa v121, v121, v122 dst_sel:DWORD dst_unused:UNUSED_PAD src0_sel:WORD_1 src1_sel:WORD_1
	v_or_b32_sdwa v120, v121, v120 dst_sel:WORD_1 dst_unused:UNUSED_PAD src0_sel:BYTE_0 src1_sel:DWORD
	v_add_u32_e32 v121, s26, v76
	v_add3_u32 v122, s17, v96, v97
	ds_read_b32 v122, v122
	ds_read_u16 v115, v121 offset:26354
	v_or_b32_sdwa v123, v123, v124 dst_sel:DWORD dst_unused:UNUSED_PAD src0_sel:BYTE_0 src1_sel:DWORD
	v_or_b32_sdwa v120, v123, v120 dst_sel:DWORD dst_unused:UNUSED_PAD src0_sel:WORD_0 src1_sel:DWORD
	v_dot4_i32_i8 v114, v119, v3, v114
	v_dot4_i32_i8 v114, v120, v4, v114
	s_waitcnt lgkmcnt(0)
	v_lshrrev_b16_e32 v116, 8, v115
	v_bfe_i32 v115, v115, 0, 8
	v_mul_lo_u32 v113, v113, v115
	v_bfe_i32 v116, v116, 0, 8
	v_add3_u32 v121, s28, v98, v99
	v_mad_u64_u32 v[113:114], s[30:31], v114, v116, v[113:114]
	v_mul_f32_e32 v114, v111, v122
	ds_read2_b32 v[115:116], v121 offset1:1
	v_cvt_f32_i32_e32 v113, v113
	v_fmac_f32_e32 v68, v114, v113
	v_add_u32_e32 v113, 0x2100, v112
	ds_read2_b32 v[113:114], v113 offset1:1
	s_waitcnt lgkmcnt(1)
	v_ashrrev_i32_e32 v115, s3, v115
	v_lshlrev_b32_e32 v115, 2, v115
	v_and_b32_e32 v115, 0x4040404, v115
	v_ashrrev_i32_e32 v116, s3, v116
	s_waitcnt lgkmcnt(0)
	v_ashrrev_i32_e32 v113, s27, v113
	v_and_b32_e32 v117, 0x3030303, v113
	v_bfe_u32 v113, v113, 24, 2
	v_sub_u16_e32 v118, v117, v115
	v_sub_u16_sdwa v119, v117, v115 dst_sel:BYTE_1 dst_unused:UNUSED_PAD src0_sel:BYTE_1 src1_sel:BYTE_1
	v_sub_u16_sdwa v113, v113, v115 dst_sel:BYTE_1 dst_unused:UNUSED_PAD src0_sel:DWORD src1_sel:BYTE_3
	v_sub_u16_sdwa v115, v117, v115 dst_sel:DWORD dst_unused:UNUSED_PAD src0_sel:WORD_1 src1_sel:WORD_1
	v_ashrrev_i32_e32 v114, s27, v114
	v_lshlrev_b32_e32 v116, 2, v116
	v_or_b32_sdwa v118, v118, v119 dst_sel:DWORD dst_unused:UNUSED_PAD src0_sel:BYTE_0 src1_sel:DWORD
	v_or_b32_sdwa v113, v115, v113 dst_sel:WORD_1 dst_unused:UNUSED_PAD src0_sel:BYTE_0 src1_sel:DWORD
	v_and_b32_e32 v115, 0x3030303, v114
	v_bfe_u32 v114, v114, 24, 2
	v_and_b32_e32 v116, 0x4040404, v116
	v_or_b32_sdwa v113, v118, v113 dst_sel:DWORD dst_unused:UNUSED_PAD src0_sel:WORD_0 src1_sel:DWORD
	v_sub_u16_e32 v117, v115, v116
	v_sub_u16_sdwa v118, v115, v116 dst_sel:BYTE_1 dst_unused:UNUSED_PAD src0_sel:BYTE_1 src1_sel:BYTE_1
	v_sub_u16_sdwa v114, v114, v116 dst_sel:BYTE_1 dst_unused:UNUSED_PAD src0_sel:DWORD src1_sel:BYTE_3
	v_sub_u16_sdwa v115, v115, v116 dst_sel:DWORD dst_unused:UNUSED_PAD src0_sel:WORD_1 src1_sel:WORD_1
	v_or_b32_sdwa v117, v117, v118 dst_sel:DWORD dst_unused:UNUSED_PAD src0_sel:BYTE_0 src1_sel:DWORD
	v_or_b32_sdwa v114, v115, v114 dst_sel:WORD_1 dst_unused:UNUSED_PAD src0_sel:BYTE_0 src1_sel:DWORD
	v_add_u32_e32 v115, 0x2108, v112
	v_or_b32_sdwa v114, v117, v114 dst_sel:DWORD dst_unused:UNUSED_PAD src0_sel:WORD_0 src1_sel:DWORD
	ds_read2_b32 v[115:116], v115 offset1:1
	ds_read2_b32 v[117:118], v121 offset0:2 offset1:3
	v_dot4_i32_i8 v113, v113, v5, 0
	v_dot4_i32_i8 v113, v114, v6, v113
	s_waitcnt lgkmcnt(1)
	v_ashrrev_i32_e32 v115, s27, v115
	s_waitcnt lgkmcnt(0)
	v_ashrrev_i32_e32 v117, s3, v117
	v_lshlrev_b32_e32 v117, 2, v117
	v_and_b32_e32 v119, 0x3030303, v115
	v_bfe_u32 v115, v115, 24, 2
	v_and_b32_e32 v117, 0x4040404, v117
	v_ashrrev_i32_e32 v118, s3, v118
	v_sub_u16_e32 v120, v119, v117
	v_sub_u16_sdwa v122, v119, v117 dst_sel:BYTE_1 dst_unused:UNUSED_PAD src0_sel:BYTE_1 src1_sel:BYTE_1
	v_sub_u16_sdwa v115, v115, v117 dst_sel:BYTE_1 dst_unused:UNUSED_PAD src0_sel:DWORD src1_sel:BYTE_3
	v_sub_u16_sdwa v117, v119, v117 dst_sel:DWORD dst_unused:UNUSED_PAD src0_sel:WORD_1 src1_sel:WORD_1
	v_ashrrev_i32_e32 v116, s27, v116
	v_lshlrev_b32_e32 v118, 2, v118
	v_or_b32_sdwa v120, v120, v122 dst_sel:DWORD dst_unused:UNUSED_PAD src0_sel:BYTE_0 src1_sel:DWORD
	v_or_b32_sdwa v115, v117, v115 dst_sel:WORD_1 dst_unused:UNUSED_PAD src0_sel:BYTE_0 src1_sel:DWORD
	v_and_b32_e32 v117, 0x3030303, v116
	v_bfe_u32 v116, v116, 24, 2
	v_and_b32_e32 v118, 0x4040404, v118
	v_or_b32_sdwa v115, v120, v115 dst_sel:DWORD dst_unused:UNUSED_PAD src0_sel:WORD_0 src1_sel:DWORD
	v_sub_u16_e32 v119, v117, v118
	v_sub_u16_sdwa v120, v117, v118 dst_sel:BYTE_1 dst_unused:UNUSED_PAD src0_sel:BYTE_1 src1_sel:BYTE_1
	v_sub_u16_sdwa v116, v116, v118 dst_sel:BYTE_1 dst_unused:UNUSED_PAD src0_sel:DWORD src1_sel:BYTE_3
	v_sub_u16_sdwa v117, v117, v118 dst_sel:DWORD dst_unused:UNUSED_PAD src0_sel:WORD_1 src1_sel:WORD_1
	v_or_b32_sdwa v119, v119, v120 dst_sel:DWORD dst_unused:UNUSED_PAD src0_sel:BYTE_0 src1_sel:DWORD
	v_or_b32_sdwa v116, v117, v116 dst_sel:WORD_1 dst_unused:UNUSED_PAD src0_sel:BYTE_0 src1_sel:DWORD
	v_add_u32_e32 v117, 0x2110, v112
	v_or_b32_sdwa v116, v119, v116 dst_sel:DWORD dst_unused:UNUSED_PAD src0_sel:WORD_0 src1_sel:DWORD
	ds_read2_b32 v[117:118], v117 offset1:1
	ds_read2_b32 v[119:120], v121 offset0:4 offset1:5
	v_dot4_i32_i8 v113, v115, v7, v113
	v_dot4_i32_i8 v113, v116, v8, v113
	s_waitcnt lgkmcnt(1)
	v_ashrrev_i32_e32 v117, s27, v117
	s_waitcnt lgkmcnt(0)
	v_ashrrev_i32_e32 v119, s3, v119
	v_lshlrev_b32_e32 v119, 2, v119
	v_and_b32_e32 v122, 0x3030303, v117
	v_bfe_u32 v117, v117, 24, 2
	v_and_b32_e32 v119, 0x4040404, v119
	v_ashrrev_i32_e32 v120, s3, v120
	;; [unrolled: 33-line block ×3, first 2 shown]
	v_sub_u16_e32 v124, v123, v121
	v_sub_u16_sdwa v125, v123, v121 dst_sel:BYTE_1 dst_unused:UNUSED_PAD src0_sel:BYTE_1 src1_sel:BYTE_1
	v_sub_u16_sdwa v119, v119, v121 dst_sel:BYTE_1 dst_unused:UNUSED_PAD src0_sel:DWORD src1_sel:BYTE_3
	v_sub_u16_sdwa v121, v123, v121 dst_sel:DWORD dst_unused:UNUSED_PAD src0_sel:WORD_1 src1_sel:WORD_1
	v_ashrrev_i32_e32 v120, s27, v120
	v_lshlrev_b32_e32 v122, 2, v122
	v_or_b32_sdwa v124, v124, v125 dst_sel:DWORD dst_unused:UNUSED_PAD src0_sel:BYTE_0 src1_sel:DWORD
	v_or_b32_sdwa v119, v121, v119 dst_sel:WORD_1 dst_unused:UNUSED_PAD src0_sel:BYTE_0 src1_sel:DWORD
	v_and_b32_e32 v121, 0x3030303, v120
	v_bfe_u32 v120, v120, 24, 2
	v_and_b32_e32 v122, 0x4040404, v122
	v_or_b32_sdwa v119, v124, v119 dst_sel:DWORD dst_unused:UNUSED_PAD src0_sel:WORD_0 src1_sel:DWORD
	v_sub_u16_e32 v123, v121, v122
	v_sub_u16_sdwa v124, v121, v122 dst_sel:BYTE_1 dst_unused:UNUSED_PAD src0_sel:BYTE_1 src1_sel:BYTE_1
	v_sub_u16_sdwa v120, v120, v122 dst_sel:BYTE_1 dst_unused:UNUSED_PAD src0_sel:DWORD src1_sel:BYTE_3
	v_sub_u16_sdwa v121, v121, v122 dst_sel:DWORD dst_unused:UNUSED_PAD src0_sel:WORD_1 src1_sel:WORD_1
	v_or_b32_sdwa v120, v121, v120 dst_sel:WORD_1 dst_unused:UNUSED_PAD src0_sel:BYTE_0 src1_sel:DWORD
	v_add_u32_e32 v121, s26, v74
	v_add3_u32 v122, s17, v100, v101
	ds_read_b32 v122, v122
	ds_read_u16 v115, v121 offset:27378
	v_or_b32_sdwa v123, v123, v124 dst_sel:DWORD dst_unused:UNUSED_PAD src0_sel:BYTE_0 src1_sel:DWORD
	v_or_b32_sdwa v120, v123, v120 dst_sel:DWORD dst_unused:UNUSED_PAD src0_sel:WORD_0 src1_sel:DWORD
	v_dot4_i32_i8 v114, v119, v3, v114
	v_dot4_i32_i8 v114, v120, v4, v114
	s_waitcnt lgkmcnt(0)
	v_lshrrev_b16_e32 v116, 8, v115
	v_bfe_i32 v115, v115, 0, 8
	v_mul_lo_u32 v113, v113, v115
	v_bfe_i32 v116, v116, 0, 8
	v_add3_u32 v121, s28, v102, v103
	v_mad_u64_u32 v[113:114], s[30:31], v114, v116, v[113:114]
	v_mul_f32_e32 v114, v111, v122
	ds_read2_b32 v[115:116], v121 offset1:1
	v_cvt_f32_i32_e32 v113, v113
	v_fmac_f32_e32 v64, v114, v113
	v_add_u32_e32 v113, 0x3180, v112
	ds_read2_b32 v[113:114], v113 offset1:1
	s_waitcnt lgkmcnt(1)
	v_ashrrev_i32_e32 v115, s3, v115
	v_lshlrev_b32_e32 v115, 2, v115
	v_and_b32_e32 v115, 0x4040404, v115
	v_ashrrev_i32_e32 v116, s3, v116
	s_waitcnt lgkmcnt(0)
	v_ashrrev_i32_e32 v113, s27, v113
	v_and_b32_e32 v117, 0x3030303, v113
	v_bfe_u32 v113, v113, 24, 2
	v_sub_u16_e32 v118, v117, v115
	v_sub_u16_sdwa v119, v117, v115 dst_sel:BYTE_1 dst_unused:UNUSED_PAD src0_sel:BYTE_1 src1_sel:BYTE_1
	v_sub_u16_sdwa v113, v113, v115 dst_sel:BYTE_1 dst_unused:UNUSED_PAD src0_sel:DWORD src1_sel:BYTE_3
	v_sub_u16_sdwa v115, v117, v115 dst_sel:DWORD dst_unused:UNUSED_PAD src0_sel:WORD_1 src1_sel:WORD_1
	v_ashrrev_i32_e32 v114, s27, v114
	v_lshlrev_b32_e32 v116, 2, v116
	v_or_b32_sdwa v118, v118, v119 dst_sel:DWORD dst_unused:UNUSED_PAD src0_sel:BYTE_0 src1_sel:DWORD
	v_or_b32_sdwa v113, v115, v113 dst_sel:WORD_1 dst_unused:UNUSED_PAD src0_sel:BYTE_0 src1_sel:DWORD
	v_and_b32_e32 v115, 0x3030303, v114
	v_bfe_u32 v114, v114, 24, 2
	v_and_b32_e32 v116, 0x4040404, v116
	v_or_b32_sdwa v113, v118, v113 dst_sel:DWORD dst_unused:UNUSED_PAD src0_sel:WORD_0 src1_sel:DWORD
	v_sub_u16_e32 v117, v115, v116
	v_sub_u16_sdwa v118, v115, v116 dst_sel:BYTE_1 dst_unused:UNUSED_PAD src0_sel:BYTE_1 src1_sel:BYTE_1
	v_sub_u16_sdwa v114, v114, v116 dst_sel:BYTE_1 dst_unused:UNUSED_PAD src0_sel:DWORD src1_sel:BYTE_3
	v_sub_u16_sdwa v115, v115, v116 dst_sel:DWORD dst_unused:UNUSED_PAD src0_sel:WORD_1 src1_sel:WORD_1
	v_or_b32_sdwa v117, v117, v118 dst_sel:DWORD dst_unused:UNUSED_PAD src0_sel:BYTE_0 src1_sel:DWORD
	v_or_b32_sdwa v114, v115, v114 dst_sel:WORD_1 dst_unused:UNUSED_PAD src0_sel:BYTE_0 src1_sel:DWORD
	v_add_u32_e32 v115, 0x3188, v112
	v_or_b32_sdwa v114, v117, v114 dst_sel:DWORD dst_unused:UNUSED_PAD src0_sel:WORD_0 src1_sel:DWORD
	ds_read2_b32 v[115:116], v115 offset1:1
	ds_read2_b32 v[117:118], v121 offset0:2 offset1:3
	v_dot4_i32_i8 v5, v113, v5, 0
	v_dot4_i32_i8 v5, v114, v6, v5
	s_waitcnt lgkmcnt(1)
	v_ashrrev_i32_e32 v115, s27, v115
	s_waitcnt lgkmcnt(0)
	v_ashrrev_i32_e32 v117, s3, v117
	v_lshlrev_b32_e32 v117, 2, v117
	v_and_b32_e32 v119, 0x3030303, v115
	v_bfe_u32 v115, v115, 24, 2
	v_and_b32_e32 v117, 0x4040404, v117
	v_ashrrev_i32_e32 v118, s3, v118
	v_sub_u16_e32 v120, v119, v117
	v_sub_u16_sdwa v122, v119, v117 dst_sel:BYTE_1 dst_unused:UNUSED_PAD src0_sel:BYTE_1 src1_sel:BYTE_1
	v_sub_u16_sdwa v115, v115, v117 dst_sel:BYTE_1 dst_unused:UNUSED_PAD src0_sel:DWORD src1_sel:BYTE_3
	v_sub_u16_sdwa v117, v119, v117 dst_sel:DWORD dst_unused:UNUSED_PAD src0_sel:WORD_1 src1_sel:WORD_1
	v_ashrrev_i32_e32 v116, s27, v116
	v_lshlrev_b32_e32 v118, 2, v118
	v_or_b32_sdwa v120, v120, v122 dst_sel:DWORD dst_unused:UNUSED_PAD src0_sel:BYTE_0 src1_sel:DWORD
	v_or_b32_sdwa v115, v117, v115 dst_sel:WORD_1 dst_unused:UNUSED_PAD src0_sel:BYTE_0 src1_sel:DWORD
	v_and_b32_e32 v117, 0x3030303, v116
	v_bfe_u32 v116, v116, 24, 2
	v_and_b32_e32 v118, 0x4040404, v118
	v_or_b32_sdwa v115, v120, v115 dst_sel:DWORD dst_unused:UNUSED_PAD src0_sel:WORD_0 src1_sel:DWORD
	v_sub_u16_e32 v119, v117, v118
	v_sub_u16_sdwa v120, v117, v118 dst_sel:BYTE_1 dst_unused:UNUSED_PAD src0_sel:BYTE_1 src1_sel:BYTE_1
	v_sub_u16_sdwa v116, v116, v118 dst_sel:BYTE_1 dst_unused:UNUSED_PAD src0_sel:DWORD src1_sel:BYTE_3
	v_sub_u16_sdwa v117, v117, v118 dst_sel:DWORD dst_unused:UNUSED_PAD src0_sel:WORD_1 src1_sel:WORD_1
	v_or_b32_sdwa v119, v119, v120 dst_sel:DWORD dst_unused:UNUSED_PAD src0_sel:BYTE_0 src1_sel:DWORD
	v_or_b32_sdwa v116, v117, v116 dst_sel:WORD_1 dst_unused:UNUSED_PAD src0_sel:BYTE_0 src1_sel:DWORD
	v_add_u32_e32 v117, 0x3190, v112
	v_or_b32_sdwa v116, v119, v116 dst_sel:DWORD dst_unused:UNUSED_PAD src0_sel:WORD_0 src1_sel:DWORD
	ds_read2_b32 v[117:118], v117 offset1:1
	ds_read2_b32 v[119:120], v121 offset0:4 offset1:5
	v_add_u32_e32 v112, 0x3198, v112
	v_dot4_i32_i8 v5, v115, v7, v5
	v_dot4_i32_i8 v5, v116, v8, v5
	s_waitcnt lgkmcnt(1)
	v_ashrrev_i32_e32 v117, s27, v117
	s_waitcnt lgkmcnt(0)
	v_ashrrev_i32_e32 v119, s3, v119
	v_lshlrev_b32_e32 v119, 2, v119
	v_and_b32_e32 v122, 0x3030303, v117
	v_bfe_u32 v117, v117, 24, 2
	v_and_b32_e32 v119, 0x4040404, v119
	v_ashrrev_i32_e32 v120, s3, v120
	v_sub_u16_e32 v123, v122, v119
	v_sub_u16_sdwa v124, v122, v119 dst_sel:BYTE_1 dst_unused:UNUSED_PAD src0_sel:BYTE_1 src1_sel:BYTE_1
	v_sub_u16_sdwa v117, v117, v119 dst_sel:BYTE_1 dst_unused:UNUSED_PAD src0_sel:DWORD src1_sel:BYTE_3
	v_sub_u16_sdwa v119, v122, v119 dst_sel:DWORD dst_unused:UNUSED_PAD src0_sel:WORD_1 src1_sel:WORD_1
	v_ashrrev_i32_e32 v118, s27, v118
	v_lshlrev_b32_e32 v120, 2, v120
	v_or_b32_sdwa v123, v123, v124 dst_sel:DWORD dst_unused:UNUSED_PAD src0_sel:BYTE_0 src1_sel:DWORD
	v_or_b32_sdwa v117, v119, v117 dst_sel:WORD_1 dst_unused:UNUSED_PAD src0_sel:BYTE_0 src1_sel:DWORD
	v_and_b32_e32 v119, 0x3030303, v118
	v_bfe_u32 v118, v118, 24, 2
	v_and_b32_e32 v120, 0x4040404, v120
	v_or_b32_sdwa v117, v123, v117 dst_sel:DWORD dst_unused:UNUSED_PAD src0_sel:WORD_0 src1_sel:DWORD
	v_sub_u16_e32 v122, v119, v120
	v_sub_u16_sdwa v123, v119, v120 dst_sel:BYTE_1 dst_unused:UNUSED_PAD src0_sel:BYTE_1 src1_sel:BYTE_1
	v_sub_u16_sdwa v118, v118, v120 dst_sel:BYTE_1 dst_unused:UNUSED_PAD src0_sel:DWORD src1_sel:BYTE_3
	v_sub_u16_sdwa v119, v119, v120 dst_sel:DWORD dst_unused:UNUSED_PAD src0_sel:WORD_1 src1_sel:WORD_1
	v_or_b32_sdwa v122, v122, v123 dst_sel:DWORD dst_unused:UNUSED_PAD src0_sel:BYTE_0 src1_sel:DWORD
	v_or_b32_sdwa v118, v119, v118 dst_sel:WORD_1 dst_unused:UNUSED_PAD src0_sel:BYTE_0 src1_sel:DWORD
	v_or_b32_sdwa v118, v122, v118 dst_sel:DWORD dst_unused:UNUSED_PAD src0_sel:WORD_0 src1_sel:DWORD
	ds_read2_b32 v[119:120], v112 offset1:1
	ds_read2_b32 v[121:122], v121 offset0:6 offset1:7
	v_dot4_i32_i8 v1, v117, v1, 0
	v_dot4_i32_i8 v1, v118, v2, v1
	s_waitcnt lgkmcnt(1)
	v_ashrrev_i32_e32 v112, s27, v119
	s_waitcnt lgkmcnt(0)
	v_ashrrev_i32_e32 v121, s3, v121
	v_lshlrev_b32_e32 v121, 2, v121
	v_and_b32_e32 v119, 0x3030303, v112
	v_bfe_u32 v112, v112, 24, 2
	v_and_b32_e32 v121, 0x4040404, v121
	v_sub_u16_e32 v123, v119, v121
	v_sub_u16_sdwa v124, v119, v121 dst_sel:BYTE_1 dst_unused:UNUSED_PAD src0_sel:BYTE_1 src1_sel:BYTE_1
	v_sub_u16_sdwa v112, v112, v121 dst_sel:BYTE_1 dst_unused:UNUSED_PAD src0_sel:DWORD src1_sel:BYTE_3
	v_sub_u16_sdwa v119, v119, v121 dst_sel:DWORD dst_unused:UNUSED_PAD src0_sel:WORD_1 src1_sel:WORD_1
	v_ashrrev_i32_e32 v121, s3, v122
	v_or_b32_sdwa v112, v119, v112 dst_sel:WORD_1 dst_unused:UNUSED_PAD src0_sel:BYTE_0 src1_sel:DWORD
	v_ashrrev_i32_e32 v119, s27, v120
	v_lshlrev_b32_e32 v121, 2, v121
	v_or_b32_sdwa v123, v123, v124 dst_sel:DWORD dst_unused:UNUSED_PAD src0_sel:BYTE_0 src1_sel:DWORD
	v_and_b32_e32 v120, 0x3030303, v119
	v_bfe_u32 v119, v119, 24, 2
	v_and_b32_e32 v121, 0x4040404, v121
	v_or_b32_sdwa v112, v123, v112 dst_sel:DWORD dst_unused:UNUSED_PAD src0_sel:WORD_0 src1_sel:DWORD
	v_sub_u16_e32 v122, v120, v121
	v_sub_u16_sdwa v123, v120, v121 dst_sel:BYTE_1 dst_unused:UNUSED_PAD src0_sel:BYTE_1 src1_sel:BYTE_1
	v_sub_u16_sdwa v119, v119, v121 dst_sel:BYTE_1 dst_unused:UNUSED_PAD src0_sel:DWORD src1_sel:BYTE_3
	v_sub_u16_sdwa v120, v120, v121 dst_sel:DWORD dst_unused:UNUSED_PAD src0_sel:WORD_1 src1_sel:WORD_1
	v_or_b32_sdwa v122, v122, v123 dst_sel:DWORD dst_unused:UNUSED_PAD src0_sel:BYTE_0 src1_sel:DWORD
	v_or_b32_sdwa v119, v120, v119 dst_sel:WORD_1 dst_unused:UNUSED_PAD src0_sel:BYTE_0 src1_sel:DWORD
	v_or_b32_sdwa v119, v122, v119 dst_sel:DWORD dst_unused:UNUSED_PAD src0_sel:WORD_0 src1_sel:DWORD
	v_add_u32_e32 v121, s26, v72
	v_add3_u32 v120, s17, v104, v105
	v_dot4_i32_i8 v1, v112, v3, v1
	ds_read_b32 v120, v120
	v_dot4_i32_i8 v2, v119, v4, v1
	ds_read_u16 v1, v121 offset:28402
	s_add_i32 s3, s3, 1
	s_cmp_lt_u32 s16, 30
	s_mov_b32 s17, s16
	s_waitcnt lgkmcnt(0)
	v_lshrrev_b16_e32 v3, 8, v1
	v_bfe_i32 v1, v1, 0, 8
	v_mul_lo_u32 v1, v5, v1
	v_bfe_i32 v3, v3, 0, 8
	v_mad_u64_u32 v[1:2], s[26:27], v2, v3, v[1:2]
	v_mul_f32_e32 v2, v111, v120
	v_cvt_f32_i32_e32 v1, v1
	v_fmac_f32_e32 v9, v2, v1
	s_cbranch_scc1 .LBB229_35
; %bb.36:                               ;   in Loop: Header=BB229_5 Depth=1
	s_barrier
	s_branch .LBB229_4
.LBB229_37:
	s_mul_i32 s0, s11, s8
	s_waitcnt vmcnt(0)
	v_cmp_gt_i32_e32 vcc, s0, v12
	s_and_saveexec_b64 s[0:1], vcc
	s_cbranch_execz .LBB229_46
; %bb.38:
	v_mul_lo_u32 v1, v12, s10
	v_add_u32_e32 v0, s18, v0
	v_cmp_gt_u32_e32 vcc, s10, v0
	s_and_saveexec_b64 s[0:1], vcc
	s_cbranch_execz .LBB229_40
; %bb.39:
	v_bfe_u32 v2, v13, 16, 1
	s_movk_i32 s2, 0x7fff
	v_add3_u32 v2, v13, v2, s2
	v_cmp_o_f32_e32 vcc, v13, v13
	v_mov_b32_e32 v3, 0x7fc0
	v_cndmask_b32_sdwa v4, v3, v2, vcc dst_sel:DWORD dst_unused:UNUSED_PAD src0_sel:DWORD src1_sel:WORD_1
	v_add_u32_e32 v2, v1, v0
	v_mov_b32_e32 v3, 0
	v_lshlrev_b64 v[2:3], 1, v[2:3]
	v_mov_b32_e32 v5, s13
	v_add_co_u32_e32 v2, vcc, s12, v2
	v_addc_co_u32_e32 v3, vcc, v5, v3, vcc
	global_store_short v[2:3], v4, off
.LBB229_40:
	s_or_b64 exec, exec, s[0:1]
	v_add_u32_e32 v2, 32, v0
	v_cmp_gt_u32_e32 vcc, s10, v2
	s_and_saveexec_b64 s[0:1], vcc
	s_cbranch_execz .LBB229_42
; %bb.41:
	v_bfe_u32 v3, v68, 16, 1
	s_movk_i32 s2, 0x7fff
	v_add3_u32 v3, v68, v3, s2
	v_cmp_o_f32_e32 vcc, v68, v68
	v_mov_b32_e32 v4, 0x7fc0
	v_cndmask_b32_sdwa v4, v4, v3, vcc dst_sel:DWORD dst_unused:UNUSED_PAD src0_sel:DWORD src1_sel:WORD_1
	v_add_u32_e32 v2, v1, v2
	v_mov_b32_e32 v3, 0
	v_lshlrev_b64 v[2:3], 1, v[2:3]
	v_mov_b32_e32 v5, s13
	v_add_co_u32_e32 v2, vcc, s12, v2
	v_addc_co_u32_e32 v3, vcc, v5, v3, vcc
	global_store_short v[2:3], v4, off
.LBB229_42:
	s_or_b64 exec, exec, s[0:1]
	;; [unrolled: 20-line block ×3, first 2 shown]
	v_add_u32_e32 v0, 0x60, v0
	v_cmp_gt_u32_e32 vcc, s10, v0
	s_and_b64 exec, exec, vcc
	s_cbranch_execz .LBB229_46
; %bb.45:
	v_add_u32_e32 v0, v1, v0
	v_mov_b32_e32 v1, 0
	v_bfe_u32 v2, v9, 16, 1
	s_movk_i32 s0, 0x7fff
	v_lshlrev_b64 v[0:1], 1, v[0:1]
	v_add3_u32 v2, v9, v2, s0
	v_cmp_o_f32_e32 vcc, v9, v9
	v_mov_b32_e32 v3, 0x7fc0
	v_cndmask_b32_sdwa v2, v3, v2, vcc dst_sel:DWORD dst_unused:UNUSED_PAD src0_sel:DWORD src1_sel:WORD_1
	v_mov_b32_e32 v3, s13
	v_add_co_u32_e32 v0, vcc, s12, v0
	v_addc_co_u32_e32 v1, vcc, v3, v1, vcc
	global_store_short v[0:1], v2, off
.LBB229_46:
	s_endpgm
	.section	.rodata,"a",@progbits
	.p2align	6, 0x0
	.amdhsa_kernel _ZL8moe_q3_KIN3c108BFloat16ELb0EEvPKvS3_PT_PKiS7_S7_iiiiiii
		.amdhsa_group_segment_fixed_size 31776
		.amdhsa_private_segment_fixed_size 0
		.amdhsa_kernarg_size 76
		.amdhsa_user_sgpr_count 6
		.amdhsa_user_sgpr_private_segment_buffer 1
		.amdhsa_user_sgpr_dispatch_ptr 0
		.amdhsa_user_sgpr_queue_ptr 0
		.amdhsa_user_sgpr_kernarg_segment_ptr 1
		.amdhsa_user_sgpr_dispatch_id 0
		.amdhsa_user_sgpr_flat_scratch_init 0
		.amdhsa_user_sgpr_private_segment_size 0
		.amdhsa_uses_dynamic_stack 0
		.amdhsa_system_sgpr_private_segment_wavefront_offset 0
		.amdhsa_system_sgpr_workgroup_id_x 1
		.amdhsa_system_sgpr_workgroup_id_y 1
		.amdhsa_system_sgpr_workgroup_id_z 0
		.amdhsa_system_sgpr_workgroup_info 0
		.amdhsa_system_vgpr_workitem_id 1
		.amdhsa_next_free_vgpr 127
		.amdhsa_next_free_sgpr 98
		.amdhsa_reserve_vcc 1
		.amdhsa_reserve_flat_scratch 0
		.amdhsa_float_round_mode_32 0
		.amdhsa_float_round_mode_16_64 0
		.amdhsa_float_denorm_mode_32 3
		.amdhsa_float_denorm_mode_16_64 3
		.amdhsa_dx10_clamp 1
		.amdhsa_ieee_mode 1
		.amdhsa_fp16_overflow 0
		.amdhsa_exception_fp_ieee_invalid_op 0
		.amdhsa_exception_fp_denorm_src 0
		.amdhsa_exception_fp_ieee_div_zero 0
		.amdhsa_exception_fp_ieee_overflow 0
		.amdhsa_exception_fp_ieee_underflow 0
		.amdhsa_exception_fp_ieee_inexact 0
		.amdhsa_exception_int_div_zero 0
	.end_amdhsa_kernel
	.section	.text._ZL8moe_q3_KIN3c108BFloat16ELb0EEvPKvS3_PT_PKiS7_S7_iiiiiii,"axG",@progbits,_ZL8moe_q3_KIN3c108BFloat16ELb0EEvPKvS3_PT_PKiS7_S7_iiiiiii,comdat
.Lfunc_end229:
	.size	_ZL8moe_q3_KIN3c108BFloat16ELb0EEvPKvS3_PT_PKiS7_S7_iiiiiii, .Lfunc_end229-_ZL8moe_q3_KIN3c108BFloat16ELb0EEvPKvS3_PT_PKiS7_S7_iiiiiii
                                        ; -- End function
	.set _ZL8moe_q3_KIN3c108BFloat16ELb0EEvPKvS3_PT_PKiS7_S7_iiiiiii.num_vgpr, 127
	.set _ZL8moe_q3_KIN3c108BFloat16ELb0EEvPKvS3_PT_PKiS7_S7_iiiiiii.num_agpr, 0
	.set _ZL8moe_q3_KIN3c108BFloat16ELb0EEvPKvS3_PT_PKiS7_S7_iiiiiii.numbered_sgpr, 36
	.set _ZL8moe_q3_KIN3c108BFloat16ELb0EEvPKvS3_PT_PKiS7_S7_iiiiiii.num_named_barrier, 0
	.set _ZL8moe_q3_KIN3c108BFloat16ELb0EEvPKvS3_PT_PKiS7_S7_iiiiiii.private_seg_size, 0
	.set _ZL8moe_q3_KIN3c108BFloat16ELb0EEvPKvS3_PT_PKiS7_S7_iiiiiii.uses_vcc, 1
	.set _ZL8moe_q3_KIN3c108BFloat16ELb0EEvPKvS3_PT_PKiS7_S7_iiiiiii.uses_flat_scratch, 0
	.set _ZL8moe_q3_KIN3c108BFloat16ELb0EEvPKvS3_PT_PKiS7_S7_iiiiiii.has_dyn_sized_stack, 0
	.set _ZL8moe_q3_KIN3c108BFloat16ELb0EEvPKvS3_PT_PKiS7_S7_iiiiiii.has_recursion, 0
	.set _ZL8moe_q3_KIN3c108BFloat16ELb0EEvPKvS3_PT_PKiS7_S7_iiiiiii.has_indirect_call, 0
	.section	.AMDGPU.csdata,"",@progbits
; Kernel info:
; codeLenInByte = 20608
; TotalNumSgprs: 40
; NumVgprs: 127
; ScratchSize: 0
; MemoryBound: 0
; FloatMode: 240
; IeeeMode: 1
; LDSByteSize: 31776 bytes/workgroup (compile time only)
; SGPRBlocks: 12
; VGPRBlocks: 31
; NumSGPRsForWavesPerEU: 102
; NumVGPRsForWavesPerEU: 127
; Occupancy: 2
; WaveLimiterHint : 1
; COMPUTE_PGM_RSRC2:SCRATCH_EN: 0
; COMPUTE_PGM_RSRC2:USER_SGPR: 6
; COMPUTE_PGM_RSRC2:TRAP_HANDLER: 0
; COMPUTE_PGM_RSRC2:TGID_X_EN: 1
; COMPUTE_PGM_RSRC2:TGID_Y_EN: 1
; COMPUTE_PGM_RSRC2:TGID_Z_EN: 0
; COMPUTE_PGM_RSRC2:TIDIG_COMP_CNT: 1
	.section	.text._ZL8moe_q3_KIN3c108BFloat16ELb1EEvPKvS3_PT_PKiS7_S7_iiiiiii,"axG",@progbits,_ZL8moe_q3_KIN3c108BFloat16ELb1EEvPKvS3_PT_PKiS7_S7_iiiiiii,comdat
	.globl	_ZL8moe_q3_KIN3c108BFloat16ELb1EEvPKvS3_PT_PKiS7_S7_iiiiiii ; -- Begin function _ZL8moe_q3_KIN3c108BFloat16ELb1EEvPKvS3_PT_PKiS7_S7_iiiiiii
	.p2align	8
	.type	_ZL8moe_q3_KIN3c108BFloat16ELb1EEvPKvS3_PT_PKiS7_S7_iiiiiii,@function
_ZL8moe_q3_KIN3c108BFloat16ELb1EEvPKvS3_PT_PKiS7_S7_iiiiiii: ; @_ZL8moe_q3_KIN3c108BFloat16ELb1EEvPKvS3_PT_PKiS7_S7_iiiiiii
; %bb.0:
	s_mov_b64 s[38:39], s[2:3]
	s_mov_b64 s[36:37], s[0:1]
	s_load_dwordx4 s[0:3], s[4:5], 0x18
	s_add_u32 s36, s36, s8
	s_mov_b32 s8, s7
	s_mov_b32 s9, 0
	s_addc_u32 s37, s37, 0
	s_lshl_b64 s[10:11], s[8:9], 2
	s_waitcnt lgkmcnt(0)
	s_add_u32 s2, s2, s10
	s_addc_u32 s3, s3, s11
	s_load_dword s2, s[2:3], 0x0
	s_waitcnt lgkmcnt(0)
	s_cmpk_gt_u32 s2, 0xff
	s_cbranch_scc1 .LBB230_47
; %bb.1:
	s_load_dwordx2 s[10:11], s[4:5], 0x28
	s_lshl_b32 s3, s8, 3
	s_waitcnt lgkmcnt(0)
	s_load_dword s7, s[10:11], 0x0
	s_waitcnt lgkmcnt(0)
	s_cmp_gt_u32 s3, s7
	s_cbranch_scc1 .LBB230_47
; %bb.2:
	v_add_u32_e32 v24, s3, v1
	v_mov_b32_e32 v25, 0
	v_lshlrev_b64 v[2:3], 2, v[24:25]
	v_mov_b32_e32 v4, s1
	v_add_co_u32_e32 v2, vcc, s0, v2
	v_addc_co_u32_e32 v3, vcc, v4, v3, vcc
	global_load_dword v81, v[2:3], off
	s_load_dwordx8 s[8:15], s[4:5], 0x30
	s_load_dwordx2 s[16:17], s[4:5], 0x10
	s_waitcnt lgkmcnt(0)
	s_lshl_b32 s15, s6, 7
	v_mov_b32_e32 v75, v25
	v_mov_b32_e32 v76, v25
	s_cmpk_lt_i32 s9, 0x100
	v_mov_b32_e32 v29, v25
	s_cbranch_scc1 .LBB230_38
; %bb.3:
	s_ashr_i32 s0, s9, 31
	s_lshr_b32 s0, s0, 24
	s_load_dwordx4 s[4:7], s[4:5], 0x0
	s_add_i32 s0, s9, s0
	s_ashr_i32 s20, s0, 8
	s_ashr_i32 s0, s12, 31
	s_lshr_b32 s0, s0, 27
	s_add_i32 s0, s12, s0
	s_mul_i32 s2, s2, s8
	s_ashr_i32 s12, s0, 5
	s_ashr_i32 s0, s2, 31
	s_waitcnt lgkmcnt(0)
	s_add_u32 s1, s4, s2
	s_mul_i32 s2, s20, s15
	s_addc_u32 s0, s5, s0
	s_mul_hi_i32 s3, s2, 0x6e
	s_mulk_i32 s2, 0x6e
	s_add_u32 s21, s1, s2
	s_addc_u32 s22, s0, s3
	s_not_b32 s0, s15
	s_add_i32 s0, s10, s0
	v_and_b32_e32 v3, 15, v0
	v_min_i32_e32 v4, s0, v1
	v_lshlrev_b32_e32 v2, 2, v0
	s_movk_i32 s1, 0x84
	v_mul_lo_u32 v32, v4, s20
	v_mad_u64_u32 v[9:10], s[2:3], v4, s1, v[2:3]
	v_add_u32_e32 v4, 8, v1
	v_min_i32_e32 v4, s0, v4
	v_mul_lo_u32 v33, v4, s20
	v_mad_u64_u32 v[10:11], s[2:3], v4, s1, v[2:3]
	v_add_u32_e32 v4, 16, v1
	v_min_i32_e32 v4, s0, v4
	;; [unrolled: 4-line block ×15, first 2 shown]
	v_mul_lo_u32 v47, v4, s20
	v_mad_u64_u32 v[24:25], s[2:3], v4, s1, v[2:3]
	v_lshlrev_b32_e32 v4, 4, v1
	v_lshrrev_b32_e32 v49, 1, v0
	v_add_u32_e32 v5, v49, v4
	v_and_b32_e32 v5, 0x7f, v5
	v_min_i32_e32 v5, s0, v5
	v_ashrrev_i32_e32 v6, 31, v5
	v_lshrrev_b32_e32 v6, 28, v6
	v_add_u32_e32 v6, v5, v6
	v_and_b32_e32 v48, 1, v0
	v_ashrrev_i32_e32 v6, 4, v6
	v_lshrrev_b32_e32 v30, 4, v0
	v_lshlrev_b32_e32 v6, 2, v6
	v_lshlrev_b32_e32 v7, 2, v48
	s_movk_i32 s1, 0x7380
	v_add3_u32 v6, v6, v7, s1
	v_lshl_add_u32 v7, v1, 1, v30
	v_add_u32_e32 v28, 32, v7
	v_min_i32_e32 v28, s0, v28
	v_lshrrev_b32_e32 v56, 31, v28
	v_add_lshl_u32 v56, v28, v56, 1
	v_lshlrev_b32_e32 v31, 2, v3
	s_movk_i32 s1, 0x4200
	v_and_b32_e32 v56, -4, v56
	v_add3_u32 v75, v56, v31, s1
	v_add_u32_e32 v56, 48, v7
	v_min_i32_e32 v57, s0, v56
	v_lshrrev_b32_e32 v58, 31, v57
	v_add_lshl_u32 v58, v57, v58, 1
	v_mul_lo_u32 v56, v57, s20
	v_and_b32_e32 v58, -4, v58
	v_lshlrev_b32_e32 v85, 6, v57
	v_add_u32_e32 v57, 64, v7
	v_add3_u32 v76, v58, v31, s1
	v_min_i32_e32 v58, s0, v57
	v_lshrrev_b32_e32 v59, 31, v58
	v_add_lshl_u32 v59, v58, v59, 1
	v_mul_lo_u32 v57, v58, s20
	v_and_b32_e32 v59, -4, v59
	v_lshlrev_b32_e32 v87, 6, v58
	v_add_u32_e32 v58, 0x50, v7
	v_add3_u32 v86, v59, v31, s1
	;; [unrolled: 8-line block ×3, first 2 shown]
	v_min_i32_e32 v60, s0, v59
	v_lshrrev_b32_e32 v61, 31, v60
	v_min_i32_e32 v8, s0, v7
	v_add_u32_e32 v26, 16, v7
	v_add_lshl_u32 v61, v60, v61, 1
	v_add_u32_e32 v7, 0x70, v7
	v_and_b32_e32 v61, -4, v61
	v_min_i32_e32 v7, s0, v7
	v_add3_u32 v93, v61, v31, s1
	v_lshrrev_b32_e32 v61, 31, v7
	v_cmp_lt_u32_e32 vcc, 7, v3
	v_and_b32_e32 v3, 7, v0
	v_add_lshl_u32 v61, v7, v61, 1
	v_cndmask_b32_e64 v51, 0, 1, vcc
	v_lshlrev_b32_e32 v52, 2, v3
	v_and_b32_e32 v61, -4, v61
	v_cmp_lt_u32_e32 vcc, 3, v3
	v_and_b32_e32 v3, 3, v0
	v_add3_u32 v95, v61, v31, s1
	v_lshrrev_b32_e32 v61, 3, v0
	v_cndmask_b32_e64 v62, 0, 1, vcc
	v_add_u16_e32 v63, -2, v3
	v_cmp_gt_u32_e32 vcc, 2, v3
	v_lshl_add_u32 v70, v1, 2, v61
	v_cndmask_b32_e32 v65, v63, v3, vcc
	v_mov_b32_e32 v66, 2
	v_min_i32_e32 v26, s0, v26
	v_lshlrev_b32_sdwa v65, v66, v65 dst_sel:DWORD dst_unused:UNUSED_PAD src0_sel:DWORD src1_sel:BYTE_0
	v_lshlrev_b32_e32 v66, 1, v3
	v_min_i32_e32 v3, s0, v70
	v_lshrrev_b32_e32 v25, 31, v8
	v_lshrrev_b32_e32 v27, 31, v26
	v_ashrrev_i32_e32 v68, 31, v3
	v_add_lshl_u32 v25, v8, v25, 1
	v_add_lshl_u32 v27, v26, v27, 1
	v_lshrrev_b32_e32 v68, 30, v68
	v_and_b32_e32 v25, -4, v25
	v_and_b32_e32 v27, -4, v27
	v_add_u32_e32 v68, v3, v68
	v_add3_u32 v25, v25, v31, s1
	v_add3_u32 v27, v27, v31, s1
	v_and_b32_e32 v68, -4, v68
	s_movk_i32 s1, 0x6300
	v_add3_u32 v96, v68, v52, s1
	v_add_u32_e32 v68, 32, v70
	v_min_i32_e32 v69, s0, v68
	v_ashrrev_i32_e32 v71, 31, v69
	v_lshrrev_b32_e32 v71, 30, v71
	v_add_u32_e32 v71, v69, v71
	v_mul_lo_u32 v68, v69, s20
	v_and_b32_e32 v71, -4, v71
	v_lshlrev_b32_e32 v98, 5, v69
	v_add_u32_e32 v69, 64, v70
	v_add3_u32 v97, v71, v52, s1
	v_min_i32_e32 v71, s0, v69
	v_ashrrev_i32_e32 v72, 31, v71
	v_lshrrev_b32_e32 v72, 30, v72
	v_add_u32_e32 v72, v71, v72
	v_add_u32_e32 v70, 0x60, v70
	s_abs_i32 s2, s14
	v_mul_lo_u32 v69, v71, s20
	v_and_b32_e32 v72, -4, v72
	v_lshlrev_b32_e32 v100, 5, v71
	v_min_i32_e32 v71, s0, v70
	v_cvt_f32_u32_e32 v73, s2
	v_add3_u32 v99, v72, v52, s1
	v_ashrrev_i32_e32 v72, 31, v71
	v_lshrrev_b32_e32 v72, 30, v72
	v_mul_lo_u32 v70, v71, s20
	v_add_u32_e32 v72, v71, v72
	v_lshlrev_b32_e32 v102, 5, v71
	v_mov_b32_e32 v71, 0x77a0
	v_lshl_add_u32 v71, v1, 7, v71
	v_rcp_iflag_f32_e32 v1, v73
	s_sub_i32 s0, 0, s2
	s_waitcnt vmcnt(0)
	v_sub_u32_e32 v79, 0, v81
	v_max_i32_e32 v79, v81, v79
	v_mul_f32_e32 v1, 0x4f7ffffe, v1
	v_cvt_u32_f32_e32 v1, v1
	v_and_b32_e32 v72, -4, v72
	v_add3_u32 v101, v72, v52, s1
	buffer_store_dword v81, off, s[36:39], 0 offset:16 ; 4-byte Folded Spill
	v_mul_lo_u32 v78, s0, v1
	v_xor_b32_e32 v81, s14, v81
	v_and_b32_e32 v77, 28, v2
	v_ashrrev_i32_e32 v81, 31, v81
	v_mul_hi_u32 v78, v1, v78
	v_mul_lo_u32 v55, v28, s20
	v_lshlrev_b32_e32 v28, 6, v28
	v_add_u32_e32 v90, 32, v0
	v_add_u32_e32 v1, v1, v78
	v_mul_hi_u32 v1, v79, v1
	v_mul_lo_u32 v50, v5, s20
	v_mul_lo_u32 v53, v8, s20
	;; [unrolled: 1-line block ×5, first 2 shown]
	v_lshlrev_b32_e32 v94, 6, v60
	v_mul_lo_u32 v60, v7, s20
	v_sub_u32_e32 v78, v79, v78
	v_add_u32_e32 v79, 1, v1
	v_cmp_le_u32_e64 s[0:1], s2, v78
	v_cndmask_b32_e64 v1, v1, v79, s[0:1]
	v_subrev_u32_e32 v79, s2, v78
	v_cndmask_b32_e64 v78, v78, v79, s[0:1]
	v_add_u32_e32 v79, 1, v1
	v_cmp_le_u32_e64 s[0:1], s2, v78
	v_cndmask_b32_e64 v1, v1, v79, s[0:1]
	v_xor_b32_e32 v1, v1, v81
	v_mov_b32_e32 v78, s7
	v_add_co_u32_e64 v77, s[0:1], s6, v77
	v_sub_u32_e32 v1, v1, v81
	v_addc_co_u32_e64 v78, s[0:1], 0, v78, s[0:1]
	v_mul_lo_u32 v67, v3, s20
	v_lshlrev_b32_e32 v103, 4, v90
	v_lshrrev_b32_e32 v104, 1, v90
	v_lshlrev_b32_e32 v105, 1, v90
	v_lshrrev_b32_e32 v106, 4, v90
	v_add_u32_e32 v91, 64, v0
	v_add_u32_e32 v92, 0x60, v0
	buffer_store_dword v77, off, s[36:39], 0 ; 4-byte Folded Spill
	s_nop 0
	buffer_store_dword v78, off, s[36:39], 0 offset:4 ; 4-byte Folded Spill
	v_and_b32_e32 v79, 0x1fc, v90
	v_add_u32_e32 v84, v75, v28
	v_lshrrev_b32_e32 v28, 3, v90
	v_mul_lo_u32 v90, v1, s12
	v_lshlrev_b32_e32 v5, 3, v5
	v_lshlrev_b32_e32 v8, 6, v8
	v_lshlrev_b32_e32 v26, 6, v26
	v_add_u32_e32 v73, 0x7ba0, v4
	v_lshlrev_b32_e32 v80, 5, v0
	v_and_b32_e32 v77, 0x1fc, v92
	v_and_b32_e32 v78, 0x1fc, v91
	v_and_b32_e32 v81, 0xfc, v0
	v_lshlrev_b32_e32 v7, 6, v7
	v_lshlrev_b32_e32 v63, 1, v0
	;; [unrolled: 1-line block ×3, first 2 shown]
	v_and_b32_e32 v72, 31, v0
	v_cmp_gt_u32_e32 vcc, 4, v0
	v_add_u32_e32 v74, v73, v2
	v_mul_u32_u24_e32 v2, 33, v0
	v_lshlrev_b32_e32 v4, 4, v0
	v_lshlrev_b32_e32 v107, 4, v91
	v_add_u32_e32 v77, v80, v77
	v_add_u32_e32 v78, v80, v78
	;; [unrolled: 1-line block ×4, first 2 shown]
	v_lshrrev_b32_e32 v108, 1, v91
	v_add_u32_e32 v81, v6, v5
	v_lshlrev_b32_e32 v5, 1, v91
	v_add_u32_e32 v82, v25, v8
	v_lshrrev_b32_e32 v6, 4, v91
	v_add_u32_e32 v83, v27, v26
	v_lshlrev_b32_e32 v8, 4, v92
	v_lshrrev_b32_e32 v25, 1, v92
	v_lshlrev_b32_e32 v26, 1, v92
	v_lshrrev_b32_e32 v27, 4, v92
	v_lshrrev_b32_e32 v61, 3, v91
	v_cmp_gt_i32_e64 s[0:1], s11, v1
	s_movk_i32 s8, 0x6e
	s_mov_b32 s10, 0
	v_mov_b32_e32 v29, 0
	v_and_b32_e32 v64, 4, v63
	v_lshl_add_u32 v72, v72, 2, v71
	v_add_u32_e32 v85, v76, v85
	v_add_u32_e32 v86, v86, v87
	buffer_store_dword v61, off, s[36:39], 0 offset:8 ; 4-byte Folded Spill
	v_lshrrev_b32_e32 v61, 3, v92
	s_and_b64 s[4:5], vcc, s[0:1]
	v_lshlrev_b32_e32 v91, 2, v2
	v_add_u32_e32 v92, v88, v89
	v_add_u32_e32 v94, v93, v94
	;; [unrolled: 1-line block ×5, first 2 shown]
	s_mov_b32 s23, 0x30303030
	s_movk_i32 s24, 0x3f00
	s_movk_i32 s25, 0xe000
	v_add_u32_e32 v98, v99, v100
	v_add_u32_e32 v99, v101, v102
	v_mov_b32_e32 v100, 8
	v_lshlrev_b32_e32 v101, 2, v4
	v_lshlrev_b32_e32 v102, 2, v104
	;; [unrolled: 1-line block ×13, first 2 shown]
	v_mov_b32_e32 v76, 0
	v_mov_b32_e32 v75, 0
	v_mov_b32_e32 v25, 0
	buffer_store_dword v61, off, s[36:39], 0 offset:12 ; 4-byte Folded Spill
	s_branch .LBB230_5
.LBB230_4:                              ;   in Loop: Header=BB230_5 Depth=1
	s_add_i32 s10, s10, 2
	s_cmp_ge_i32 s10, s20
	s_cbranch_scc1 .LBB230_37
.LBB230_5:                              ; =>This Loop Header: Depth=1
                                        ;     Child Loop BB230_11 Depth 2
                                        ;     Child Loop BB230_19 Depth 2
	;; [unrolled: 1-line block ×4, first 2 shown]
	s_mul_i32 s2, s10, 0x6e
	s_mul_hi_u32 s3, s10, 0x6e
	s_add_u32 s2, s21, s2
	s_addc_u32 s3, s22, s3
	v_mov_b32_e32 v1, s2
	v_mov_b32_e32 v2, s3
	v_mad_u64_u32 v[3:4], s[2:3], v30, s8, v[1:2]
	s_lshl_b32 s26, s10, 8
	s_cmp_lt_i32 s26, s9
	v_mad_i64_i32 v[5:6], s[2:3], v32, s8, v[3:4]
	v_add_co_u32_e64 v5, s[2:3], v5, v31
	v_addc_co_u32_e64 v6, s[2:3], 0, v6, s[2:3]
	global_load_dword v5, v[5:6], off offset:32
	s_waitcnt vmcnt(0)
	ds_write_b32 v9, v5
	v_mad_i64_i32 v[5:6], s[2:3], v33, s8, v[3:4]
	v_add_co_u32_e64 v5, s[2:3], v5, v31
	v_addc_co_u32_e64 v6, s[2:3], 0, v6, s[2:3]
	global_load_dword v5, v[5:6], off offset:32
	s_waitcnt vmcnt(0)
	ds_write_b32 v10, v5
	;; [unrolled: 6-line block ×14, first 2 shown]
	v_mad_i64_i32 v[5:6], s[2:3], v46, s8, v[3:4]
	v_add_co_u32_e64 v5, s[2:3], v5, v31
	v_addc_co_u32_e64 v6, s[2:3], 0, v6, s[2:3]
	v_mad_i64_i32 v[3:4], s[2:3], v47, s8, v[3:4]
	global_load_dword v5, v[5:6], off offset:32
	v_add_co_u32_e64 v3, s[2:3], v3, v31
	v_addc_co_u32_e64 v4, s[2:3], 0, v4, s[2:3]
	global_load_dword v3, v[3:4], off offset:32
	s_waitcnt vmcnt(1)
	ds_write_b32 v23, v5
	s_waitcnt vmcnt(0)
	ds_write_b32 v24, v3
	v_mad_i64_i32 v[3:4], s[2:3], v50, s8, v[1:2]
	v_mad_u64_u32 v[3:4], s[2:3], v48, s8, v[3:4]
	global_load_ushort v3, v[3:4], off offset:108
	s_waitcnt vmcnt(0)
	v_cvt_f32_f16_e32 v3, v3
	ds_write_b32 v81, v3
	v_mad_u64_u32 v[3:4], s[2:3], v51, s8, v[1:2]
	v_add_co_u32_e64 v3, s[2:3], v3, v52
	v_addc_co_u32_e64 v4, s[2:3], 0, v4, s[2:3]
	v_mad_i64_i32 v[5:6], s[2:3], v53, s8, v[3:4]
	v_mad_u64_u32 v[1:2], s[2:3], v62, s8, v[1:2]
	global_load_dword v5, v[5:6], off
	s_waitcnt vmcnt(0)
	v_not_b32_e32 v5, v5
	ds_write_b32 v82, v5
	v_mad_i64_i32 v[5:6], s[2:3], v54, s8, v[3:4]
	global_load_dword v5, v[5:6], off
	s_waitcnt vmcnt(0)
	v_not_b32_e32 v5, v5
	ds_write_b32 v83, v5
	v_mad_i64_i32 v[5:6], s[2:3], v55, s8, v[3:4]
	;; [unrolled: 5-line block ×6, first 2 shown]
	v_mad_i64_i32 v[3:4], s[2:3], v60, s8, v[3:4]
	global_load_dword v5, v[5:6], off
	s_nop 0
	global_load_dword v3, v[3:4], off
	s_waitcnt vmcnt(1)
	v_not_b32_e32 v5, v5
	ds_write_b32 v94, v5
	s_waitcnt vmcnt(0)
	v_not_b32_e32 v3, v3
	ds_write_b32 v95, v3
	v_mad_i64_i32 v[3:4], s[2:3], v67, s8, v[1:2]
	v_add_co_u32_e64 v5, s[2:3], v3, v65
	v_addc_co_u32_e64 v6, s[2:3], 0, v4, s[2:3]
	global_load_dword v5, v[5:6], off offset:96
	s_nop 0
	global_load_dword v3, v[3:4], off offset:104
	s_waitcnt vmcnt(1)
	v_ashrrev_i32_e32 v5, v64, v5
	v_and_b32_e32 v5, 0xf0f0f0f, v5
	s_waitcnt vmcnt(0)
	v_ashrrev_i32_e32 v3, v66, v3
	v_lshlrev_b32_e32 v3, 4, v3
	v_and_or_b32 v3, v3, s23, v5
	v_lshlrev_b16_e32 v5, 8, v3
	v_and_b32_e32 v4, 0x3f00, v3
	v_add_u16_e32 v5, 0xe000, v5
	v_or_b32_sdwa v4, v4, v5 dst_sel:DWORD dst_unused:UNUSED_PAD src0_sel:DWORD src1_sel:BYTE_1
	v_and_b32_sdwa v5, v3, s24 dst_sel:DWORD dst_unused:UNUSED_PAD src0_sel:WORD_1 src1_sel:DWORD
	v_lshlrev_b16_sdwa v3, v100, v3 dst_sel:DWORD dst_unused:UNUSED_PAD src0_sel:DWORD src1_sel:WORD_1
	v_add_u16_e32 v3, 0xe000, v3
	v_or_b32_sdwa v3, v5, v3 dst_sel:DWORD dst_unused:UNUSED_PAD src0_sel:DWORD src1_sel:BYTE_1
	v_add_u16_e32 v4, 0xe000, v4
	v_add_u16_sdwa v3, v3, s25 dst_sel:WORD_1 dst_unused:UNUSED_PAD src0_sel:DWORD src1_sel:DWORD
	v_or_b32_e32 v3, v4, v3
	ds_write_b32 v96, v3
	v_mad_i64_i32 v[3:4], s[2:3], v68, s8, v[1:2]
	v_add_co_u32_e64 v5, s[2:3], v3, v65
	v_addc_co_u32_e64 v6, s[2:3], 0, v4, s[2:3]
	global_load_dword v5, v[5:6], off offset:96
	s_nop 0
	global_load_dword v3, v[3:4], off offset:104
	s_waitcnt vmcnt(1)
	v_ashrrev_i32_e32 v5, v64, v5
	v_and_b32_e32 v5, 0xf0f0f0f, v5
	s_waitcnt vmcnt(0)
	v_ashrrev_i32_e32 v3, v66, v3
	v_lshlrev_b32_e32 v3, 4, v3
	v_and_or_b32 v3, v3, s23, v5
	v_lshlrev_b16_e32 v5, 8, v3
	v_and_b32_e32 v4, 0x3f00, v3
	v_add_u16_e32 v5, 0xe000, v5
	v_or_b32_sdwa v4, v4, v5 dst_sel:DWORD dst_unused:UNUSED_PAD src0_sel:DWORD src1_sel:BYTE_1
	v_and_b32_sdwa v5, v3, s24 dst_sel:DWORD dst_unused:UNUSED_PAD src0_sel:WORD_1 src1_sel:DWORD
	v_lshlrev_b16_sdwa v3, v100, v3 dst_sel:DWORD dst_unused:UNUSED_PAD src0_sel:DWORD src1_sel:WORD_1
	v_add_u16_e32 v3, 0xe000, v3
	v_or_b32_sdwa v3, v5, v3 dst_sel:DWORD dst_unused:UNUSED_PAD src0_sel:DWORD src1_sel:BYTE_1
	v_add_u16_e32 v4, 0xe000, v4
	v_add_u16_sdwa v3, v3, s25 dst_sel:WORD_1 dst_unused:UNUSED_PAD src0_sel:DWORD src1_sel:DWORD
	v_or_b32_e32 v3, v4, v3
	;; [unrolled: 25-line block ×4, first 2 shown]
	ds_write_b32 v99, v1
	s_cbranch_scc0 .LBB230_4
; %bb.6:                                ;   in Loop: Header=BB230_5 Depth=1
	s_lshl_b32 s27, s10, 3
	v_lshrrev_b32_e32 v1, 3, v0
	v_add_u32_e32 v1, s27, v1
	v_cmp_gt_i32_e64 s[2:3], s12, v1
	s_and_b64 s[18:19], s[0:1], s[2:3]
	s_and_saveexec_b64 s[2:3], s[18:19]
	s_cbranch_execz .LBB230_8
; %bb.7:                                ;   in Loop: Header=BB230_5 Depth=1
	buffer_load_dword v2, off, s[36:39], 0  ; 4-byte Folded Reload
	buffer_load_dword v3, off, s[36:39], 0 offset:4 ; 4-byte Folded Reload
	v_add_u32_e32 v1, v90, v1
	s_waitcnt vmcnt(0)
	v_mad_i64_i32 v[1:2], s[18:19], v1, 36, v[2:3]
	global_load_dword v1, v[1:2], off offset:4
	s_waitcnt vmcnt(0)
	ds_write_b32 v72, v1
.LBB230_8:                              ;   in Loop: Header=BB230_5 Depth=1
	s_or_b64 exec, exec, s[2:3]
	v_add_u32_e32 v117, s27, v0
	v_cmp_gt_i32_e64 s[2:3], s12, v117
	s_and_b64 s[18:19], s[4:5], s[2:3]
	s_and_saveexec_b64 s[2:3], s[18:19]
	s_cbranch_execz .LBB230_10
; %bb.9:                                ;   in Loop: Header=BB230_5 Depth=1
	v_add_u32_e32 v1, v90, v117
	v_mad_i64_i32 v[1:2], s[18:19], v1, 36, s[6:7]
	global_load_dword v1, v[1:2], off
	s_waitcnt vmcnt(0)
	v_cvt_f32_f16_e32 v1, v1
	ds_write_b32 v74, v1
.LBB230_10:                             ;   in Loop: Header=BB230_5 Depth=1
	s_or_b64 exec, exec, s[2:3]
	s_mov_b32 s19, -2
	s_mov_b32 s2, 0
	v_mov_b32_e32 v118, v73
	v_mov_b32_e32 v119, v71
	s_mov_b32 s3, 0
	s_waitcnt lgkmcnt(0)
	s_barrier
.LBB230_11:                             ;   Parent Loop BB230_5 Depth=1
                                        ; =>  This Inner Loop Header: Depth=2
	s_add_i32 s18, s19, 2
	s_lshr_b32 s30, s18, 4
	s_and_b32 s29, s18, 0x3ffffff8
	v_lshl_add_u32 v121, s29, 2, v91
	s_lshl_b32 s29, s30, 5
	s_addk_i32 s29, 0x4200
	v_lshlrev_b32_e32 v114, 2, v49
	v_add3_u32 v87, s29, v114, v101
	ds_read_b32 v120, v118
	ds_read_b128 v[5:8], v119
	ds_read_b128 v[1:4], v119 offset:16
	ds_read2_b32 v[88:89], v121 offset1:1
	ds_read2_b32 v[115:116], v87 offset1:1
	ds_read2_b32 v[122:123], v87 offset0:2 offset1:3
	ds_read2_b32 v[124:125], v87 offset0:4 offset1:5
	;; [unrolled: 1-line block ×3, first 2 shown]
	s_waitcnt lgkmcnt(4)
	v_ashrrev_i32_e32 v26, s18, v88
	s_waitcnt lgkmcnt(3)
	v_ashrrev_i32_e32 v88, s2, v115
	v_lshlrev_b32_e32 v88, 2, v88
	v_and_b32_e32 v27, 0x3030303, v26
	v_bfe_u32 v26, v26, 24, 2
	v_and_b32_e32 v88, 0x4040404, v88
	v_sub_u16_e32 v93, v27, v88
	v_sub_u16_sdwa v115, v27, v88 dst_sel:BYTE_1 dst_unused:UNUSED_PAD src0_sel:BYTE_1 src1_sel:BYTE_1
	v_sub_u16_sdwa v26, v26, v88 dst_sel:BYTE_1 dst_unused:UNUSED_PAD src0_sel:DWORD src1_sel:BYTE_3
	v_sub_u16_sdwa v27, v27, v88 dst_sel:DWORD dst_unused:UNUSED_PAD src0_sel:WORD_1 src1_sel:WORD_1
	v_or_b32_sdwa v93, v93, v115 dst_sel:DWORD dst_unused:UNUSED_PAD src0_sel:BYTE_0 src1_sel:DWORD
	v_or_b32_sdwa v26, v27, v26 dst_sel:WORD_1 dst_unused:UNUSED_PAD src0_sel:BYTE_0 src1_sel:DWORD
	v_ashrrev_i32_e32 v88, s2, v116
	v_or_b32_sdwa v93, v93, v26 dst_sel:DWORD dst_unused:UNUSED_PAD src0_sel:WORD_0 src1_sel:DWORD
	v_ashrrev_i32_e32 v26, s18, v89
	v_lshlrev_b32_e32 v88, 2, v88
	v_and_b32_e32 v27, 0x3030303, v26
	v_and_b32_e32 v88, 0x4040404, v88
	v_sub_u16_e32 v89, v27, v88
	v_sub_u16_sdwa v115, v27, v88 dst_sel:BYTE_1 dst_unused:UNUSED_PAD src0_sel:BYTE_1 src1_sel:BYTE_1
	v_or_b32_sdwa v89, v89, v115 dst_sel:DWORD dst_unused:UNUSED_PAD src0_sel:BYTE_0 src1_sel:DWORD
	ds_read2_b32 v[115:116], v121 offset0:2 offset1:3
	v_bfe_u32 v26, v26, 24, 2
	v_sub_u16_sdwa v26, v26, v88 dst_sel:BYTE_1 dst_unused:UNUSED_PAD src0_sel:DWORD src1_sel:BYTE_3
	v_sub_u16_sdwa v27, v27, v88 dst_sel:DWORD dst_unused:UNUSED_PAD src0_sel:WORD_1 src1_sel:WORD_1
	v_or_b32_sdwa v26, v27, v26 dst_sel:WORD_1 dst_unused:UNUSED_PAD src0_sel:BYTE_0 src1_sel:DWORD
	s_waitcnt lgkmcnt(3)
	v_ashrrev_i32_e32 v88, s2, v122
	v_or_b32_sdwa v89, v89, v26 dst_sel:DWORD dst_unused:UNUSED_PAD src0_sel:WORD_0 src1_sel:DWORD
	s_waitcnt lgkmcnt(0)
	v_ashrrev_i32_e32 v26, s18, v115
	v_lshlrev_b32_e32 v88, 2, v88
	v_and_b32_e32 v27, 0x3030303, v26
	v_bfe_u32 v26, v26, 24, 2
	v_and_b32_e32 v88, 0x4040404, v88
	v_sub_u16_e32 v115, v27, v88
	v_sub_u16_sdwa v122, v27, v88 dst_sel:BYTE_1 dst_unused:UNUSED_PAD src0_sel:BYTE_1 src1_sel:BYTE_1
	v_sub_u16_sdwa v26, v26, v88 dst_sel:BYTE_1 dst_unused:UNUSED_PAD src0_sel:DWORD src1_sel:BYTE_3
	v_sub_u16_sdwa v27, v27, v88 dst_sel:DWORD dst_unused:UNUSED_PAD src0_sel:WORD_1 src1_sel:WORD_1
	v_or_b32_sdwa v115, v115, v122 dst_sel:DWORD dst_unused:UNUSED_PAD src0_sel:BYTE_0 src1_sel:DWORD
	v_or_b32_sdwa v26, v27, v26 dst_sel:WORD_1 dst_unused:UNUSED_PAD src0_sel:BYTE_0 src1_sel:DWORD
	v_ashrrev_i32_e32 v88, s2, v123
	v_or_b32_sdwa v122, v115, v26 dst_sel:DWORD dst_unused:UNUSED_PAD src0_sel:WORD_0 src1_sel:DWORD
	v_ashrrev_i32_e32 v26, s18, v116
	v_lshlrev_b32_e32 v88, 2, v88
	v_and_b32_e32 v27, 0x3030303, v26
	v_bfe_u32 v26, v26, 24, 2
	v_and_b32_e32 v88, 0x4040404, v88
	v_sub_u16_e32 v115, v27, v88
	v_sub_u16_sdwa v116, v27, v88 dst_sel:BYTE_1 dst_unused:UNUSED_PAD src0_sel:BYTE_1 src1_sel:BYTE_1
	v_sub_u16_sdwa v26, v26, v88 dst_sel:BYTE_1 dst_unused:UNUSED_PAD src0_sel:DWORD src1_sel:BYTE_3
	v_sub_u16_sdwa v27, v27, v88 dst_sel:DWORD dst_unused:UNUSED_PAD src0_sel:WORD_1 src1_sel:WORD_1
	v_or_b32_sdwa v115, v115, v116 dst_sel:DWORD dst_unused:UNUSED_PAD src0_sel:BYTE_0 src1_sel:DWORD
	v_or_b32_sdwa v26, v27, v26 dst_sel:WORD_1 dst_unused:UNUSED_PAD src0_sel:BYTE_0 src1_sel:DWORD
	v_or_b32_sdwa v123, v115, v26 dst_sel:DWORD dst_unused:UNUSED_PAD src0_sel:WORD_0 src1_sel:DWORD
	ds_read2_b32 v[115:116], v121 offset0:4 offset1:5
	v_ashrrev_i32_e32 v88, s2, v124
	v_lshlrev_b32_e32 v88, 2, v88
	v_and_b32_e32 v88, 0x4040404, v88
	v_ashrrev_i32_e32 v87, s2, v126
	s_waitcnt lgkmcnt(0)
	v_ashrrev_i32_e32 v26, s18, v115
	v_and_b32_e32 v27, 0x3030303, v26
	v_bfe_u32 v26, v26, 24, 2
	v_sub_u16_e32 v115, v27, v88
	v_sub_u16_sdwa v124, v27, v88 dst_sel:BYTE_1 dst_unused:UNUSED_PAD src0_sel:BYTE_1 src1_sel:BYTE_1
	v_sub_u16_sdwa v26, v26, v88 dst_sel:BYTE_1 dst_unused:UNUSED_PAD src0_sel:DWORD src1_sel:BYTE_3
	v_sub_u16_sdwa v27, v27, v88 dst_sel:DWORD dst_unused:UNUSED_PAD src0_sel:WORD_1 src1_sel:WORD_1
	v_or_b32_sdwa v115, v115, v124 dst_sel:DWORD dst_unused:UNUSED_PAD src0_sel:BYTE_0 src1_sel:DWORD
	v_or_b32_sdwa v26, v27, v26 dst_sel:WORD_1 dst_unused:UNUSED_PAD src0_sel:BYTE_0 src1_sel:DWORD
	v_ashrrev_i32_e32 v88, s2, v125
	v_or_b32_sdwa v124, v115, v26 dst_sel:DWORD dst_unused:UNUSED_PAD src0_sel:WORD_0 src1_sel:DWORD
	v_ashrrev_i32_e32 v26, s18, v116
	v_lshlrev_b32_e32 v88, 2, v88
	v_and_b32_e32 v27, 0x3030303, v26
	v_bfe_u32 v26, v26, 24, 2
	v_and_b32_e32 v88, 0x4040404, v88
	v_sub_u16_e32 v115, v27, v88
	v_sub_u16_sdwa v116, v27, v88 dst_sel:BYTE_1 dst_unused:UNUSED_PAD src0_sel:BYTE_1 src1_sel:BYTE_1
	v_sub_u16_sdwa v26, v26, v88 dst_sel:BYTE_1 dst_unused:UNUSED_PAD src0_sel:DWORD src1_sel:BYTE_3
	v_sub_u16_sdwa v27, v27, v88 dst_sel:DWORD dst_unused:UNUSED_PAD src0_sel:WORD_1 src1_sel:WORD_1
	v_or_b32_sdwa v115, v115, v116 dst_sel:DWORD dst_unused:UNUSED_PAD src0_sel:BYTE_0 src1_sel:DWORD
	v_or_b32_sdwa v26, v27, v26 dst_sel:WORD_1 dst_unused:UNUSED_PAD src0_sel:BYTE_0 src1_sel:DWORD
	v_or_b32_sdwa v125, v115, v26 dst_sel:DWORD dst_unused:UNUSED_PAD src0_sel:WORD_0 src1_sel:DWORD
	ds_read2_b32 v[115:116], v121 offset0:6 offset1:7
	v_lshlrev_b32_e32 v87, 2, v87
	v_and_b32_e32 v87, 0x4040404, v87
	s_and_b32 s28, s3, -16
	s_add_i32 s28, s19, s28
	s_waitcnt lgkmcnt(0)
	v_ashrrev_i32_e32 v26, s18, v115
	v_and_b32_e32 v27, 0x3030303, v26
	v_bfe_u32 v26, v26, 24, 2
	v_sub_u16_e32 v88, v27, v87
	v_sub_u16_sdwa v115, v27, v87 dst_sel:BYTE_1 dst_unused:UNUSED_PAD src0_sel:BYTE_1 src1_sel:BYTE_1
	v_sub_u16_sdwa v26, v26, v87 dst_sel:BYTE_1 dst_unused:UNUSED_PAD src0_sel:DWORD src1_sel:BYTE_3
	v_sub_u16_sdwa v27, v27, v87 dst_sel:DWORD dst_unused:UNUSED_PAD src0_sel:WORD_1 src1_sel:WORD_1
	v_or_b32_sdwa v88, v88, v115 dst_sel:DWORD dst_unused:UNUSED_PAD src0_sel:BYTE_0 src1_sel:DWORD
	v_or_b32_sdwa v26, v27, v26 dst_sel:WORD_1 dst_unused:UNUSED_PAD src0_sel:BYTE_0 src1_sel:DWORD
	v_ashrrev_i32_e32 v87, s2, v127
	v_or_b32_sdwa v126, v88, v26 dst_sel:DWORD dst_unused:UNUSED_PAD src0_sel:WORD_0 src1_sel:DWORD
	v_ashrrev_i32_e32 v26, s18, v116
	v_lshlrev_b32_e32 v87, 2, v87
	v_and_b32_e32 v27, 0x3030303, v26
	v_bfe_u32 v26, v26, 24, 2
	v_and_b32_e32 v87, 0x4040404, v87
	v_sub_u16_e32 v88, v27, v87
	v_sub_u16_sdwa v115, v27, v87 dst_sel:BYTE_1 dst_unused:UNUSED_PAD src0_sel:BYTE_1 src1_sel:BYTE_1
	v_sub_u16_sdwa v26, v26, v87 dst_sel:BYTE_1 dst_unused:UNUSED_PAD src0_sel:DWORD src1_sel:BYTE_3
	v_sub_u16_sdwa v27, v27, v87 dst_sel:DWORD dst_unused:UNUSED_PAD src0_sel:WORD_1 src1_sel:WORD_1
	v_or_b32_sdwa v88, v88, v115 dst_sel:DWORD dst_unused:UNUSED_PAD src0_sel:BYTE_0 src1_sel:DWORD
	v_or_b32_sdwa v26, v27, v26 dst_sel:WORD_1 dst_unused:UNUSED_PAD src0_sel:BYTE_0 src1_sel:DWORD
	v_or_b32_sdwa v127, v88, v26 dst_sel:DWORD dst_unused:UNUSED_PAD src0_sel:WORD_0 src1_sel:DWORD
	v_add_u32_e32 v26, 0x6300, v80
	v_add_u32_e32 v88, s28, v26
	ds_read_u16 v88, v88 offset:2
	v_dot4_i32_i8 v27, v93, v5, 0
	v_dot4_i32_i8 v27, v89, v6, v27
	;; [unrolled: 1-line block ×4, first 2 shown]
	s_waitcnt lgkmcnt(0)
	v_lshrrev_b16_e32 v89, 8, v88
	v_bfe_i32 v88, v88, 0, 8
	v_dot4_i32_i8 v87, v124, v1, 0
	v_mul_lo_u32 v88, v27, v88
	v_dot4_i32_i8 v87, v125, v2, v87
	v_dot4_i32_i8 v87, v126, v3, v87
	s_lshl_b32 s19, s30, 2
	v_dot4_i32_i8 v87, v127, v4, v87
	v_bfe_i32 v89, v89, 0, 8
	s_addk_i32 s19, 0x7380
	v_lshlrev_b32_e32 v115, 2, v30
	v_lshlrev_b32_e32 v116, 2, v63
	v_mad_u64_u32 v[88:89], s[30:31], v87, v89, v[88:89]
	v_add3_u32 v26, s19, v115, v116
	ds_read_b32 v26, v26
	v_cvt_f32_i32_e32 v27, v88
	v_add3_u32 v87, s29, v102, v103
	ds_read2_b32 v[122:123], v87 offset1:1
	s_add_i32 s3, s3, 2
	s_waitcnt lgkmcnt(1)
	v_mul_f32_e32 v26, v120, v26
	v_fmac_f32_e32 v29, v26, v27
	v_add_u32_e32 v26, 0x1080, v121
	ds_read2_b32 v[88:89], v26 offset1:1
	v_add_u32_e32 v119, 32, v119
	v_add_u32_e32 v118, 4, v118
	s_waitcnt lgkmcnt(0)
	v_ashrrev_i32_e32 v26, s18, v88
	v_ashrrev_i32_e32 v88, s2, v122
	v_lshlrev_b32_e32 v88, 2, v88
	v_and_b32_e32 v27, 0x3030303, v26
	v_bfe_u32 v26, v26, 24, 2
	v_and_b32_e32 v88, 0x4040404, v88
	v_sub_u16_e32 v93, v27, v88
	v_sub_u16_sdwa v122, v27, v88 dst_sel:BYTE_1 dst_unused:UNUSED_PAD src0_sel:BYTE_1 src1_sel:BYTE_1
	v_sub_u16_sdwa v26, v26, v88 dst_sel:BYTE_1 dst_unused:UNUSED_PAD src0_sel:DWORD src1_sel:BYTE_3
	v_sub_u16_sdwa v27, v27, v88 dst_sel:DWORD dst_unused:UNUSED_PAD src0_sel:WORD_1 src1_sel:WORD_1
	v_or_b32_sdwa v26, v27, v26 dst_sel:WORD_1 dst_unused:UNUSED_PAD src0_sel:BYTE_0 src1_sel:DWORD
	v_ashrrev_i32_e32 v27, s18, v89
	v_ashrrev_i32_e32 v89, s2, v123
	v_lshlrev_b32_e32 v89, 2, v89
	v_or_b32_sdwa v93, v93, v122 dst_sel:DWORD dst_unused:UNUSED_PAD src0_sel:BYTE_0 src1_sel:DWORD
	v_and_b32_e32 v88, 0x3030303, v27
	v_bfe_u32 v27, v27, 24, 2
	v_and_b32_e32 v89, 0x4040404, v89
	v_or_b32_sdwa v26, v93, v26 dst_sel:DWORD dst_unused:UNUSED_PAD src0_sel:WORD_0 src1_sel:DWORD
	v_sub_u16_e32 v93, v88, v89
	v_sub_u16_sdwa v122, v88, v89 dst_sel:BYTE_1 dst_unused:UNUSED_PAD src0_sel:BYTE_1 src1_sel:BYTE_1
	v_sub_u16_sdwa v27, v27, v89 dst_sel:BYTE_1 dst_unused:UNUSED_PAD src0_sel:DWORD src1_sel:BYTE_3
	v_sub_u16_sdwa v88, v88, v89 dst_sel:DWORD dst_unused:UNUSED_PAD src0_sel:WORD_1 src1_sel:WORD_1
	v_or_b32_sdwa v27, v88, v27 dst_sel:WORD_1 dst_unused:UNUSED_PAD src0_sel:BYTE_0 src1_sel:DWORD
	v_add_u32_e32 v88, 0x1088, v121
	v_or_b32_sdwa v93, v93, v122 dst_sel:DWORD dst_unused:UNUSED_PAD src0_sel:BYTE_0 src1_sel:DWORD
	ds_read2_b32 v[88:89], v88 offset1:1
	ds_read2_b32 v[122:123], v87 offset0:2 offset1:3
	v_or_b32_sdwa v27, v93, v27 dst_sel:DWORD dst_unused:UNUSED_PAD src0_sel:WORD_0 src1_sel:DWORD
	v_dot4_i32_i8 v26, v26, v5, 0
	v_dot4_i32_i8 v26, v27, v6, v26
	s_waitcnt lgkmcnt(1)
	v_ashrrev_i32_e32 v88, s18, v88
	s_waitcnt lgkmcnt(0)
	v_ashrrev_i32_e32 v122, s2, v122
	v_lshlrev_b32_e32 v122, 2, v122
	v_and_b32_e32 v93, 0x3030303, v88
	v_bfe_u32 v88, v88, 24, 2
	v_and_b32_e32 v122, 0x4040404, v122
	v_sub_u16_e32 v124, v93, v122
	v_sub_u16_sdwa v125, v93, v122 dst_sel:BYTE_1 dst_unused:UNUSED_PAD src0_sel:BYTE_1 src1_sel:BYTE_1
	v_sub_u16_sdwa v88, v88, v122 dst_sel:BYTE_1 dst_unused:UNUSED_PAD src0_sel:DWORD src1_sel:BYTE_3
	v_sub_u16_sdwa v93, v93, v122 dst_sel:DWORD dst_unused:UNUSED_PAD src0_sel:WORD_1 src1_sel:WORD_1
	v_or_b32_sdwa v124, v124, v125 dst_sel:DWORD dst_unused:UNUSED_PAD src0_sel:BYTE_0 src1_sel:DWORD
	v_or_b32_sdwa v88, v93, v88 dst_sel:WORD_1 dst_unused:UNUSED_PAD src0_sel:BYTE_0 src1_sel:DWORD
	v_ashrrev_i32_e32 v122, s2, v123
	v_or_b32_sdwa v93, v124, v88 dst_sel:DWORD dst_unused:UNUSED_PAD src0_sel:WORD_0 src1_sel:DWORD
	v_ashrrev_i32_e32 v88, s18, v89
	v_lshlrev_b32_e32 v122, 2, v122
	v_and_b32_e32 v89, 0x3030303, v88
	v_bfe_u32 v88, v88, 24, 2
	v_and_b32_e32 v122, 0x4040404, v122
	v_sub_u16_e32 v123, v89, v122
	v_sub_u16_sdwa v124, v89, v122 dst_sel:BYTE_1 dst_unused:UNUSED_PAD src0_sel:BYTE_1 src1_sel:BYTE_1
	v_sub_u16_sdwa v88, v88, v122 dst_sel:BYTE_1 dst_unused:UNUSED_PAD src0_sel:DWORD src1_sel:BYTE_3
	v_sub_u16_sdwa v89, v89, v122 dst_sel:DWORD dst_unused:UNUSED_PAD src0_sel:WORD_1 src1_sel:WORD_1
	v_or_b32_sdwa v123, v123, v124 dst_sel:DWORD dst_unused:UNUSED_PAD src0_sel:BYTE_0 src1_sel:DWORD
	v_or_b32_sdwa v88, v89, v88 dst_sel:WORD_1 dst_unused:UNUSED_PAD src0_sel:BYTE_0 src1_sel:DWORD
	v_or_b32_sdwa v124, v123, v88 dst_sel:DWORD dst_unused:UNUSED_PAD src0_sel:WORD_0 src1_sel:DWORD
	v_add_u32_e32 v88, 0x1090, v121
	ds_read2_b32 v[88:89], v88 offset1:1
	ds_read2_b32 v[122:123], v87 offset0:4 offset1:5
	v_dot4_i32_i8 v26, v93, v7, v26
	v_dot4_i32_i8 v26, v124, v8, v26
	s_waitcnt lgkmcnt(1)
	v_ashrrev_i32_e32 v88, s18, v88
	s_waitcnt lgkmcnt(0)
	v_ashrrev_i32_e32 v122, s2, v122
	v_lshlrev_b32_e32 v122, 2, v122
	v_and_b32_e32 v125, 0x3030303, v88
	v_bfe_u32 v88, v88, 24, 2
	v_and_b32_e32 v122, 0x4040404, v122
	v_sub_u16_e32 v126, v125, v122
	v_sub_u16_sdwa v127, v125, v122 dst_sel:BYTE_1 dst_unused:UNUSED_PAD src0_sel:BYTE_1 src1_sel:BYTE_1
	v_sub_u16_sdwa v88, v88, v122 dst_sel:BYTE_1 dst_unused:UNUSED_PAD src0_sel:DWORD src1_sel:BYTE_3
	v_sub_u16_sdwa v122, v125, v122 dst_sel:DWORD dst_unused:UNUSED_PAD src0_sel:WORD_1 src1_sel:WORD_1
	v_or_b32_sdwa v126, v126, v127 dst_sel:DWORD dst_unused:UNUSED_PAD src0_sel:BYTE_0 src1_sel:DWORD
	v_or_b32_sdwa v88, v122, v88 dst_sel:WORD_1 dst_unused:UNUSED_PAD src0_sel:BYTE_0 src1_sel:DWORD
	v_ashrrev_i32_e32 v122, s2, v123
	v_or_b32_sdwa v125, v126, v88 dst_sel:DWORD dst_unused:UNUSED_PAD src0_sel:WORD_0 src1_sel:DWORD
	v_ashrrev_i32_e32 v88, s18, v89
	v_lshlrev_b32_e32 v122, 2, v122
	v_and_b32_e32 v89, 0x3030303, v88
	v_bfe_u32 v88, v88, 24, 2
	v_and_b32_e32 v122, 0x4040404, v122
	v_sub_u16_e32 v123, v89, v122
	v_sub_u16_sdwa v126, v89, v122 dst_sel:BYTE_1 dst_unused:UNUSED_PAD src0_sel:BYTE_1 src1_sel:BYTE_1
	v_sub_u16_sdwa v88, v88, v122 dst_sel:BYTE_1 dst_unused:UNUSED_PAD src0_sel:DWORD src1_sel:BYTE_3
	v_sub_u16_sdwa v89, v89, v122 dst_sel:DWORD dst_unused:UNUSED_PAD src0_sel:WORD_1 src1_sel:WORD_1
	v_or_b32_sdwa v123, v123, v126 dst_sel:DWORD dst_unused:UNUSED_PAD src0_sel:BYTE_0 src1_sel:DWORD
	v_or_b32_sdwa v88, v89, v88 dst_sel:WORD_1 dst_unused:UNUSED_PAD src0_sel:BYTE_0 src1_sel:DWORD
	v_or_b32_sdwa v126, v123, v88 dst_sel:DWORD dst_unused:UNUSED_PAD src0_sel:WORD_0 src1_sel:DWORD
	v_add_u32_e32 v88, 0x1098, v121
	ds_read2_b32 v[88:89], v88 offset1:1
	ds_read2_b32 v[122:123], v87 offset0:6 offset1:7
	v_dot4_i32_i8 v27, v125, v1, 0
	v_dot4_i32_i8 v27, v126, v2, v27
	s_waitcnt lgkmcnt(1)
	v_ashrrev_i32_e32 v88, s18, v88
	s_waitcnt lgkmcnt(0)
	v_ashrrev_i32_e32 v87, s2, v122
	v_lshlrev_b32_e32 v87, 2, v87
	v_and_b32_e32 v127, 0x3030303, v88
	v_bfe_u32 v88, v88, 24, 2
	v_and_b32_e32 v87, 0x4040404, v87
	v_sub_u16_e32 v122, v127, v87
	v_sub_u16_sdwa v61, v127, v87 dst_sel:BYTE_1 dst_unused:UNUSED_PAD src0_sel:BYTE_1 src1_sel:BYTE_1
	v_sub_u16_sdwa v88, v88, v87 dst_sel:BYTE_1 dst_unused:UNUSED_PAD src0_sel:DWORD src1_sel:BYTE_3
	v_sub_u16_sdwa v87, v127, v87 dst_sel:DWORD dst_unused:UNUSED_PAD src0_sel:WORD_1 src1_sel:WORD_1
	v_or_b32_sdwa v61, v122, v61 dst_sel:DWORD dst_unused:UNUSED_PAD src0_sel:BYTE_0 src1_sel:DWORD
	v_or_b32_sdwa v87, v87, v88 dst_sel:WORD_1 dst_unused:UNUSED_PAD src0_sel:BYTE_0 src1_sel:DWORD
	v_or_b32_sdwa v61, v61, v87 dst_sel:DWORD dst_unused:UNUSED_PAD src0_sel:WORD_0 src1_sel:DWORD
	v_ashrrev_i32_e32 v87, s18, v89
	v_ashrrev_i32_e32 v89, s2, v123
	v_lshlrev_b32_e32 v89, 2, v89
	v_and_b32_e32 v88, 0x3030303, v87
	v_bfe_u32 v87, v87, 24, 2
	v_and_b32_e32 v89, 0x4040404, v89
	v_sub_u16_e32 v122, v88, v89
	v_sub_u16_sdwa v123, v88, v89 dst_sel:BYTE_1 dst_unused:UNUSED_PAD src0_sel:BYTE_1 src1_sel:BYTE_1
	v_sub_u16_sdwa v87, v87, v89 dst_sel:BYTE_1 dst_unused:UNUSED_PAD src0_sel:DWORD src1_sel:BYTE_3
	v_sub_u16_sdwa v88, v88, v89 dst_sel:DWORD dst_unused:UNUSED_PAD src0_sel:WORD_1 src1_sel:WORD_1
	v_or_b32_sdwa v87, v88, v87 dst_sel:WORD_1 dst_unused:UNUSED_PAD src0_sel:BYTE_0 src1_sel:DWORD
	v_add_u32_e32 v88, 0x6700, v79
	v_or_b32_sdwa v122, v122, v123 dst_sel:DWORD dst_unused:UNUSED_PAD src0_sel:BYTE_0 src1_sel:DWORD
	v_add_u32_e32 v88, s28, v88
	v_add3_u32 v89, s19, v104, v105
	v_or_b32_sdwa v87, v122, v87 dst_sel:DWORD dst_unused:UNUSED_PAD src0_sel:WORD_0 src1_sel:DWORD
	ds_read_b32 v122, v89
	v_dot4_i32_i8 v27, v61, v3, v27
	ds_read_u16 v61, v88 offset:2
	v_dot4_i32_i8 v27, v87, v4, v27
	s_waitcnt lgkmcnt(0)
	v_lshrrev_b16_e32 v87, 8, v61
	v_bfe_i32 v61, v61, 0, 8
	v_mul_lo_u32 v88, v26, v61
	v_bfe_i32 v87, v87, 0, 8
	v_mul_f32_e32 v26, v120, v122
	v_add3_u32 v61, s29, v106, v107
	v_mad_u64_u32 v[88:89], s[30:31], v27, v87, v[88:89]
	ds_read2_b32 v[124:125], v61 offset1:1
	ds_read2_b32 v[126:127], v61 offset0:4 offset1:5
	v_cvt_f32_i32_e32 v27, v88
	s_waitcnt lgkmcnt(1)
	v_ashrrev_i32_e32 v87, s2, v124
	v_fmac_f32_e32 v76, v26, v27
	v_add_u32_e32 v26, 0x2100, v121
	ds_read2_b32 v[122:123], v26 offset1:1
	v_lshlrev_b32_e32 v87, 2, v87
	v_and_b32_e32 v87, 0x4040404, v87
	s_waitcnt lgkmcnt(0)
	v_ashrrev_i32_e32 v26, s18, v122
	v_and_b32_e32 v27, 0x3030303, v26
	v_bfe_u32 v26, v26, 24, 2
	v_sub_u16_e32 v88, v27, v87
	v_sub_u16_sdwa v89, v27, v87 dst_sel:BYTE_1 dst_unused:UNUSED_PAD src0_sel:BYTE_1 src1_sel:BYTE_1
	v_sub_u16_sdwa v26, v26, v87 dst_sel:BYTE_1 dst_unused:UNUSED_PAD src0_sel:DWORD src1_sel:BYTE_3
	v_sub_u16_sdwa v27, v27, v87 dst_sel:DWORD dst_unused:UNUSED_PAD src0_sel:WORD_1 src1_sel:WORD_1
	v_or_b32_sdwa v88, v88, v89 dst_sel:DWORD dst_unused:UNUSED_PAD src0_sel:BYTE_0 src1_sel:DWORD
	v_or_b32_sdwa v26, v27, v26 dst_sel:WORD_1 dst_unused:UNUSED_PAD src0_sel:BYTE_0 src1_sel:DWORD
	v_ashrrev_i32_e32 v87, s2, v125
	v_or_b32_sdwa v89, v88, v26 dst_sel:DWORD dst_unused:UNUSED_PAD src0_sel:WORD_0 src1_sel:DWORD
	v_ashrrev_i32_e32 v26, s18, v123
	v_lshlrev_b32_e32 v87, 2, v87
	v_and_b32_e32 v27, 0x3030303, v26
	v_bfe_u32 v26, v26, 24, 2
	v_and_b32_e32 v87, 0x4040404, v87
	v_sub_u16_e32 v88, v27, v87
	v_sub_u16_sdwa v93, v27, v87 dst_sel:BYTE_1 dst_unused:UNUSED_PAD src0_sel:BYTE_1 src1_sel:BYTE_1
	v_sub_u16_sdwa v26, v26, v87 dst_sel:BYTE_1 dst_unused:UNUSED_PAD src0_sel:DWORD src1_sel:BYTE_3
	v_sub_u16_sdwa v27, v27, v87 dst_sel:DWORD dst_unused:UNUSED_PAD src0_sel:WORD_1 src1_sel:WORD_1
	v_or_b32_sdwa v88, v88, v93 dst_sel:DWORD dst_unused:UNUSED_PAD src0_sel:BYTE_0 src1_sel:DWORD
	v_or_b32_sdwa v26, v27, v26 dst_sel:WORD_1 dst_unused:UNUSED_PAD src0_sel:BYTE_0 src1_sel:DWORD
	v_or_b32_sdwa v93, v88, v26 dst_sel:DWORD dst_unused:UNUSED_PAD src0_sel:WORD_0 src1_sel:DWORD
	v_add_u32_e32 v26, 0x2108, v121
	ds_read2_b32 v[122:123], v26 offset1:1
	ds_read2_b32 v[124:125], v61 offset0:2 offset1:3
	s_waitcnt lgkmcnt(1)
	v_ashrrev_i32_e32 v26, s18, v122
	s_waitcnt lgkmcnt(0)
	v_ashrrev_i32_e32 v87, s2, v124
	v_lshlrev_b32_e32 v87, 2, v87
	v_and_b32_e32 v27, 0x3030303, v26
	v_bfe_u32 v26, v26, 24, 2
	v_and_b32_e32 v87, 0x4040404, v87
	v_sub_u16_e32 v88, v27, v87
	v_sub_u16_sdwa v122, v27, v87 dst_sel:BYTE_1 dst_unused:UNUSED_PAD src0_sel:BYTE_1 src1_sel:BYTE_1
	v_sub_u16_sdwa v26, v26, v87 dst_sel:BYTE_1 dst_unused:UNUSED_PAD src0_sel:DWORD src1_sel:BYTE_3
	v_sub_u16_sdwa v27, v27, v87 dst_sel:DWORD dst_unused:UNUSED_PAD src0_sel:WORD_1 src1_sel:WORD_1
	v_or_b32_sdwa v88, v88, v122 dst_sel:DWORD dst_unused:UNUSED_PAD src0_sel:BYTE_0 src1_sel:DWORD
	v_or_b32_sdwa v26, v27, v26 dst_sel:WORD_1 dst_unused:UNUSED_PAD src0_sel:BYTE_0 src1_sel:DWORD
	v_ashrrev_i32_e32 v87, s2, v125
	v_or_b32_sdwa v122, v88, v26 dst_sel:DWORD dst_unused:UNUSED_PAD src0_sel:WORD_0 src1_sel:DWORD
	v_ashrrev_i32_e32 v26, s18, v123
	v_lshlrev_b32_e32 v87, 2, v87
	v_and_b32_e32 v27, 0x3030303, v26
	v_bfe_u32 v26, v26, 24, 2
	v_and_b32_e32 v87, 0x4040404, v87
	v_sub_u16_e32 v88, v27, v87
	v_sub_u16_sdwa v123, v27, v87 dst_sel:BYTE_1 dst_unused:UNUSED_PAD src0_sel:BYTE_1 src1_sel:BYTE_1
	v_sub_u16_sdwa v26, v26, v87 dst_sel:BYTE_1 dst_unused:UNUSED_PAD src0_sel:DWORD src1_sel:BYTE_3
	v_sub_u16_sdwa v27, v27, v87 dst_sel:DWORD dst_unused:UNUSED_PAD src0_sel:WORD_1 src1_sel:WORD_1
	v_or_b32_sdwa v88, v88, v123 dst_sel:DWORD dst_unused:UNUSED_PAD src0_sel:BYTE_0 src1_sel:DWORD
	v_or_b32_sdwa v26, v27, v26 dst_sel:WORD_1 dst_unused:UNUSED_PAD src0_sel:BYTE_0 src1_sel:DWORD
	v_or_b32_sdwa v123, v88, v26 dst_sel:DWORD dst_unused:UNUSED_PAD src0_sel:WORD_0 src1_sel:DWORD
	v_add_u32_e32 v26, 0x2110, v121
	ds_read2_b32 v[124:125], v26 offset1:1
	v_ashrrev_i32_e32 v87, s2, v126
	v_lshlrev_b32_e32 v87, 2, v87
	v_and_b32_e32 v87, 0x4040404, v87
	s_waitcnt lgkmcnt(0)
	v_ashrrev_i32_e32 v26, s18, v124
	v_and_b32_e32 v27, 0x3030303, v26
	v_bfe_u32 v26, v26, 24, 2
	v_sub_u16_e32 v88, v27, v87
	v_sub_u16_sdwa v124, v27, v87 dst_sel:BYTE_1 dst_unused:UNUSED_PAD src0_sel:BYTE_1 src1_sel:BYTE_1
	v_sub_u16_sdwa v26, v26, v87 dst_sel:BYTE_1 dst_unused:UNUSED_PAD src0_sel:DWORD src1_sel:BYTE_3
	v_sub_u16_sdwa v27, v27, v87 dst_sel:DWORD dst_unused:UNUSED_PAD src0_sel:WORD_1 src1_sel:WORD_1
	v_or_b32_sdwa v88, v88, v124 dst_sel:DWORD dst_unused:UNUSED_PAD src0_sel:BYTE_0 src1_sel:DWORD
	v_or_b32_sdwa v26, v27, v26 dst_sel:WORD_1 dst_unused:UNUSED_PAD src0_sel:BYTE_0 src1_sel:DWORD
	v_ashrrev_i32_e32 v87, s2, v127
	v_or_b32_sdwa v124, v88, v26 dst_sel:DWORD dst_unused:UNUSED_PAD src0_sel:WORD_0 src1_sel:DWORD
	v_ashrrev_i32_e32 v26, s18, v125
	v_lshlrev_b32_e32 v87, 2, v87
	v_and_b32_e32 v27, 0x3030303, v26
	v_bfe_u32 v26, v26, 24, 2
	v_and_b32_e32 v87, 0x4040404, v87
	v_sub_u16_e32 v88, v27, v87
	v_sub_u16_sdwa v125, v27, v87 dst_sel:BYTE_1 dst_unused:UNUSED_PAD src0_sel:BYTE_1 src1_sel:BYTE_1
	v_sub_u16_sdwa v26, v26, v87 dst_sel:BYTE_1 dst_unused:UNUSED_PAD src0_sel:DWORD src1_sel:BYTE_3
	v_sub_u16_sdwa v27, v27, v87 dst_sel:DWORD dst_unused:UNUSED_PAD src0_sel:WORD_1 src1_sel:WORD_1
	v_or_b32_sdwa v88, v88, v125 dst_sel:DWORD dst_unused:UNUSED_PAD src0_sel:BYTE_0 src1_sel:DWORD
	v_or_b32_sdwa v26, v27, v26 dst_sel:WORD_1 dst_unused:UNUSED_PAD src0_sel:BYTE_0 src1_sel:DWORD
	v_or_b32_sdwa v125, v88, v26 dst_sel:DWORD dst_unused:UNUSED_PAD src0_sel:WORD_0 src1_sel:DWORD
	v_add_u32_e32 v26, 0x2118, v121
	ds_read2_b32 v[126:127], v26 offset1:1
	ds_read2_b32 v[87:88], v61 offset0:6 offset1:7
	s_waitcnt lgkmcnt(1)
	v_ashrrev_i32_e32 v26, s18, v126
	s_waitcnt lgkmcnt(0)
	v_ashrrev_i32_e32 v61, s2, v87
	v_lshlrev_b32_e32 v61, 2, v61
	v_and_b32_e32 v27, 0x3030303, v26
	v_bfe_u32 v26, v26, 24, 2
	v_and_b32_e32 v61, 0x4040404, v61
	v_sub_u16_e32 v87, v27, v61
	v_sub_u16_sdwa v126, v27, v61 dst_sel:BYTE_1 dst_unused:UNUSED_PAD src0_sel:BYTE_1 src1_sel:BYTE_1
	v_sub_u16_sdwa v26, v26, v61 dst_sel:BYTE_1 dst_unused:UNUSED_PAD src0_sel:DWORD src1_sel:BYTE_3
	v_sub_u16_sdwa v27, v27, v61 dst_sel:DWORD dst_unused:UNUSED_PAD src0_sel:WORD_1 src1_sel:WORD_1
	v_or_b32_sdwa v87, v87, v126 dst_sel:DWORD dst_unused:UNUSED_PAD src0_sel:BYTE_0 src1_sel:DWORD
	v_or_b32_sdwa v26, v27, v26 dst_sel:WORD_1 dst_unused:UNUSED_PAD src0_sel:BYTE_0 src1_sel:DWORD
	v_ashrrev_i32_e32 v61, s2, v88
	v_or_b32_sdwa v126, v87, v26 dst_sel:DWORD dst_unused:UNUSED_PAD src0_sel:WORD_0 src1_sel:DWORD
	v_ashrrev_i32_e32 v26, s18, v127
	v_lshlrev_b32_e32 v61, 2, v61
	v_and_b32_e32 v27, 0x3030303, v26
	v_bfe_u32 v26, v26, 24, 2
	v_and_b32_e32 v61, 0x4040404, v61
	v_sub_u16_e32 v87, v27, v61
	v_sub_u16_sdwa v88, v27, v61 dst_sel:BYTE_1 dst_unused:UNUSED_PAD src0_sel:BYTE_1 src1_sel:BYTE_1
	v_sub_u16_sdwa v26, v26, v61 dst_sel:BYTE_1 dst_unused:UNUSED_PAD src0_sel:DWORD src1_sel:BYTE_3
	v_sub_u16_sdwa v27, v27, v61 dst_sel:DWORD dst_unused:UNUSED_PAD src0_sel:WORD_1 src1_sel:WORD_1
	v_or_b32_sdwa v87, v87, v88 dst_sel:DWORD dst_unused:UNUSED_PAD src0_sel:BYTE_0 src1_sel:DWORD
	v_or_b32_sdwa v26, v27, v26 dst_sel:WORD_1 dst_unused:UNUSED_PAD src0_sel:BYTE_0 src1_sel:DWORD
	v_or_b32_sdwa v127, v87, v26 dst_sel:DWORD dst_unused:UNUSED_PAD src0_sel:WORD_0 src1_sel:DWORD
	v_add_u32_e32 v26, 0x6b00, v78
	v_add_u32_e32 v26, s28, v26
	v_add3_u32 v27, s19, v108, v109
	ds_read_b32 v27, v27
	ds_read_u16 v26, v26 offset:2
	v_dot4_i32_i8 v61, v89, v5, 0
	v_dot4_i32_i8 v87, v124, v1, 0
	;; [unrolled: 1-line block ×8, first 2 shown]
	s_waitcnt lgkmcnt(0)
	v_lshrrev_b16_e32 v87, 8, v26
	v_bfe_i32 v26, v26, 0, 8
	v_bfe_i32 v89, v87, 0, 8
	v_mul_lo_u32 v87, v61, v26
	v_mul_f32_e32 v26, v120, v27
	v_add3_u32 v61, s29, v110, v111
	ds_read2_b32 v[122:123], v61 offset1:1
	v_mad_u64_u32 v[87:88], s[30:31], v88, v89, v[87:88]
	ds_read2_b32 v[124:125], v61 offset0:2 offset1:3
	ds_read2_b32 v[126:127], v61 offset0:4 offset1:5
	v_cvt_f32_i32_e32 v27, v87
	v_fmac_f32_e32 v75, v26, v27
	v_add_u32_e32 v26, 0x3180, v121
	ds_read2_b32 v[87:88], v26 offset1:1
	s_waitcnt lgkmcnt(0)
	v_ashrrev_i32_e32 v26, s18, v87
	v_ashrrev_i32_e32 v87, s2, v122
	v_lshlrev_b32_e32 v87, 2, v87
	v_and_b32_e32 v27, 0x3030303, v26
	v_bfe_u32 v26, v26, 24, 2
	v_and_b32_e32 v87, 0x4040404, v87
	v_sub_u16_e32 v89, v27, v87
	v_sub_u16_sdwa v93, v27, v87 dst_sel:BYTE_1 dst_unused:UNUSED_PAD src0_sel:BYTE_1 src1_sel:BYTE_1
	v_sub_u16_sdwa v26, v26, v87 dst_sel:BYTE_1 dst_unused:UNUSED_PAD src0_sel:DWORD src1_sel:BYTE_3
	v_sub_u16_sdwa v27, v27, v87 dst_sel:DWORD dst_unused:UNUSED_PAD src0_sel:WORD_1 src1_sel:WORD_1
	v_or_b32_sdwa v89, v89, v93 dst_sel:DWORD dst_unused:UNUSED_PAD src0_sel:BYTE_0 src1_sel:DWORD
	v_or_b32_sdwa v26, v27, v26 dst_sel:WORD_1 dst_unused:UNUSED_PAD src0_sel:BYTE_0 src1_sel:DWORD
	v_ashrrev_i32_e32 v87, s2, v123
	v_or_b32_sdwa v122, v89, v26 dst_sel:DWORD dst_unused:UNUSED_PAD src0_sel:WORD_0 src1_sel:DWORD
	v_ashrrev_i32_e32 v26, s18, v88
	v_lshlrev_b32_e32 v87, 2, v87
	v_and_b32_e32 v27, 0x3030303, v26
	v_bfe_u32 v26, v26, 24, 2
	v_and_b32_e32 v87, 0x4040404, v87
	v_sub_u16_e32 v88, v27, v87
	v_sub_u16_sdwa v89, v27, v87 dst_sel:BYTE_1 dst_unused:UNUSED_PAD src0_sel:BYTE_1 src1_sel:BYTE_1
	v_sub_u16_sdwa v26, v26, v87 dst_sel:BYTE_1 dst_unused:UNUSED_PAD src0_sel:DWORD src1_sel:BYTE_3
	v_sub_u16_sdwa v27, v27, v87 dst_sel:DWORD dst_unused:UNUSED_PAD src0_sel:WORD_1 src1_sel:WORD_1
	v_or_b32_sdwa v88, v88, v89 dst_sel:DWORD dst_unused:UNUSED_PAD src0_sel:BYTE_0 src1_sel:DWORD
	v_or_b32_sdwa v26, v27, v26 dst_sel:WORD_1 dst_unused:UNUSED_PAD src0_sel:BYTE_0 src1_sel:DWORD
	v_or_b32_sdwa v123, v88, v26 dst_sel:DWORD dst_unused:UNUSED_PAD src0_sel:WORD_0 src1_sel:DWORD
	v_add_u32_e32 v26, 0x3188, v121
	ds_read2_b32 v[87:88], v26 offset1:1
	v_dot4_i32_i8 v5, v122, v5, 0
	v_dot4_i32_i8 v5, v123, v6, v5
	s_waitcnt lgkmcnt(0)
	v_ashrrev_i32_e32 v26, s18, v87
	v_ashrrev_i32_e32 v87, s2, v124
	v_lshlrev_b32_e32 v87, 2, v87
	v_and_b32_e32 v27, 0x3030303, v26
	v_bfe_u32 v26, v26, 24, 2
	v_and_b32_e32 v87, 0x4040404, v87
	v_sub_u16_e32 v89, v27, v87
	v_sub_u16_sdwa v93, v27, v87 dst_sel:BYTE_1 dst_unused:UNUSED_PAD src0_sel:BYTE_1 src1_sel:BYTE_1
	v_sub_u16_sdwa v26, v26, v87 dst_sel:BYTE_1 dst_unused:UNUSED_PAD src0_sel:DWORD src1_sel:BYTE_3
	v_sub_u16_sdwa v27, v27, v87 dst_sel:DWORD dst_unused:UNUSED_PAD src0_sel:WORD_1 src1_sel:WORD_1
	v_or_b32_sdwa v89, v89, v93 dst_sel:DWORD dst_unused:UNUSED_PAD src0_sel:BYTE_0 src1_sel:DWORD
	v_or_b32_sdwa v26, v27, v26 dst_sel:WORD_1 dst_unused:UNUSED_PAD src0_sel:BYTE_0 src1_sel:DWORD
	v_ashrrev_i32_e32 v87, s2, v125
	v_or_b32_sdwa v124, v89, v26 dst_sel:DWORD dst_unused:UNUSED_PAD src0_sel:WORD_0 src1_sel:DWORD
	v_ashrrev_i32_e32 v26, s18, v88
	v_lshlrev_b32_e32 v87, 2, v87
	v_and_b32_e32 v27, 0x3030303, v26
	v_bfe_u32 v26, v26, 24, 2
	v_and_b32_e32 v87, 0x4040404, v87
	v_sub_u16_e32 v88, v27, v87
	v_sub_u16_sdwa v89, v27, v87 dst_sel:BYTE_1 dst_unused:UNUSED_PAD src0_sel:BYTE_1 src1_sel:BYTE_1
	v_sub_u16_sdwa v26, v26, v87 dst_sel:BYTE_1 dst_unused:UNUSED_PAD src0_sel:DWORD src1_sel:BYTE_3
	v_sub_u16_sdwa v27, v27, v87 dst_sel:DWORD dst_unused:UNUSED_PAD src0_sel:WORD_1 src1_sel:WORD_1
	v_or_b32_sdwa v88, v88, v89 dst_sel:DWORD dst_unused:UNUSED_PAD src0_sel:BYTE_0 src1_sel:DWORD
	v_or_b32_sdwa v26, v27, v26 dst_sel:WORD_1 dst_unused:UNUSED_PAD src0_sel:BYTE_0 src1_sel:DWORD
	v_or_b32_sdwa v125, v88, v26 dst_sel:DWORD dst_unused:UNUSED_PAD src0_sel:WORD_0 src1_sel:DWORD
	v_add_u32_e32 v26, 0x3190, v121
	ds_read2_b32 v[87:88], v26 offset1:1
	v_dot4_i32_i8 v5, v124, v7, v5
	v_dot4_i32_i8 v5, v125, v8, v5
	;; [unrolled: 31-line block ×3, first 2 shown]
	s_waitcnt lgkmcnt(0)
	v_ashrrev_i32_e32 v26, s18, v87
	v_and_b32_e32 v87, 0x3030303, v26
	v_bfe_u32 v89, v26, 24, 2
	ds_read2_b32 v[26:27], v61 offset0:6 offset1:7
	s_waitcnt lgkmcnt(0)
	v_ashrrev_i32_e32 v26, s2, v26
	v_lshlrev_b32_e32 v26, 2, v26
	v_and_b32_e32 v26, 0x4040404, v26
	v_sub_u16_e32 v61, v87, v26
	v_sub_u16_sdwa v93, v87, v26 dst_sel:BYTE_1 dst_unused:UNUSED_PAD src0_sel:BYTE_1 src1_sel:BYTE_1
	v_sub_u16_sdwa v89, v89, v26 dst_sel:BYTE_1 dst_unused:UNUSED_PAD src0_sel:DWORD src1_sel:BYTE_3
	v_sub_u16_sdwa v26, v87, v26 dst_sel:DWORD dst_unused:UNUSED_PAD src0_sel:WORD_1 src1_sel:WORD_1
	v_or_b32_sdwa v61, v61, v93 dst_sel:DWORD dst_unused:UNUSED_PAD src0_sel:BYTE_0 src1_sel:DWORD
	v_or_b32_sdwa v26, v26, v89 dst_sel:WORD_1 dst_unused:UNUSED_PAD src0_sel:BYTE_0 src1_sel:DWORD
	v_ashrrev_i32_e32 v27, s2, v27
	v_or_b32_sdwa v121, v61, v26 dst_sel:DWORD dst_unused:UNUSED_PAD src0_sel:WORD_0 src1_sel:DWORD
	v_ashrrev_i32_e32 v26, s18, v88
	v_lshlrev_b32_e32 v27, 2, v27
	v_and_b32_e32 v61, 0x3030303, v26
	v_bfe_u32 v26, v26, 24, 2
	v_and_b32_e32 v27, 0x4040404, v27
	v_sub_u16_e32 v87, v61, v27
	v_sub_u16_sdwa v88, v61, v27 dst_sel:BYTE_1 dst_unused:UNUSED_PAD src0_sel:BYTE_1 src1_sel:BYTE_1
	v_sub_u16_sdwa v26, v26, v27 dst_sel:BYTE_1 dst_unused:UNUSED_PAD src0_sel:DWORD src1_sel:BYTE_3
	v_sub_u16_sdwa v27, v61, v27 dst_sel:DWORD dst_unused:UNUSED_PAD src0_sel:WORD_1 src1_sel:WORD_1
	v_or_b32_sdwa v87, v87, v88 dst_sel:DWORD dst_unused:UNUSED_PAD src0_sel:BYTE_0 src1_sel:DWORD
	v_or_b32_sdwa v26, v27, v26 dst_sel:WORD_1 dst_unused:UNUSED_PAD src0_sel:BYTE_0 src1_sel:DWORD
	v_add_u32_e32 v89, 0x6f00, v77
	v_or_b32_sdwa v93, v87, v26 dst_sel:DWORD dst_unused:UNUSED_PAD src0_sel:WORD_0 src1_sel:DWORD
	v_add_u32_e32 v88, s28, v89
	v_add3_u32 v26, s19, v112, v113
	v_dot4_i32_i8 v1, v121, v3, v1
	ds_read_b32 v89, v26
	v_dot4_i32_i8 v2, v93, v4, v1
	ds_read_u16 v1, v88 offset:2
	s_add_i32 s2, s2, 1
	s_cmp_lt_u32 s18, 6
	s_mov_b32 s19, s18
	s_waitcnt lgkmcnt(0)
	v_lshrrev_b16_e32 v3, 8, v1
	v_bfe_i32 v1, v1, 0, 8
	v_mul_lo_u32 v1, v5, v1
	v_bfe_i32 v3, v3, 0, 8
	v_mad_u64_u32 v[1:2], s[28:29], v2, v3, v[1:2]
	v_mul_f32_e32 v2, v120, v89
	v_cvt_f32_i32_e32 v1, v1
	v_fmac_f32_e32 v25, v2, v1
	s_cbranch_scc1 .LBB230_11
; %bb.12:                               ;   in Loop: Header=BB230_5 Depth=1
	s_or_b32 s2, s26, 0x80
	s_cmp_ge_i32 s2, s9
	s_barrier
	s_cbranch_scc1 .LBB230_4
; %bb.13:                               ;   in Loop: Header=BB230_5 Depth=1
	v_add_u32_e32 v1, s27, v28
	v_cmp_gt_i32_e64 s[2:3], s12, v1
	s_and_b64 s[18:19], s[0:1], s[2:3]
	s_and_saveexec_b64 s[2:3], s[18:19]
	s_cbranch_execz .LBB230_15
; %bb.14:                               ;   in Loop: Header=BB230_5 Depth=1
	buffer_load_dword v2, off, s[36:39], 0  ; 4-byte Folded Reload
	buffer_load_dword v3, off, s[36:39], 0 offset:4 ; 4-byte Folded Reload
	v_add_u32_e32 v1, v90, v1
	s_waitcnt vmcnt(0)
	v_mad_i64_i32 v[1:2], s[18:19], v1, 36, v[2:3]
	global_load_dword v1, v[1:2], off offset:4
	s_waitcnt vmcnt(0)
	ds_write_b32 v72, v1
.LBB230_15:                             ;   in Loop: Header=BB230_5 Depth=1
	s_or_b64 exec, exec, s[2:3]
	s_and_saveexec_b64 s[18:19], vcc
	s_cbranch_execz .LBB230_18
; %bb.16:                               ;   in Loop: Header=BB230_5 Depth=1
	v_or_b32_e32 v1, 4, v117
	v_cmp_gt_i32_e64 s[2:3], s12, v1
	s_and_b64 s[2:3], s[0:1], s[2:3]
	s_and_b64 exec, exec, s[2:3]
	s_cbranch_execz .LBB230_18
; %bb.17:                               ;   in Loop: Header=BB230_5 Depth=1
	v_ashrrev_i32_e32 v1, 31, v117
	v_add_co_u32_e64 v2, s[2:3], v90, v117
	v_ashrrev_i32_e32 v3, 31, v90
	v_addc_co_u32_e64 v3, s[2:3], v3, v1, s[2:3]
	v_mad_u64_u32 v[1:2], s[2:3], v2, 36, s[6:7]
	v_mad_i32_i24 v2, v3, 36, v2
	global_load_dword v1, v[1:2], off offset:144
	s_waitcnt vmcnt(0)
	v_cvt_f32_f16_e32 v1, v1
	ds_write_b32 v74, v1
.LBB230_18:                             ;   in Loop: Header=BB230_5 Depth=1
	s_or_b64 exec, exec, s[18:19]
	s_mov_b32 s2, 8
	s_mov_b32 s19, 6
	;; [unrolled: 1-line block ×3, first 2 shown]
	v_mov_b32_e32 v118, v71
	v_mov_b32_e32 v119, v73
	s_waitcnt lgkmcnt(0)
	s_barrier
.LBB230_19:                             ;   Parent Loop BB230_5 Depth=1
                                        ; =>  This Inner Loop Header: Depth=2
	s_add_i32 s18, s19, 2
	s_lshr_b32 s31, s18, 4
	s_and_b32 s30, s18, 0x3ffffff8
	v_lshl_add_u32 v121, s30, 2, v91
	s_lshl_b32 s30, s31, 5
	s_addk_i32 s30, 0x4200
	v_add3_u32 v126, s30, v114, v101
	ds_read_b32 v120, v119
	ds_read_b128 v[5:8], v118
	ds_read_b128 v[1:4], v118 offset:16
	ds_read2_b32 v[26:27], v121 offset1:1
	ds_read2_b32 v[87:88], v126 offset1:1
	s_add_i32 s29, s19, -6
	s_and_b32 s28, s2, -16
	s_add_i32 s28, s19, s28
	s_waitcnt lgkmcnt(1)
	v_ashrrev_i32_e32 v26, s29, v26
	s_waitcnt lgkmcnt(0)
	v_ashrrev_i32_e32 v87, s3, v87
	v_lshlrev_b32_e32 v87, 2, v87
	v_and_b32_e32 v61, 0x3030303, v26
	v_bfe_u32 v26, v26, 24, 2
	v_and_b32_e32 v87, 0x4040404, v87
	v_sub_u16_e32 v89, v61, v87
	v_sub_u16_sdwa v93, v61, v87 dst_sel:BYTE_1 dst_unused:UNUSED_PAD src0_sel:BYTE_1 src1_sel:BYTE_1
	v_sub_u16_sdwa v26, v26, v87 dst_sel:BYTE_1 dst_unused:UNUSED_PAD src0_sel:DWORD src1_sel:BYTE_3
	v_sub_u16_sdwa v61, v61, v87 dst_sel:DWORD dst_unused:UNUSED_PAD src0_sel:WORD_1 src1_sel:WORD_1
	v_or_b32_sdwa v89, v89, v93 dst_sel:DWORD dst_unused:UNUSED_PAD src0_sel:BYTE_0 src1_sel:DWORD
	v_or_b32_sdwa v26, v61, v26 dst_sel:WORD_1 dst_unused:UNUSED_PAD src0_sel:BYTE_0 src1_sel:DWORD
	v_ashrrev_i32_e32 v61, s3, v88
	v_or_b32_sdwa v93, v89, v26 dst_sel:DWORD dst_unused:UNUSED_PAD src0_sel:WORD_0 src1_sel:DWORD
	v_ashrrev_i32_e32 v26, s29, v27
	v_lshlrev_b32_e32 v61, 2, v61
	v_and_b32_e32 v27, 0x3030303, v26
	v_bfe_u32 v26, v26, 24, 2
	v_and_b32_e32 v61, 0x4040404, v61
	v_sub_u16_e32 v87, v27, v61
	v_sub_u16_sdwa v88, v27, v61 dst_sel:BYTE_1 dst_unused:UNUSED_PAD src0_sel:BYTE_1 src1_sel:BYTE_1
	v_sub_u16_sdwa v26, v26, v61 dst_sel:BYTE_1 dst_unused:UNUSED_PAD src0_sel:DWORD src1_sel:BYTE_3
	v_sub_u16_sdwa v27, v27, v61 dst_sel:DWORD dst_unused:UNUSED_PAD src0_sel:WORD_1 src1_sel:WORD_1
	v_or_b32_sdwa v87, v87, v88 dst_sel:DWORD dst_unused:UNUSED_PAD src0_sel:BYTE_0 src1_sel:DWORD
	v_or_b32_sdwa v26, v27, v26 dst_sel:WORD_1 dst_unused:UNUSED_PAD src0_sel:BYTE_0 src1_sel:DWORD
	v_or_b32_sdwa v122, v87, v26 dst_sel:DWORD dst_unused:UNUSED_PAD src0_sel:WORD_0 src1_sel:DWORD
	ds_read2_b32 v[26:27], v121 offset0:2 offset1:3
	ds_read2_b32 v[87:88], v126 offset0:2 offset1:3
	s_lshl_b32 s19, s31, 2
	s_addk_i32 s19, 0x7380
	s_add_i32 s2, s2, 2
	s_waitcnt lgkmcnt(1)
	v_ashrrev_i32_e32 v26, s29, v26
	s_waitcnt lgkmcnt(0)
	v_ashrrev_i32_e32 v87, s3, v87
	v_lshlrev_b32_e32 v87, 2, v87
	v_and_b32_e32 v61, 0x3030303, v26
	v_bfe_u32 v26, v26, 24, 2
	v_and_b32_e32 v87, 0x4040404, v87
	v_sub_u16_e32 v89, v61, v87
	v_sub_u16_sdwa v123, v61, v87 dst_sel:BYTE_1 dst_unused:UNUSED_PAD src0_sel:BYTE_1 src1_sel:BYTE_1
	v_sub_u16_sdwa v26, v26, v87 dst_sel:BYTE_1 dst_unused:UNUSED_PAD src0_sel:DWORD src1_sel:BYTE_3
	v_sub_u16_sdwa v61, v61, v87 dst_sel:DWORD dst_unused:UNUSED_PAD src0_sel:WORD_1 src1_sel:WORD_1
	v_or_b32_sdwa v89, v89, v123 dst_sel:DWORD dst_unused:UNUSED_PAD src0_sel:BYTE_0 src1_sel:DWORD
	v_or_b32_sdwa v26, v61, v26 dst_sel:WORD_1 dst_unused:UNUSED_PAD src0_sel:BYTE_0 src1_sel:DWORD
	v_ashrrev_i32_e32 v61, s3, v88
	v_or_b32_sdwa v123, v89, v26 dst_sel:DWORD dst_unused:UNUSED_PAD src0_sel:WORD_0 src1_sel:DWORD
	v_ashrrev_i32_e32 v26, s29, v27
	v_lshlrev_b32_e32 v61, 2, v61
	v_and_b32_e32 v27, 0x3030303, v26
	v_bfe_u32 v26, v26, 24, 2
	v_and_b32_e32 v61, 0x4040404, v61
	v_sub_u16_e32 v87, v27, v61
	v_sub_u16_sdwa v88, v27, v61 dst_sel:BYTE_1 dst_unused:UNUSED_PAD src0_sel:BYTE_1 src1_sel:BYTE_1
	v_sub_u16_sdwa v26, v26, v61 dst_sel:BYTE_1 dst_unused:UNUSED_PAD src0_sel:DWORD src1_sel:BYTE_3
	v_sub_u16_sdwa v27, v27, v61 dst_sel:DWORD dst_unused:UNUSED_PAD src0_sel:WORD_1 src1_sel:WORD_1
	v_or_b32_sdwa v87, v87, v88 dst_sel:DWORD dst_unused:UNUSED_PAD src0_sel:BYTE_0 src1_sel:DWORD
	v_or_b32_sdwa v26, v27, v26 dst_sel:WORD_1 dst_unused:UNUSED_PAD src0_sel:BYTE_0 src1_sel:DWORD
	v_or_b32_sdwa v89, v87, v26 dst_sel:DWORD dst_unused:UNUSED_PAD src0_sel:WORD_0 src1_sel:DWORD
	ds_read2_b32 v[26:27], v121 offset0:4 offset1:5
	ds_read2_b32 v[87:88], v126 offset0:4 offset1:5
	v_add_u32_e32 v119, 4, v119
	v_add_u32_e32 v118, 32, v118
	s_waitcnt lgkmcnt(1)
	v_ashrrev_i32_e32 v26, s29, v26
	s_waitcnt lgkmcnt(0)
	v_ashrrev_i32_e32 v87, s3, v87
	v_lshlrev_b32_e32 v87, 2, v87
	v_and_b32_e32 v61, 0x3030303, v26
	v_bfe_u32 v26, v26, 24, 2
	v_and_b32_e32 v87, 0x4040404, v87
	v_sub_u16_e32 v124, v61, v87
	v_sub_u16_sdwa v125, v61, v87 dst_sel:BYTE_1 dst_unused:UNUSED_PAD src0_sel:BYTE_1 src1_sel:BYTE_1
	v_sub_u16_sdwa v26, v26, v87 dst_sel:BYTE_1 dst_unused:UNUSED_PAD src0_sel:DWORD src1_sel:BYTE_3
	v_sub_u16_sdwa v61, v61, v87 dst_sel:DWORD dst_unused:UNUSED_PAD src0_sel:WORD_1 src1_sel:WORD_1
	v_or_b32_sdwa v124, v124, v125 dst_sel:DWORD dst_unused:UNUSED_PAD src0_sel:BYTE_0 src1_sel:DWORD
	v_or_b32_sdwa v26, v61, v26 dst_sel:WORD_1 dst_unused:UNUSED_PAD src0_sel:BYTE_0 src1_sel:DWORD
	v_ashrrev_i32_e32 v61, s3, v88
	v_or_b32_sdwa v124, v124, v26 dst_sel:DWORD dst_unused:UNUSED_PAD src0_sel:WORD_0 src1_sel:DWORD
	v_ashrrev_i32_e32 v26, s29, v27
	v_lshlrev_b32_e32 v61, 2, v61
	v_and_b32_e32 v27, 0x3030303, v26
	v_bfe_u32 v26, v26, 24, 2
	v_and_b32_e32 v61, 0x4040404, v61
	v_sub_u16_e32 v87, v27, v61
	v_sub_u16_sdwa v88, v27, v61 dst_sel:BYTE_1 dst_unused:UNUSED_PAD src0_sel:BYTE_1 src1_sel:BYTE_1
	v_sub_u16_sdwa v26, v26, v61 dst_sel:BYTE_1 dst_unused:UNUSED_PAD src0_sel:DWORD src1_sel:BYTE_3
	v_sub_u16_sdwa v27, v27, v61 dst_sel:DWORD dst_unused:UNUSED_PAD src0_sel:WORD_1 src1_sel:WORD_1
	v_or_b32_sdwa v87, v87, v88 dst_sel:DWORD dst_unused:UNUSED_PAD src0_sel:BYTE_0 src1_sel:DWORD
	v_or_b32_sdwa v26, v27, v26 dst_sel:WORD_1 dst_unused:UNUSED_PAD src0_sel:BYTE_0 src1_sel:DWORD
	v_or_b32_sdwa v125, v87, v26 dst_sel:DWORD dst_unused:UNUSED_PAD src0_sel:WORD_0 src1_sel:DWORD
	ds_read2_b32 v[26:27], v121 offset0:6 offset1:7
	ds_read2_b32 v[87:88], v126 offset0:6 offset1:7
	s_waitcnt lgkmcnt(1)
	v_ashrrev_i32_e32 v26, s29, v26
	s_waitcnt lgkmcnt(0)
	v_ashrrev_i32_e32 v87, s3, v87
	v_lshlrev_b32_e32 v87, 2, v87
	v_and_b32_e32 v61, 0x3030303, v26
	v_bfe_u32 v26, v26, 24, 2
	v_and_b32_e32 v87, 0x4040404, v87
	v_sub_u16_e32 v126, v61, v87
	v_sub_u16_sdwa v127, v61, v87 dst_sel:BYTE_1 dst_unused:UNUSED_PAD src0_sel:BYTE_1 src1_sel:BYTE_1
	v_sub_u16_sdwa v26, v26, v87 dst_sel:BYTE_1 dst_unused:UNUSED_PAD src0_sel:DWORD src1_sel:BYTE_3
	v_sub_u16_sdwa v61, v61, v87 dst_sel:DWORD dst_unused:UNUSED_PAD src0_sel:WORD_1 src1_sel:WORD_1
	v_or_b32_sdwa v126, v126, v127 dst_sel:DWORD dst_unused:UNUSED_PAD src0_sel:BYTE_0 src1_sel:DWORD
	v_or_b32_sdwa v26, v61, v26 dst_sel:WORD_1 dst_unused:UNUSED_PAD src0_sel:BYTE_0 src1_sel:DWORD
	v_ashrrev_i32_e32 v61, s3, v88
	v_or_b32_sdwa v126, v126, v26 dst_sel:DWORD dst_unused:UNUSED_PAD src0_sel:WORD_0 src1_sel:DWORD
	v_ashrrev_i32_e32 v26, s29, v27
	v_lshlrev_b32_e32 v61, 2, v61
	v_and_b32_e32 v27, 0x3030303, v26
	v_bfe_u32 v26, v26, 24, 2
	v_and_b32_e32 v61, 0x4040404, v61
	v_sub_u16_e32 v87, v27, v61
	v_sub_u16_sdwa v88, v27, v61 dst_sel:BYTE_1 dst_unused:UNUSED_PAD src0_sel:BYTE_1 src1_sel:BYTE_1
	v_sub_u16_sdwa v26, v26, v61 dst_sel:BYTE_1 dst_unused:UNUSED_PAD src0_sel:DWORD src1_sel:BYTE_3
	v_sub_u16_sdwa v27, v27, v61 dst_sel:DWORD dst_unused:UNUSED_PAD src0_sel:WORD_1 src1_sel:WORD_1
	v_or_b32_sdwa v87, v87, v88 dst_sel:DWORD dst_unused:UNUSED_PAD src0_sel:BYTE_0 src1_sel:DWORD
	v_or_b32_sdwa v26, v27, v26 dst_sel:WORD_1 dst_unused:UNUSED_PAD src0_sel:BYTE_0 src1_sel:DWORD
	v_or_b32_sdwa v127, v87, v26 dst_sel:DWORD dst_unused:UNUSED_PAD src0_sel:WORD_0 src1_sel:DWORD
	v_add_u32_e32 v26, s28, v80
	v_add3_u32 v27, s19, v115, v116
	ds_read_b32 v61, v27
	ds_read_u16 v26, v26 offset:25346
	v_dot4_i32_i8 v27, v93, v5, 0
	v_dot4_i32_i8 v27, v122, v6, v27
	;; [unrolled: 1-line block ×4, first 2 shown]
	s_waitcnt lgkmcnt(0)
	v_lshrrev_b16_e32 v88, 8, v26
	v_bfe_i32 v26, v26, 0, 8
	v_dot4_i32_i8 v87, v124, v1, 0
	v_mul_lo_u32 v26, v27, v26
	v_dot4_i32_i8 v87, v125, v2, v87
	v_dot4_i32_i8 v87, v126, v3, v87
	;; [unrolled: 1-line block ×3, first 2 shown]
	v_bfe_i32 v88, v88, 0, 8
                                        ; kill: def $vgpr27 killed $sgpr0 killed $exec
	v_add3_u32 v126, s30, v102, v103
	v_mad_u64_u32 v[26:27], s[34:35], v87, v88, v[26:27]
	v_mul_f32_e32 v27, v120, v61
	ds_read2_b32 v[87:88], v126 offset1:1
	v_cvt_f32_i32_e32 v26, v26
	v_fmac_f32_e32 v29, v27, v26
	v_add_u32_e32 v26, 0x1080, v121
	ds_read2_b32 v[26:27], v26 offset1:1
	s_waitcnt lgkmcnt(1)
	v_ashrrev_i32_e32 v87, s3, v87
	v_lshlrev_b32_e32 v87, 2, v87
	v_and_b32_e32 v87, 0x4040404, v87
	s_waitcnt lgkmcnt(0)
	v_ashrrev_i32_e32 v26, s29, v26
	v_and_b32_e32 v61, 0x3030303, v26
	v_bfe_u32 v26, v26, 24, 2
	v_sub_u16_e32 v89, v61, v87
	v_sub_u16_sdwa v93, v61, v87 dst_sel:BYTE_1 dst_unused:UNUSED_PAD src0_sel:BYTE_1 src1_sel:BYTE_1
	v_sub_u16_sdwa v26, v26, v87 dst_sel:BYTE_1 dst_unused:UNUSED_PAD src0_sel:DWORD src1_sel:BYTE_3
	v_sub_u16_sdwa v61, v61, v87 dst_sel:DWORD dst_unused:UNUSED_PAD src0_sel:WORD_1 src1_sel:WORD_1
	v_or_b32_sdwa v89, v89, v93 dst_sel:DWORD dst_unused:UNUSED_PAD src0_sel:BYTE_0 src1_sel:DWORD
	v_or_b32_sdwa v26, v61, v26 dst_sel:WORD_1 dst_unused:UNUSED_PAD src0_sel:BYTE_0 src1_sel:DWORD
	v_ashrrev_i32_e32 v61, s3, v88
	v_or_b32_sdwa v89, v89, v26 dst_sel:DWORD dst_unused:UNUSED_PAD src0_sel:WORD_0 src1_sel:DWORD
	v_ashrrev_i32_e32 v26, s29, v27
	v_lshlrev_b32_e32 v61, 2, v61
	v_and_b32_e32 v27, 0x3030303, v26
	v_bfe_u32 v26, v26, 24, 2
	v_and_b32_e32 v61, 0x4040404, v61
	v_sub_u16_e32 v87, v27, v61
	v_sub_u16_sdwa v88, v27, v61 dst_sel:BYTE_1 dst_unused:UNUSED_PAD src0_sel:BYTE_1 src1_sel:BYTE_1
	v_sub_u16_sdwa v26, v26, v61 dst_sel:BYTE_1 dst_unused:UNUSED_PAD src0_sel:DWORD src1_sel:BYTE_3
	v_sub_u16_sdwa v27, v27, v61 dst_sel:DWORD dst_unused:UNUSED_PAD src0_sel:WORD_1 src1_sel:WORD_1
	v_or_b32_sdwa v87, v87, v88 dst_sel:DWORD dst_unused:UNUSED_PAD src0_sel:BYTE_0 src1_sel:DWORD
	v_or_b32_sdwa v26, v27, v26 dst_sel:WORD_1 dst_unused:UNUSED_PAD src0_sel:BYTE_0 src1_sel:DWORD
	v_or_b32_sdwa v93, v87, v26 dst_sel:DWORD dst_unused:UNUSED_PAD src0_sel:WORD_0 src1_sel:DWORD
	v_add_u32_e32 v26, 0x1088, v121
	ds_read2_b32 v[26:27], v26 offset1:1
	ds_read2_b32 v[87:88], v126 offset0:2 offset1:3
	s_waitcnt lgkmcnt(1)
	v_ashrrev_i32_e32 v26, s29, v26
	s_waitcnt lgkmcnt(0)
	v_ashrrev_i32_e32 v87, s3, v87
	v_lshlrev_b32_e32 v87, 2, v87
	v_and_b32_e32 v61, 0x3030303, v26
	v_bfe_u32 v26, v26, 24, 2
	v_and_b32_e32 v87, 0x4040404, v87
	v_sub_u16_e32 v122, v61, v87
	v_sub_u16_sdwa v123, v61, v87 dst_sel:BYTE_1 dst_unused:UNUSED_PAD src0_sel:BYTE_1 src1_sel:BYTE_1
	v_sub_u16_sdwa v26, v26, v87 dst_sel:BYTE_1 dst_unused:UNUSED_PAD src0_sel:DWORD src1_sel:BYTE_3
	v_sub_u16_sdwa v61, v61, v87 dst_sel:DWORD dst_unused:UNUSED_PAD src0_sel:WORD_1 src1_sel:WORD_1
	v_or_b32_sdwa v122, v122, v123 dst_sel:DWORD dst_unused:UNUSED_PAD src0_sel:BYTE_0 src1_sel:DWORD
	v_or_b32_sdwa v26, v61, v26 dst_sel:WORD_1 dst_unused:UNUSED_PAD src0_sel:BYTE_0 src1_sel:DWORD
	v_ashrrev_i32_e32 v61, s3, v88
	v_or_b32_sdwa v122, v122, v26 dst_sel:DWORD dst_unused:UNUSED_PAD src0_sel:WORD_0 src1_sel:DWORD
	v_ashrrev_i32_e32 v26, s29, v27
	v_lshlrev_b32_e32 v61, 2, v61
	v_and_b32_e32 v27, 0x3030303, v26
	v_bfe_u32 v26, v26, 24, 2
	v_and_b32_e32 v61, 0x4040404, v61
	v_sub_u16_e32 v87, v27, v61
	v_sub_u16_sdwa v88, v27, v61 dst_sel:BYTE_1 dst_unused:UNUSED_PAD src0_sel:BYTE_1 src1_sel:BYTE_1
	v_sub_u16_sdwa v26, v26, v61 dst_sel:BYTE_1 dst_unused:UNUSED_PAD src0_sel:DWORD src1_sel:BYTE_3
	v_sub_u16_sdwa v27, v27, v61 dst_sel:DWORD dst_unused:UNUSED_PAD src0_sel:WORD_1 src1_sel:WORD_1
	v_or_b32_sdwa v87, v87, v88 dst_sel:DWORD dst_unused:UNUSED_PAD src0_sel:BYTE_0 src1_sel:DWORD
	v_or_b32_sdwa v26, v27, v26 dst_sel:WORD_1 dst_unused:UNUSED_PAD src0_sel:BYTE_0 src1_sel:DWORD
	v_or_b32_sdwa v123, v87, v26 dst_sel:DWORD dst_unused:UNUSED_PAD src0_sel:WORD_0 src1_sel:DWORD
	v_add_u32_e32 v26, 0x1090, v121
	ds_read2_b32 v[26:27], v26 offset1:1
	ds_read2_b32 v[87:88], v126 offset0:4 offset1:5
	s_waitcnt lgkmcnt(1)
	v_ashrrev_i32_e32 v26, s29, v26
	s_waitcnt lgkmcnt(0)
	v_ashrrev_i32_e32 v87, s3, v87
	v_lshlrev_b32_e32 v87, 2, v87
	v_and_b32_e32 v61, 0x3030303, v26
	v_bfe_u32 v26, v26, 24, 2
	v_and_b32_e32 v87, 0x4040404, v87
	;; [unrolled: 31-line block ×3, first 2 shown]
	v_sub_u16_e32 v126, v61, v87
	v_sub_u16_sdwa v127, v61, v87 dst_sel:BYTE_1 dst_unused:UNUSED_PAD src0_sel:BYTE_1 src1_sel:BYTE_1
	v_sub_u16_sdwa v26, v26, v87 dst_sel:BYTE_1 dst_unused:UNUSED_PAD src0_sel:DWORD src1_sel:BYTE_3
	v_sub_u16_sdwa v61, v61, v87 dst_sel:DWORD dst_unused:UNUSED_PAD src0_sel:WORD_1 src1_sel:WORD_1
	v_or_b32_sdwa v126, v126, v127 dst_sel:DWORD dst_unused:UNUSED_PAD src0_sel:BYTE_0 src1_sel:DWORD
	v_or_b32_sdwa v26, v61, v26 dst_sel:WORD_1 dst_unused:UNUSED_PAD src0_sel:BYTE_0 src1_sel:DWORD
	v_ashrrev_i32_e32 v61, s3, v88
	v_or_b32_sdwa v126, v126, v26 dst_sel:DWORD dst_unused:UNUSED_PAD src0_sel:WORD_0 src1_sel:DWORD
	v_ashrrev_i32_e32 v26, s29, v27
	v_lshlrev_b32_e32 v61, 2, v61
	v_and_b32_e32 v27, 0x3030303, v26
	v_bfe_u32 v26, v26, 24, 2
	v_and_b32_e32 v61, 0x4040404, v61
	v_sub_u16_e32 v87, v27, v61
	v_sub_u16_sdwa v88, v27, v61 dst_sel:BYTE_1 dst_unused:UNUSED_PAD src0_sel:BYTE_1 src1_sel:BYTE_1
	v_sub_u16_sdwa v26, v26, v61 dst_sel:BYTE_1 dst_unused:UNUSED_PAD src0_sel:DWORD src1_sel:BYTE_3
	v_sub_u16_sdwa v27, v27, v61 dst_sel:DWORD dst_unused:UNUSED_PAD src0_sel:WORD_1 src1_sel:WORD_1
	v_or_b32_sdwa v87, v87, v88 dst_sel:DWORD dst_unused:UNUSED_PAD src0_sel:BYTE_0 src1_sel:DWORD
	v_or_b32_sdwa v26, v27, v26 dst_sel:WORD_1 dst_unused:UNUSED_PAD src0_sel:BYTE_0 src1_sel:DWORD
	v_or_b32_sdwa v127, v87, v26 dst_sel:DWORD dst_unused:UNUSED_PAD src0_sel:WORD_0 src1_sel:DWORD
	v_add_u32_e32 v26, s28, v79
	v_add3_u32 v27, s19, v104, v105
	ds_read_b32 v61, v27
	ds_read_u16 v26, v26 offset:26370
	v_dot4_i32_i8 v27, v89, v5, 0
	v_dot4_i32_i8 v27, v93, v6, v27
	;; [unrolled: 1-line block ×4, first 2 shown]
	s_waitcnt lgkmcnt(0)
	v_lshrrev_b16_e32 v88, 8, v26
	v_bfe_i32 v26, v26, 0, 8
	v_dot4_i32_i8 v87, v124, v1, 0
	v_mul_lo_u32 v26, v27, v26
	v_dot4_i32_i8 v87, v125, v2, v87
	v_dot4_i32_i8 v87, v126, v3, v87
	;; [unrolled: 1-line block ×3, first 2 shown]
	v_bfe_i32 v88, v88, 0, 8
                                        ; kill: def $vgpr27 killed $sgpr0 killed $exec
	v_add3_u32 v89, s30, v106, v107
	v_mad_u64_u32 v[26:27], s[34:35], v87, v88, v[26:27]
	v_mul_f32_e32 v27, v120, v61
	ds_read2_b32 v[87:88], v89 offset1:1
	v_cvt_f32_i32_e32 v26, v26
	v_fmac_f32_e32 v76, v27, v26
	v_add_u32_e32 v26, 0x2100, v121
	ds_read2_b32 v[26:27], v26 offset1:1
	s_waitcnt lgkmcnt(1)
	v_ashrrev_i32_e32 v87, s3, v87
	v_lshlrev_b32_e32 v87, 2, v87
	v_and_b32_e32 v87, 0x4040404, v87
	s_waitcnt lgkmcnt(0)
	v_ashrrev_i32_e32 v26, s29, v26
	v_and_b32_e32 v61, 0x3030303, v26
	v_bfe_u32 v26, v26, 24, 2
	v_sub_u16_e32 v93, v61, v87
	v_sub_u16_sdwa v122, v61, v87 dst_sel:BYTE_1 dst_unused:UNUSED_PAD src0_sel:BYTE_1 src1_sel:BYTE_1
	v_sub_u16_sdwa v26, v26, v87 dst_sel:BYTE_1 dst_unused:UNUSED_PAD src0_sel:DWORD src1_sel:BYTE_3
	v_sub_u16_sdwa v61, v61, v87 dst_sel:DWORD dst_unused:UNUSED_PAD src0_sel:WORD_1 src1_sel:WORD_1
	v_or_b32_sdwa v93, v93, v122 dst_sel:DWORD dst_unused:UNUSED_PAD src0_sel:BYTE_0 src1_sel:DWORD
	v_or_b32_sdwa v26, v61, v26 dst_sel:WORD_1 dst_unused:UNUSED_PAD src0_sel:BYTE_0 src1_sel:DWORD
	v_ashrrev_i32_e32 v61, s3, v88
	v_or_b32_sdwa v93, v93, v26 dst_sel:DWORD dst_unused:UNUSED_PAD src0_sel:WORD_0 src1_sel:DWORD
	v_ashrrev_i32_e32 v26, s29, v27
	v_lshlrev_b32_e32 v61, 2, v61
	v_and_b32_e32 v27, 0x3030303, v26
	v_bfe_u32 v26, v26, 24, 2
	v_and_b32_e32 v61, 0x4040404, v61
	v_sub_u16_e32 v87, v27, v61
	v_sub_u16_sdwa v88, v27, v61 dst_sel:BYTE_1 dst_unused:UNUSED_PAD src0_sel:BYTE_1 src1_sel:BYTE_1
	v_sub_u16_sdwa v26, v26, v61 dst_sel:BYTE_1 dst_unused:UNUSED_PAD src0_sel:DWORD src1_sel:BYTE_3
	v_sub_u16_sdwa v27, v27, v61 dst_sel:DWORD dst_unused:UNUSED_PAD src0_sel:WORD_1 src1_sel:WORD_1
	v_or_b32_sdwa v87, v87, v88 dst_sel:DWORD dst_unused:UNUSED_PAD src0_sel:BYTE_0 src1_sel:DWORD
	v_or_b32_sdwa v26, v27, v26 dst_sel:WORD_1 dst_unused:UNUSED_PAD src0_sel:BYTE_0 src1_sel:DWORD
	v_or_b32_sdwa v122, v87, v26 dst_sel:DWORD dst_unused:UNUSED_PAD src0_sel:WORD_0 src1_sel:DWORD
	v_add_u32_e32 v26, 0x2108, v121
	ds_read2_b32 v[26:27], v26 offset1:1
	ds_read2_b32 v[87:88], v89 offset0:2 offset1:3
	s_waitcnt lgkmcnt(1)
	v_ashrrev_i32_e32 v26, s29, v26
	s_waitcnt lgkmcnt(0)
	v_ashrrev_i32_e32 v87, s3, v87
	v_lshlrev_b32_e32 v87, 2, v87
	v_and_b32_e32 v61, 0x3030303, v26
	v_bfe_u32 v26, v26, 24, 2
	v_and_b32_e32 v87, 0x4040404, v87
	v_sub_u16_e32 v123, v61, v87
	v_sub_u16_sdwa v124, v61, v87 dst_sel:BYTE_1 dst_unused:UNUSED_PAD src0_sel:BYTE_1 src1_sel:BYTE_1
	v_sub_u16_sdwa v26, v26, v87 dst_sel:BYTE_1 dst_unused:UNUSED_PAD src0_sel:DWORD src1_sel:BYTE_3
	v_sub_u16_sdwa v61, v61, v87 dst_sel:DWORD dst_unused:UNUSED_PAD src0_sel:WORD_1 src1_sel:WORD_1
	v_or_b32_sdwa v123, v123, v124 dst_sel:DWORD dst_unused:UNUSED_PAD src0_sel:BYTE_0 src1_sel:DWORD
	v_or_b32_sdwa v26, v61, v26 dst_sel:WORD_1 dst_unused:UNUSED_PAD src0_sel:BYTE_0 src1_sel:DWORD
	v_ashrrev_i32_e32 v61, s3, v88
	v_or_b32_sdwa v123, v123, v26 dst_sel:DWORD dst_unused:UNUSED_PAD src0_sel:WORD_0 src1_sel:DWORD
	v_ashrrev_i32_e32 v26, s29, v27
	v_lshlrev_b32_e32 v61, 2, v61
	v_and_b32_e32 v27, 0x3030303, v26
	v_bfe_u32 v26, v26, 24, 2
	v_and_b32_e32 v61, 0x4040404, v61
	v_sub_u16_e32 v87, v27, v61
	v_sub_u16_sdwa v88, v27, v61 dst_sel:BYTE_1 dst_unused:UNUSED_PAD src0_sel:BYTE_1 src1_sel:BYTE_1
	v_sub_u16_sdwa v26, v26, v61 dst_sel:BYTE_1 dst_unused:UNUSED_PAD src0_sel:DWORD src1_sel:BYTE_3
	v_sub_u16_sdwa v27, v27, v61 dst_sel:DWORD dst_unused:UNUSED_PAD src0_sel:WORD_1 src1_sel:WORD_1
	v_or_b32_sdwa v87, v87, v88 dst_sel:DWORD dst_unused:UNUSED_PAD src0_sel:BYTE_0 src1_sel:DWORD
	v_or_b32_sdwa v26, v27, v26 dst_sel:WORD_1 dst_unused:UNUSED_PAD src0_sel:BYTE_0 src1_sel:DWORD
	v_or_b32_sdwa v124, v87, v26 dst_sel:DWORD dst_unused:UNUSED_PAD src0_sel:WORD_0 src1_sel:DWORD
	v_add_u32_e32 v26, 0x2110, v121
	ds_read2_b32 v[26:27], v26 offset1:1
	ds_read2_b32 v[87:88], v89 offset0:4 offset1:5
	s_waitcnt lgkmcnt(1)
	v_ashrrev_i32_e32 v26, s29, v26
	s_waitcnt lgkmcnt(0)
	v_ashrrev_i32_e32 v87, s3, v87
	v_lshlrev_b32_e32 v87, 2, v87
	v_and_b32_e32 v61, 0x3030303, v26
	v_bfe_u32 v26, v26, 24, 2
	v_and_b32_e32 v87, 0x4040404, v87
	;; [unrolled: 31-line block ×3, first 2 shown]
	v_sub_u16_e32 v89, v61, v87
	v_sub_u16_sdwa v127, v61, v87 dst_sel:BYTE_1 dst_unused:UNUSED_PAD src0_sel:BYTE_1 src1_sel:BYTE_1
	v_sub_u16_sdwa v26, v26, v87 dst_sel:BYTE_1 dst_unused:UNUSED_PAD src0_sel:DWORD src1_sel:BYTE_3
	v_sub_u16_sdwa v61, v61, v87 dst_sel:DWORD dst_unused:UNUSED_PAD src0_sel:WORD_1 src1_sel:WORD_1
	v_or_b32_sdwa v89, v89, v127 dst_sel:DWORD dst_unused:UNUSED_PAD src0_sel:BYTE_0 src1_sel:DWORD
	v_or_b32_sdwa v26, v61, v26 dst_sel:WORD_1 dst_unused:UNUSED_PAD src0_sel:BYTE_0 src1_sel:DWORD
	v_ashrrev_i32_e32 v61, s3, v88
	v_or_b32_sdwa v127, v89, v26 dst_sel:DWORD dst_unused:UNUSED_PAD src0_sel:WORD_0 src1_sel:DWORD
	v_ashrrev_i32_e32 v26, s29, v27
	v_lshlrev_b32_e32 v61, 2, v61
	v_and_b32_e32 v27, 0x3030303, v26
	v_bfe_u32 v26, v26, 24, 2
	v_and_b32_e32 v61, 0x4040404, v61
	v_sub_u16_e32 v87, v27, v61
	v_sub_u16_sdwa v88, v27, v61 dst_sel:BYTE_1 dst_unused:UNUSED_PAD src0_sel:BYTE_1 src1_sel:BYTE_1
	v_sub_u16_sdwa v26, v26, v61 dst_sel:BYTE_1 dst_unused:UNUSED_PAD src0_sel:DWORD src1_sel:BYTE_3
	v_sub_u16_sdwa v27, v27, v61 dst_sel:DWORD dst_unused:UNUSED_PAD src0_sel:WORD_1 src1_sel:WORD_1
	v_or_b32_sdwa v87, v87, v88 dst_sel:DWORD dst_unused:UNUSED_PAD src0_sel:BYTE_0 src1_sel:DWORD
	v_or_b32_sdwa v26, v27, v26 dst_sel:WORD_1 dst_unused:UNUSED_PAD src0_sel:BYTE_0 src1_sel:DWORD
	v_or_b32_sdwa v89, v87, v26 dst_sel:DWORD dst_unused:UNUSED_PAD src0_sel:WORD_0 src1_sel:DWORD
	v_add_u32_e32 v26, s28, v78
	v_add3_u32 v27, s19, v108, v109
	ds_read_b32 v61, v27
	ds_read_u16 v26, v26 offset:27394
	v_dot4_i32_i8 v27, v93, v5, 0
	v_dot4_i32_i8 v27, v122, v6, v27
	;; [unrolled: 1-line block ×4, first 2 shown]
	s_waitcnt lgkmcnt(0)
	v_lshrrev_b16_e32 v88, 8, v26
	v_bfe_i32 v26, v26, 0, 8
	v_dot4_i32_i8 v87, v125, v1, 0
	v_mul_lo_u32 v26, v27, v26
	v_dot4_i32_i8 v87, v126, v2, v87
	v_dot4_i32_i8 v87, v127, v3, v87
	;; [unrolled: 1-line block ×3, first 2 shown]
	v_bfe_i32 v88, v88, 0, 8
                                        ; kill: def $vgpr27 killed $sgpr0 killed $exec
	v_add3_u32 v89, s30, v110, v111
	v_mad_u64_u32 v[26:27], s[34:35], v87, v88, v[26:27]
	v_mul_f32_e32 v27, v120, v61
	ds_read2_b32 v[87:88], v89 offset1:1
	v_cvt_f32_i32_e32 v26, v26
	v_fmac_f32_e32 v75, v27, v26
	v_add_u32_e32 v26, 0x3180, v121
	ds_read2_b32 v[26:27], v26 offset1:1
	s_waitcnt lgkmcnt(1)
	v_ashrrev_i32_e32 v87, s3, v87
	v_lshlrev_b32_e32 v87, 2, v87
	v_and_b32_e32 v87, 0x4040404, v87
	s_waitcnt lgkmcnt(0)
	v_ashrrev_i32_e32 v26, s29, v26
	v_and_b32_e32 v61, 0x3030303, v26
	v_bfe_u32 v26, v26, 24, 2
	v_sub_u16_e32 v93, v61, v87
	v_sub_u16_sdwa v122, v61, v87 dst_sel:BYTE_1 dst_unused:UNUSED_PAD src0_sel:BYTE_1 src1_sel:BYTE_1
	v_sub_u16_sdwa v26, v26, v87 dst_sel:BYTE_1 dst_unused:UNUSED_PAD src0_sel:DWORD src1_sel:BYTE_3
	v_sub_u16_sdwa v61, v61, v87 dst_sel:DWORD dst_unused:UNUSED_PAD src0_sel:WORD_1 src1_sel:WORD_1
	v_or_b32_sdwa v93, v93, v122 dst_sel:DWORD dst_unused:UNUSED_PAD src0_sel:BYTE_0 src1_sel:DWORD
	v_or_b32_sdwa v26, v61, v26 dst_sel:WORD_1 dst_unused:UNUSED_PAD src0_sel:BYTE_0 src1_sel:DWORD
	v_ashrrev_i32_e32 v61, s3, v88
	v_or_b32_sdwa v93, v93, v26 dst_sel:DWORD dst_unused:UNUSED_PAD src0_sel:WORD_0 src1_sel:DWORD
	v_ashrrev_i32_e32 v26, s29, v27
	v_lshlrev_b32_e32 v61, 2, v61
	v_and_b32_e32 v27, 0x3030303, v26
	v_bfe_u32 v26, v26, 24, 2
	v_and_b32_e32 v61, 0x4040404, v61
	v_sub_u16_e32 v87, v27, v61
	v_sub_u16_sdwa v88, v27, v61 dst_sel:BYTE_1 dst_unused:UNUSED_PAD src0_sel:BYTE_1 src1_sel:BYTE_1
	v_sub_u16_sdwa v26, v26, v61 dst_sel:BYTE_1 dst_unused:UNUSED_PAD src0_sel:DWORD src1_sel:BYTE_3
	v_sub_u16_sdwa v27, v27, v61 dst_sel:DWORD dst_unused:UNUSED_PAD src0_sel:WORD_1 src1_sel:WORD_1
	v_or_b32_sdwa v87, v87, v88 dst_sel:DWORD dst_unused:UNUSED_PAD src0_sel:BYTE_0 src1_sel:DWORD
	v_or_b32_sdwa v26, v27, v26 dst_sel:WORD_1 dst_unused:UNUSED_PAD src0_sel:BYTE_0 src1_sel:DWORD
	v_or_b32_sdwa v122, v87, v26 dst_sel:DWORD dst_unused:UNUSED_PAD src0_sel:WORD_0 src1_sel:DWORD
	v_add_u32_e32 v26, 0x3188, v121
	ds_read2_b32 v[26:27], v26 offset1:1
	ds_read2_b32 v[87:88], v89 offset0:2 offset1:3
	v_dot4_i32_i8 v5, v93, v5, 0
	v_dot4_i32_i8 v5, v122, v6, v5
	s_waitcnt lgkmcnt(1)
	v_ashrrev_i32_e32 v26, s29, v26
	s_waitcnt lgkmcnt(0)
	v_ashrrev_i32_e32 v87, s3, v87
	v_lshlrev_b32_e32 v87, 2, v87
	v_and_b32_e32 v61, 0x3030303, v26
	v_bfe_u32 v26, v26, 24, 2
	v_and_b32_e32 v87, 0x4040404, v87
	v_sub_u16_e32 v123, v61, v87
	v_sub_u16_sdwa v124, v61, v87 dst_sel:BYTE_1 dst_unused:UNUSED_PAD src0_sel:BYTE_1 src1_sel:BYTE_1
	v_sub_u16_sdwa v26, v26, v87 dst_sel:BYTE_1 dst_unused:UNUSED_PAD src0_sel:DWORD src1_sel:BYTE_3
	v_sub_u16_sdwa v61, v61, v87 dst_sel:DWORD dst_unused:UNUSED_PAD src0_sel:WORD_1 src1_sel:WORD_1
	v_or_b32_sdwa v123, v123, v124 dst_sel:DWORD dst_unused:UNUSED_PAD src0_sel:BYTE_0 src1_sel:DWORD
	v_or_b32_sdwa v26, v61, v26 dst_sel:WORD_1 dst_unused:UNUSED_PAD src0_sel:BYTE_0 src1_sel:DWORD
	v_ashrrev_i32_e32 v61, s3, v88
	v_or_b32_sdwa v123, v123, v26 dst_sel:DWORD dst_unused:UNUSED_PAD src0_sel:WORD_0 src1_sel:DWORD
	v_ashrrev_i32_e32 v26, s29, v27
	v_lshlrev_b32_e32 v61, 2, v61
	v_and_b32_e32 v27, 0x3030303, v26
	v_bfe_u32 v26, v26, 24, 2
	v_and_b32_e32 v61, 0x4040404, v61
	v_sub_u16_e32 v87, v27, v61
	v_sub_u16_sdwa v88, v27, v61 dst_sel:BYTE_1 dst_unused:UNUSED_PAD src0_sel:BYTE_1 src1_sel:BYTE_1
	v_sub_u16_sdwa v26, v26, v61 dst_sel:BYTE_1 dst_unused:UNUSED_PAD src0_sel:DWORD src1_sel:BYTE_3
	v_sub_u16_sdwa v27, v27, v61 dst_sel:DWORD dst_unused:UNUSED_PAD src0_sel:WORD_1 src1_sel:WORD_1
	v_or_b32_sdwa v87, v87, v88 dst_sel:DWORD dst_unused:UNUSED_PAD src0_sel:BYTE_0 src1_sel:DWORD
	v_or_b32_sdwa v26, v27, v26 dst_sel:WORD_1 dst_unused:UNUSED_PAD src0_sel:BYTE_0 src1_sel:DWORD
	v_or_b32_sdwa v124, v87, v26 dst_sel:DWORD dst_unused:UNUSED_PAD src0_sel:WORD_0 src1_sel:DWORD
	v_add_u32_e32 v26, 0x3190, v121
	ds_read2_b32 v[26:27], v26 offset1:1
	ds_read2_b32 v[87:88], v89 offset0:4 offset1:5
	v_dot4_i32_i8 v5, v123, v7, v5
	v_dot4_i32_i8 v5, v124, v8, v5
	s_waitcnt lgkmcnt(1)
	v_ashrrev_i32_e32 v26, s29, v26
	s_waitcnt lgkmcnt(0)
	v_ashrrev_i32_e32 v87, s3, v87
	v_lshlrev_b32_e32 v87, 2, v87
	v_and_b32_e32 v61, 0x3030303, v26
	v_bfe_u32 v26, v26, 24, 2
	v_and_b32_e32 v87, 0x4040404, v87
	;; [unrolled: 33-line block ×3, first 2 shown]
	v_sub_u16_e32 v89, v61, v87
	v_sub_u16_sdwa v121, v61, v87 dst_sel:BYTE_1 dst_unused:UNUSED_PAD src0_sel:BYTE_1 src1_sel:BYTE_1
	v_sub_u16_sdwa v26, v26, v87 dst_sel:BYTE_1 dst_unused:UNUSED_PAD src0_sel:DWORD src1_sel:BYTE_3
	v_sub_u16_sdwa v61, v61, v87 dst_sel:DWORD dst_unused:UNUSED_PAD src0_sel:WORD_1 src1_sel:WORD_1
	v_or_b32_sdwa v89, v89, v121 dst_sel:DWORD dst_unused:UNUSED_PAD src0_sel:BYTE_0 src1_sel:DWORD
	v_or_b32_sdwa v26, v61, v26 dst_sel:WORD_1 dst_unused:UNUSED_PAD src0_sel:BYTE_0 src1_sel:DWORD
	v_ashrrev_i32_e32 v61, s3, v88
	v_or_b32_sdwa v121, v89, v26 dst_sel:DWORD dst_unused:UNUSED_PAD src0_sel:WORD_0 src1_sel:DWORD
	v_ashrrev_i32_e32 v26, s29, v27
	v_lshlrev_b32_e32 v61, 2, v61
	v_and_b32_e32 v27, 0x3030303, v26
	v_bfe_u32 v26, v26, 24, 2
	v_and_b32_e32 v61, 0x4040404, v61
	v_sub_u16_e32 v87, v27, v61
	v_sub_u16_sdwa v88, v27, v61 dst_sel:BYTE_1 dst_unused:UNUSED_PAD src0_sel:BYTE_1 src1_sel:BYTE_1
	v_sub_u16_sdwa v26, v26, v61 dst_sel:BYTE_1 dst_unused:UNUSED_PAD src0_sel:DWORD src1_sel:BYTE_3
	v_sub_u16_sdwa v27, v27, v61 dst_sel:DWORD dst_unused:UNUSED_PAD src0_sel:WORD_1 src1_sel:WORD_1
	v_or_b32_sdwa v87, v87, v88 dst_sel:DWORD dst_unused:UNUSED_PAD src0_sel:BYTE_0 src1_sel:DWORD
	v_or_b32_sdwa v26, v27, v26 dst_sel:WORD_1 dst_unused:UNUSED_PAD src0_sel:BYTE_0 src1_sel:DWORD
	v_or_b32_sdwa v127, v87, v26 dst_sel:DWORD dst_unused:UNUSED_PAD src0_sel:WORD_0 src1_sel:DWORD
	v_add_u32_e32 v88, s28, v77
	v_add3_u32 v26, s19, v112, v113
	v_dot4_i32_i8 v1, v121, v3, v1
	ds_read_b32 v89, v26
	v_dot4_i32_i8 v2, v127, v4, v1
	ds_read_u16 v1, v88 offset:28418
	s_add_i32 s3, s3, 1
	s_cmp_lt_u32 s18, 14
	s_mov_b32 s19, s18
	s_waitcnt lgkmcnt(0)
	v_lshrrev_b16_e32 v3, 8, v1
	v_bfe_i32 v1, v1, 0, 8
	v_mul_lo_u32 v1, v5, v1
	v_bfe_i32 v3, v3, 0, 8
	v_mad_u64_u32 v[1:2], s[28:29], v2, v3, v[1:2]
	v_mul_f32_e32 v2, v120, v89
	v_cvt_f32_i32_e32 v1, v1
	v_fmac_f32_e32 v25, v2, v1
	s_cbranch_scc1 .LBB230_19
; %bb.20:                               ;   in Loop: Header=BB230_5 Depth=1
	s_or_b32 s2, s26, 0x100
	s_cmp_ge_i32 s2, s9
	s_barrier
	s_cbranch_scc1 .LBB230_4
; %bb.21:                               ;   in Loop: Header=BB230_5 Depth=1
	buffer_load_dword v1, off, s[36:39], 0 offset:8 ; 4-byte Folded Reload
	s_waitcnt vmcnt(0)
	v_add_u32_e32 v1, s27, v1
	v_cmp_gt_i32_e64 s[2:3], s12, v1
	s_and_b64 s[18:19], s[0:1], s[2:3]
	s_and_saveexec_b64 s[2:3], s[18:19]
	s_cbranch_execz .LBB230_23
; %bb.22:                               ;   in Loop: Header=BB230_5 Depth=1
	buffer_load_dword v2, off, s[36:39], 0  ; 4-byte Folded Reload
	buffer_load_dword v3, off, s[36:39], 0 offset:4 ; 4-byte Folded Reload
	v_add_u32_e32 v1, v90, v1
	s_waitcnt vmcnt(0)
	v_mad_i64_i32 v[1:2], s[18:19], v1, 36, v[2:3]
	global_load_dword v1, v[1:2], off offset:4
	s_waitcnt vmcnt(0)
	ds_write_b32 v72, v1
.LBB230_23:                             ;   in Loop: Header=BB230_5 Depth=1
	s_or_b64 exec, exec, s[2:3]
	s_and_saveexec_b64 s[18:19], vcc
	s_cbranch_execz .LBB230_26
; %bb.24:                               ;   in Loop: Header=BB230_5 Depth=1
	v_or_b32_e32 v1, 8, v117
	v_cmp_gt_i32_e64 s[2:3], s12, v1
	s_and_b64 s[2:3], s[0:1], s[2:3]
	s_and_b64 exec, exec, s[2:3]
	s_cbranch_execz .LBB230_26
; %bb.25:                               ;   in Loop: Header=BB230_5 Depth=1
	v_ashrrev_i32_e32 v1, 31, v117
	v_add_co_u32_e64 v2, s[2:3], v90, v117
	v_ashrrev_i32_e32 v3, 31, v90
	v_addc_co_u32_e64 v3, s[2:3], v3, v1, s[2:3]
	v_mad_u64_u32 v[1:2], s[2:3], v2, 36, s[6:7]
	v_mad_i32_i24 v2, v3, 36, v2
	global_load_dword v1, v[1:2], off offset:288
	s_waitcnt vmcnt(0)
	v_cvt_f32_f16_e32 v1, v1
	ds_write_b32 v74, v1
.LBB230_26:                             ;   in Loop: Header=BB230_5 Depth=1
	s_or_b64 exec, exec, s[18:19]
	s_mov_b32 s2, 16
	s_mov_b32 s19, 14
	;; [unrolled: 1-line block ×3, first 2 shown]
	v_mov_b32_e32 v118, v71
	v_mov_b32_e32 v119, v73
	s_waitcnt lgkmcnt(0)
	s_barrier
.LBB230_27:                             ;   Parent Loop BB230_5 Depth=1
                                        ; =>  This Inner Loop Header: Depth=2
	s_add_i32 s18, s19, 2
	s_lshr_b32 s31, s18, 4
	s_and_b32 s30, s18, 0x3ffffff8
	v_lshl_add_u32 v121, s30, 2, v91
	s_lshl_b32 s30, s31, 5
	s_addk_i32 s30, 0x4200
	v_add3_u32 v126, s30, v114, v101
	ds_read_b32 v120, v119
	ds_read_b128 v[5:8], v118
	ds_read_b128 v[1:4], v118 offset:16
	ds_read2_b32 v[26:27], v121 offset1:1
	ds_read2_b32 v[87:88], v126 offset1:1
	s_add_i32 s29, s19, -14
	s_and_b32 s28, s2, -16
	s_add_i32 s28, s19, s28
	s_waitcnt lgkmcnt(1)
	v_ashrrev_i32_e32 v26, s29, v26
	s_waitcnt lgkmcnt(0)
	v_ashrrev_i32_e32 v87, s3, v87
	v_lshlrev_b32_e32 v87, 2, v87
	v_and_b32_e32 v61, 0x3030303, v26
	v_bfe_u32 v26, v26, 24, 2
	v_and_b32_e32 v87, 0x4040404, v87
	v_sub_u16_e32 v89, v61, v87
	v_sub_u16_sdwa v93, v61, v87 dst_sel:BYTE_1 dst_unused:UNUSED_PAD src0_sel:BYTE_1 src1_sel:BYTE_1
	v_sub_u16_sdwa v26, v26, v87 dst_sel:BYTE_1 dst_unused:UNUSED_PAD src0_sel:DWORD src1_sel:BYTE_3
	v_sub_u16_sdwa v61, v61, v87 dst_sel:DWORD dst_unused:UNUSED_PAD src0_sel:WORD_1 src1_sel:WORD_1
	v_or_b32_sdwa v89, v89, v93 dst_sel:DWORD dst_unused:UNUSED_PAD src0_sel:BYTE_0 src1_sel:DWORD
	v_or_b32_sdwa v26, v61, v26 dst_sel:WORD_1 dst_unused:UNUSED_PAD src0_sel:BYTE_0 src1_sel:DWORD
	v_ashrrev_i32_e32 v61, s3, v88
	v_or_b32_sdwa v93, v89, v26 dst_sel:DWORD dst_unused:UNUSED_PAD src0_sel:WORD_0 src1_sel:DWORD
	v_ashrrev_i32_e32 v26, s29, v27
	v_lshlrev_b32_e32 v61, 2, v61
	v_and_b32_e32 v27, 0x3030303, v26
	v_bfe_u32 v26, v26, 24, 2
	v_and_b32_e32 v61, 0x4040404, v61
	v_sub_u16_e32 v87, v27, v61
	v_sub_u16_sdwa v88, v27, v61 dst_sel:BYTE_1 dst_unused:UNUSED_PAD src0_sel:BYTE_1 src1_sel:BYTE_1
	v_sub_u16_sdwa v26, v26, v61 dst_sel:BYTE_1 dst_unused:UNUSED_PAD src0_sel:DWORD src1_sel:BYTE_3
	v_sub_u16_sdwa v27, v27, v61 dst_sel:DWORD dst_unused:UNUSED_PAD src0_sel:WORD_1 src1_sel:WORD_1
	v_or_b32_sdwa v87, v87, v88 dst_sel:DWORD dst_unused:UNUSED_PAD src0_sel:BYTE_0 src1_sel:DWORD
	v_or_b32_sdwa v26, v27, v26 dst_sel:WORD_1 dst_unused:UNUSED_PAD src0_sel:BYTE_0 src1_sel:DWORD
	v_or_b32_sdwa v122, v87, v26 dst_sel:DWORD dst_unused:UNUSED_PAD src0_sel:WORD_0 src1_sel:DWORD
	ds_read2_b32 v[26:27], v121 offset0:2 offset1:3
	ds_read2_b32 v[87:88], v126 offset0:2 offset1:3
	s_lshl_b32 s19, s31, 2
	s_addk_i32 s19, 0x7380
	s_add_i32 s2, s2, 2
	s_waitcnt lgkmcnt(1)
	v_ashrrev_i32_e32 v26, s29, v26
	s_waitcnt lgkmcnt(0)
	v_ashrrev_i32_e32 v87, s3, v87
	v_lshlrev_b32_e32 v87, 2, v87
	v_and_b32_e32 v61, 0x3030303, v26
	v_bfe_u32 v26, v26, 24, 2
	v_and_b32_e32 v87, 0x4040404, v87
	v_sub_u16_e32 v89, v61, v87
	v_sub_u16_sdwa v123, v61, v87 dst_sel:BYTE_1 dst_unused:UNUSED_PAD src0_sel:BYTE_1 src1_sel:BYTE_1
	v_sub_u16_sdwa v26, v26, v87 dst_sel:BYTE_1 dst_unused:UNUSED_PAD src0_sel:DWORD src1_sel:BYTE_3
	v_sub_u16_sdwa v61, v61, v87 dst_sel:DWORD dst_unused:UNUSED_PAD src0_sel:WORD_1 src1_sel:WORD_1
	v_or_b32_sdwa v89, v89, v123 dst_sel:DWORD dst_unused:UNUSED_PAD src0_sel:BYTE_0 src1_sel:DWORD
	v_or_b32_sdwa v26, v61, v26 dst_sel:WORD_1 dst_unused:UNUSED_PAD src0_sel:BYTE_0 src1_sel:DWORD
	v_ashrrev_i32_e32 v61, s3, v88
	v_or_b32_sdwa v123, v89, v26 dst_sel:DWORD dst_unused:UNUSED_PAD src0_sel:WORD_0 src1_sel:DWORD
	v_ashrrev_i32_e32 v26, s29, v27
	v_lshlrev_b32_e32 v61, 2, v61
	v_and_b32_e32 v27, 0x3030303, v26
	v_bfe_u32 v26, v26, 24, 2
	v_and_b32_e32 v61, 0x4040404, v61
	v_sub_u16_e32 v87, v27, v61
	v_sub_u16_sdwa v88, v27, v61 dst_sel:BYTE_1 dst_unused:UNUSED_PAD src0_sel:BYTE_1 src1_sel:BYTE_1
	v_sub_u16_sdwa v26, v26, v61 dst_sel:BYTE_1 dst_unused:UNUSED_PAD src0_sel:DWORD src1_sel:BYTE_3
	v_sub_u16_sdwa v27, v27, v61 dst_sel:DWORD dst_unused:UNUSED_PAD src0_sel:WORD_1 src1_sel:WORD_1
	v_or_b32_sdwa v87, v87, v88 dst_sel:DWORD dst_unused:UNUSED_PAD src0_sel:BYTE_0 src1_sel:DWORD
	v_or_b32_sdwa v26, v27, v26 dst_sel:WORD_1 dst_unused:UNUSED_PAD src0_sel:BYTE_0 src1_sel:DWORD
	v_or_b32_sdwa v89, v87, v26 dst_sel:DWORD dst_unused:UNUSED_PAD src0_sel:WORD_0 src1_sel:DWORD
	ds_read2_b32 v[26:27], v121 offset0:4 offset1:5
	ds_read2_b32 v[87:88], v126 offset0:4 offset1:5
	v_add_u32_e32 v119, 4, v119
	v_add_u32_e32 v118, 32, v118
	s_waitcnt lgkmcnt(1)
	v_ashrrev_i32_e32 v26, s29, v26
	s_waitcnt lgkmcnt(0)
	v_ashrrev_i32_e32 v87, s3, v87
	v_lshlrev_b32_e32 v87, 2, v87
	v_and_b32_e32 v61, 0x3030303, v26
	v_bfe_u32 v26, v26, 24, 2
	v_and_b32_e32 v87, 0x4040404, v87
	v_sub_u16_e32 v124, v61, v87
	v_sub_u16_sdwa v125, v61, v87 dst_sel:BYTE_1 dst_unused:UNUSED_PAD src0_sel:BYTE_1 src1_sel:BYTE_1
	v_sub_u16_sdwa v26, v26, v87 dst_sel:BYTE_1 dst_unused:UNUSED_PAD src0_sel:DWORD src1_sel:BYTE_3
	v_sub_u16_sdwa v61, v61, v87 dst_sel:DWORD dst_unused:UNUSED_PAD src0_sel:WORD_1 src1_sel:WORD_1
	v_or_b32_sdwa v124, v124, v125 dst_sel:DWORD dst_unused:UNUSED_PAD src0_sel:BYTE_0 src1_sel:DWORD
	v_or_b32_sdwa v26, v61, v26 dst_sel:WORD_1 dst_unused:UNUSED_PAD src0_sel:BYTE_0 src1_sel:DWORD
	v_ashrrev_i32_e32 v61, s3, v88
	v_or_b32_sdwa v124, v124, v26 dst_sel:DWORD dst_unused:UNUSED_PAD src0_sel:WORD_0 src1_sel:DWORD
	v_ashrrev_i32_e32 v26, s29, v27
	v_lshlrev_b32_e32 v61, 2, v61
	v_and_b32_e32 v27, 0x3030303, v26
	v_bfe_u32 v26, v26, 24, 2
	v_and_b32_e32 v61, 0x4040404, v61
	v_sub_u16_e32 v87, v27, v61
	v_sub_u16_sdwa v88, v27, v61 dst_sel:BYTE_1 dst_unused:UNUSED_PAD src0_sel:BYTE_1 src1_sel:BYTE_1
	v_sub_u16_sdwa v26, v26, v61 dst_sel:BYTE_1 dst_unused:UNUSED_PAD src0_sel:DWORD src1_sel:BYTE_3
	v_sub_u16_sdwa v27, v27, v61 dst_sel:DWORD dst_unused:UNUSED_PAD src0_sel:WORD_1 src1_sel:WORD_1
	v_or_b32_sdwa v87, v87, v88 dst_sel:DWORD dst_unused:UNUSED_PAD src0_sel:BYTE_0 src1_sel:DWORD
	v_or_b32_sdwa v26, v27, v26 dst_sel:WORD_1 dst_unused:UNUSED_PAD src0_sel:BYTE_0 src1_sel:DWORD
	v_or_b32_sdwa v125, v87, v26 dst_sel:DWORD dst_unused:UNUSED_PAD src0_sel:WORD_0 src1_sel:DWORD
	ds_read2_b32 v[26:27], v121 offset0:6 offset1:7
	ds_read2_b32 v[87:88], v126 offset0:6 offset1:7
	s_waitcnt lgkmcnt(1)
	v_ashrrev_i32_e32 v26, s29, v26
	s_waitcnt lgkmcnt(0)
	v_ashrrev_i32_e32 v87, s3, v87
	v_lshlrev_b32_e32 v87, 2, v87
	v_and_b32_e32 v61, 0x3030303, v26
	v_bfe_u32 v26, v26, 24, 2
	v_and_b32_e32 v87, 0x4040404, v87
	v_sub_u16_e32 v126, v61, v87
	v_sub_u16_sdwa v127, v61, v87 dst_sel:BYTE_1 dst_unused:UNUSED_PAD src0_sel:BYTE_1 src1_sel:BYTE_1
	v_sub_u16_sdwa v26, v26, v87 dst_sel:BYTE_1 dst_unused:UNUSED_PAD src0_sel:DWORD src1_sel:BYTE_3
	v_sub_u16_sdwa v61, v61, v87 dst_sel:DWORD dst_unused:UNUSED_PAD src0_sel:WORD_1 src1_sel:WORD_1
	v_or_b32_sdwa v126, v126, v127 dst_sel:DWORD dst_unused:UNUSED_PAD src0_sel:BYTE_0 src1_sel:DWORD
	v_or_b32_sdwa v26, v61, v26 dst_sel:WORD_1 dst_unused:UNUSED_PAD src0_sel:BYTE_0 src1_sel:DWORD
	v_ashrrev_i32_e32 v61, s3, v88
	v_or_b32_sdwa v126, v126, v26 dst_sel:DWORD dst_unused:UNUSED_PAD src0_sel:WORD_0 src1_sel:DWORD
	v_ashrrev_i32_e32 v26, s29, v27
	v_lshlrev_b32_e32 v61, 2, v61
	v_and_b32_e32 v27, 0x3030303, v26
	v_bfe_u32 v26, v26, 24, 2
	v_and_b32_e32 v61, 0x4040404, v61
	v_sub_u16_e32 v87, v27, v61
	v_sub_u16_sdwa v88, v27, v61 dst_sel:BYTE_1 dst_unused:UNUSED_PAD src0_sel:BYTE_1 src1_sel:BYTE_1
	v_sub_u16_sdwa v26, v26, v61 dst_sel:BYTE_1 dst_unused:UNUSED_PAD src0_sel:DWORD src1_sel:BYTE_3
	v_sub_u16_sdwa v27, v27, v61 dst_sel:DWORD dst_unused:UNUSED_PAD src0_sel:WORD_1 src1_sel:WORD_1
	v_or_b32_sdwa v87, v87, v88 dst_sel:DWORD dst_unused:UNUSED_PAD src0_sel:BYTE_0 src1_sel:DWORD
	v_or_b32_sdwa v26, v27, v26 dst_sel:WORD_1 dst_unused:UNUSED_PAD src0_sel:BYTE_0 src1_sel:DWORD
	v_or_b32_sdwa v127, v87, v26 dst_sel:DWORD dst_unused:UNUSED_PAD src0_sel:WORD_0 src1_sel:DWORD
	v_add_u32_e32 v26, s28, v80
	v_add3_u32 v27, s19, v115, v116
	ds_read_b32 v61, v27
	ds_read_u16 v26, v26 offset:25330
	v_dot4_i32_i8 v27, v93, v5, 0
	v_dot4_i32_i8 v27, v122, v6, v27
	v_dot4_i32_i8 v27, v123, v7, v27
	v_dot4_i32_i8 v27, v89, v8, v27
	s_waitcnt lgkmcnt(0)
	v_lshrrev_b16_e32 v88, 8, v26
	v_bfe_i32 v26, v26, 0, 8
	v_dot4_i32_i8 v87, v124, v1, 0
	v_mul_lo_u32 v26, v27, v26
	v_dot4_i32_i8 v87, v125, v2, v87
	v_dot4_i32_i8 v87, v126, v3, v87
	;; [unrolled: 1-line block ×3, first 2 shown]
	v_bfe_i32 v88, v88, 0, 8
                                        ; kill: def $vgpr27 killed $sgpr0 killed $exec
	v_add3_u32 v126, s30, v102, v103
	v_mad_u64_u32 v[26:27], s[34:35], v87, v88, v[26:27]
	v_mul_f32_e32 v27, v120, v61
	ds_read2_b32 v[87:88], v126 offset1:1
	v_cvt_f32_i32_e32 v26, v26
	v_fmac_f32_e32 v29, v27, v26
	v_add_u32_e32 v26, 0x1080, v121
	ds_read2_b32 v[26:27], v26 offset1:1
	s_waitcnt lgkmcnt(1)
	v_ashrrev_i32_e32 v87, s3, v87
	v_lshlrev_b32_e32 v87, 2, v87
	v_and_b32_e32 v87, 0x4040404, v87
	s_waitcnt lgkmcnt(0)
	v_ashrrev_i32_e32 v26, s29, v26
	v_and_b32_e32 v61, 0x3030303, v26
	v_bfe_u32 v26, v26, 24, 2
	v_sub_u16_e32 v89, v61, v87
	v_sub_u16_sdwa v93, v61, v87 dst_sel:BYTE_1 dst_unused:UNUSED_PAD src0_sel:BYTE_1 src1_sel:BYTE_1
	v_sub_u16_sdwa v26, v26, v87 dst_sel:BYTE_1 dst_unused:UNUSED_PAD src0_sel:DWORD src1_sel:BYTE_3
	v_sub_u16_sdwa v61, v61, v87 dst_sel:DWORD dst_unused:UNUSED_PAD src0_sel:WORD_1 src1_sel:WORD_1
	v_or_b32_sdwa v89, v89, v93 dst_sel:DWORD dst_unused:UNUSED_PAD src0_sel:BYTE_0 src1_sel:DWORD
	v_or_b32_sdwa v26, v61, v26 dst_sel:WORD_1 dst_unused:UNUSED_PAD src0_sel:BYTE_0 src1_sel:DWORD
	v_ashrrev_i32_e32 v61, s3, v88
	v_or_b32_sdwa v89, v89, v26 dst_sel:DWORD dst_unused:UNUSED_PAD src0_sel:WORD_0 src1_sel:DWORD
	v_ashrrev_i32_e32 v26, s29, v27
	v_lshlrev_b32_e32 v61, 2, v61
	v_and_b32_e32 v27, 0x3030303, v26
	v_bfe_u32 v26, v26, 24, 2
	v_and_b32_e32 v61, 0x4040404, v61
	v_sub_u16_e32 v87, v27, v61
	v_sub_u16_sdwa v88, v27, v61 dst_sel:BYTE_1 dst_unused:UNUSED_PAD src0_sel:BYTE_1 src1_sel:BYTE_1
	v_sub_u16_sdwa v26, v26, v61 dst_sel:BYTE_1 dst_unused:UNUSED_PAD src0_sel:DWORD src1_sel:BYTE_3
	v_sub_u16_sdwa v27, v27, v61 dst_sel:DWORD dst_unused:UNUSED_PAD src0_sel:WORD_1 src1_sel:WORD_1
	v_or_b32_sdwa v87, v87, v88 dst_sel:DWORD dst_unused:UNUSED_PAD src0_sel:BYTE_0 src1_sel:DWORD
	v_or_b32_sdwa v26, v27, v26 dst_sel:WORD_1 dst_unused:UNUSED_PAD src0_sel:BYTE_0 src1_sel:DWORD
	v_or_b32_sdwa v93, v87, v26 dst_sel:DWORD dst_unused:UNUSED_PAD src0_sel:WORD_0 src1_sel:DWORD
	v_add_u32_e32 v26, 0x1088, v121
	ds_read2_b32 v[26:27], v26 offset1:1
	ds_read2_b32 v[87:88], v126 offset0:2 offset1:3
	s_waitcnt lgkmcnt(1)
	v_ashrrev_i32_e32 v26, s29, v26
	s_waitcnt lgkmcnt(0)
	v_ashrrev_i32_e32 v87, s3, v87
	v_lshlrev_b32_e32 v87, 2, v87
	v_and_b32_e32 v61, 0x3030303, v26
	v_bfe_u32 v26, v26, 24, 2
	v_and_b32_e32 v87, 0x4040404, v87
	v_sub_u16_e32 v122, v61, v87
	v_sub_u16_sdwa v123, v61, v87 dst_sel:BYTE_1 dst_unused:UNUSED_PAD src0_sel:BYTE_1 src1_sel:BYTE_1
	v_sub_u16_sdwa v26, v26, v87 dst_sel:BYTE_1 dst_unused:UNUSED_PAD src0_sel:DWORD src1_sel:BYTE_3
	v_sub_u16_sdwa v61, v61, v87 dst_sel:DWORD dst_unused:UNUSED_PAD src0_sel:WORD_1 src1_sel:WORD_1
	v_or_b32_sdwa v122, v122, v123 dst_sel:DWORD dst_unused:UNUSED_PAD src0_sel:BYTE_0 src1_sel:DWORD
	v_or_b32_sdwa v26, v61, v26 dst_sel:WORD_1 dst_unused:UNUSED_PAD src0_sel:BYTE_0 src1_sel:DWORD
	v_ashrrev_i32_e32 v61, s3, v88
	v_or_b32_sdwa v122, v122, v26 dst_sel:DWORD dst_unused:UNUSED_PAD src0_sel:WORD_0 src1_sel:DWORD
	v_ashrrev_i32_e32 v26, s29, v27
	v_lshlrev_b32_e32 v61, 2, v61
	v_and_b32_e32 v27, 0x3030303, v26
	v_bfe_u32 v26, v26, 24, 2
	v_and_b32_e32 v61, 0x4040404, v61
	v_sub_u16_e32 v87, v27, v61
	v_sub_u16_sdwa v88, v27, v61 dst_sel:BYTE_1 dst_unused:UNUSED_PAD src0_sel:BYTE_1 src1_sel:BYTE_1
	v_sub_u16_sdwa v26, v26, v61 dst_sel:BYTE_1 dst_unused:UNUSED_PAD src0_sel:DWORD src1_sel:BYTE_3
	v_sub_u16_sdwa v27, v27, v61 dst_sel:DWORD dst_unused:UNUSED_PAD src0_sel:WORD_1 src1_sel:WORD_1
	v_or_b32_sdwa v87, v87, v88 dst_sel:DWORD dst_unused:UNUSED_PAD src0_sel:BYTE_0 src1_sel:DWORD
	v_or_b32_sdwa v26, v27, v26 dst_sel:WORD_1 dst_unused:UNUSED_PAD src0_sel:BYTE_0 src1_sel:DWORD
	v_or_b32_sdwa v123, v87, v26 dst_sel:DWORD dst_unused:UNUSED_PAD src0_sel:WORD_0 src1_sel:DWORD
	v_add_u32_e32 v26, 0x1090, v121
	ds_read2_b32 v[26:27], v26 offset1:1
	ds_read2_b32 v[87:88], v126 offset0:4 offset1:5
	s_waitcnt lgkmcnt(1)
	v_ashrrev_i32_e32 v26, s29, v26
	s_waitcnt lgkmcnt(0)
	v_ashrrev_i32_e32 v87, s3, v87
	v_lshlrev_b32_e32 v87, 2, v87
	v_and_b32_e32 v61, 0x3030303, v26
	v_bfe_u32 v26, v26, 24, 2
	v_and_b32_e32 v87, 0x4040404, v87
	;; [unrolled: 31-line block ×3, first 2 shown]
	v_sub_u16_e32 v126, v61, v87
	v_sub_u16_sdwa v127, v61, v87 dst_sel:BYTE_1 dst_unused:UNUSED_PAD src0_sel:BYTE_1 src1_sel:BYTE_1
	v_sub_u16_sdwa v26, v26, v87 dst_sel:BYTE_1 dst_unused:UNUSED_PAD src0_sel:DWORD src1_sel:BYTE_3
	v_sub_u16_sdwa v61, v61, v87 dst_sel:DWORD dst_unused:UNUSED_PAD src0_sel:WORD_1 src1_sel:WORD_1
	v_or_b32_sdwa v126, v126, v127 dst_sel:DWORD dst_unused:UNUSED_PAD src0_sel:BYTE_0 src1_sel:DWORD
	v_or_b32_sdwa v26, v61, v26 dst_sel:WORD_1 dst_unused:UNUSED_PAD src0_sel:BYTE_0 src1_sel:DWORD
	v_ashrrev_i32_e32 v61, s3, v88
	v_or_b32_sdwa v126, v126, v26 dst_sel:DWORD dst_unused:UNUSED_PAD src0_sel:WORD_0 src1_sel:DWORD
	v_ashrrev_i32_e32 v26, s29, v27
	v_lshlrev_b32_e32 v61, 2, v61
	v_and_b32_e32 v27, 0x3030303, v26
	v_bfe_u32 v26, v26, 24, 2
	v_and_b32_e32 v61, 0x4040404, v61
	v_sub_u16_e32 v87, v27, v61
	v_sub_u16_sdwa v88, v27, v61 dst_sel:BYTE_1 dst_unused:UNUSED_PAD src0_sel:BYTE_1 src1_sel:BYTE_1
	v_sub_u16_sdwa v26, v26, v61 dst_sel:BYTE_1 dst_unused:UNUSED_PAD src0_sel:DWORD src1_sel:BYTE_3
	v_sub_u16_sdwa v27, v27, v61 dst_sel:DWORD dst_unused:UNUSED_PAD src0_sel:WORD_1 src1_sel:WORD_1
	v_or_b32_sdwa v87, v87, v88 dst_sel:DWORD dst_unused:UNUSED_PAD src0_sel:BYTE_0 src1_sel:DWORD
	v_or_b32_sdwa v26, v27, v26 dst_sel:WORD_1 dst_unused:UNUSED_PAD src0_sel:BYTE_0 src1_sel:DWORD
	v_or_b32_sdwa v127, v87, v26 dst_sel:DWORD dst_unused:UNUSED_PAD src0_sel:WORD_0 src1_sel:DWORD
	v_add_u32_e32 v26, s28, v79
	v_add3_u32 v27, s19, v104, v105
	ds_read_b32 v61, v27
	ds_read_u16 v26, v26 offset:26354
	v_dot4_i32_i8 v27, v89, v5, 0
	v_dot4_i32_i8 v27, v93, v6, v27
	;; [unrolled: 1-line block ×4, first 2 shown]
	s_waitcnt lgkmcnt(0)
	v_lshrrev_b16_e32 v88, 8, v26
	v_bfe_i32 v26, v26, 0, 8
	v_dot4_i32_i8 v87, v124, v1, 0
	v_mul_lo_u32 v26, v27, v26
	v_dot4_i32_i8 v87, v125, v2, v87
	v_dot4_i32_i8 v87, v126, v3, v87
	;; [unrolled: 1-line block ×3, first 2 shown]
	v_bfe_i32 v88, v88, 0, 8
                                        ; kill: def $vgpr27 killed $sgpr0 killed $exec
	v_add3_u32 v89, s30, v106, v107
	v_mad_u64_u32 v[26:27], s[34:35], v87, v88, v[26:27]
	v_mul_f32_e32 v27, v120, v61
	ds_read2_b32 v[87:88], v89 offset1:1
	v_cvt_f32_i32_e32 v26, v26
	v_fmac_f32_e32 v76, v27, v26
	v_add_u32_e32 v26, 0x2100, v121
	ds_read2_b32 v[26:27], v26 offset1:1
	s_waitcnt lgkmcnt(1)
	v_ashrrev_i32_e32 v87, s3, v87
	v_lshlrev_b32_e32 v87, 2, v87
	v_and_b32_e32 v87, 0x4040404, v87
	s_waitcnt lgkmcnt(0)
	v_ashrrev_i32_e32 v26, s29, v26
	v_and_b32_e32 v61, 0x3030303, v26
	v_bfe_u32 v26, v26, 24, 2
	v_sub_u16_e32 v93, v61, v87
	v_sub_u16_sdwa v122, v61, v87 dst_sel:BYTE_1 dst_unused:UNUSED_PAD src0_sel:BYTE_1 src1_sel:BYTE_1
	v_sub_u16_sdwa v26, v26, v87 dst_sel:BYTE_1 dst_unused:UNUSED_PAD src0_sel:DWORD src1_sel:BYTE_3
	v_sub_u16_sdwa v61, v61, v87 dst_sel:DWORD dst_unused:UNUSED_PAD src0_sel:WORD_1 src1_sel:WORD_1
	v_or_b32_sdwa v93, v93, v122 dst_sel:DWORD dst_unused:UNUSED_PAD src0_sel:BYTE_0 src1_sel:DWORD
	v_or_b32_sdwa v26, v61, v26 dst_sel:WORD_1 dst_unused:UNUSED_PAD src0_sel:BYTE_0 src1_sel:DWORD
	v_ashrrev_i32_e32 v61, s3, v88
	v_or_b32_sdwa v93, v93, v26 dst_sel:DWORD dst_unused:UNUSED_PAD src0_sel:WORD_0 src1_sel:DWORD
	v_ashrrev_i32_e32 v26, s29, v27
	v_lshlrev_b32_e32 v61, 2, v61
	v_and_b32_e32 v27, 0x3030303, v26
	v_bfe_u32 v26, v26, 24, 2
	v_and_b32_e32 v61, 0x4040404, v61
	v_sub_u16_e32 v87, v27, v61
	v_sub_u16_sdwa v88, v27, v61 dst_sel:BYTE_1 dst_unused:UNUSED_PAD src0_sel:BYTE_1 src1_sel:BYTE_1
	v_sub_u16_sdwa v26, v26, v61 dst_sel:BYTE_1 dst_unused:UNUSED_PAD src0_sel:DWORD src1_sel:BYTE_3
	v_sub_u16_sdwa v27, v27, v61 dst_sel:DWORD dst_unused:UNUSED_PAD src0_sel:WORD_1 src1_sel:WORD_1
	v_or_b32_sdwa v87, v87, v88 dst_sel:DWORD dst_unused:UNUSED_PAD src0_sel:BYTE_0 src1_sel:DWORD
	v_or_b32_sdwa v26, v27, v26 dst_sel:WORD_1 dst_unused:UNUSED_PAD src0_sel:BYTE_0 src1_sel:DWORD
	v_or_b32_sdwa v122, v87, v26 dst_sel:DWORD dst_unused:UNUSED_PAD src0_sel:WORD_0 src1_sel:DWORD
	v_add_u32_e32 v26, 0x2108, v121
	ds_read2_b32 v[26:27], v26 offset1:1
	ds_read2_b32 v[87:88], v89 offset0:2 offset1:3
	s_waitcnt lgkmcnt(1)
	v_ashrrev_i32_e32 v26, s29, v26
	s_waitcnt lgkmcnt(0)
	v_ashrrev_i32_e32 v87, s3, v87
	v_lshlrev_b32_e32 v87, 2, v87
	v_and_b32_e32 v61, 0x3030303, v26
	v_bfe_u32 v26, v26, 24, 2
	v_and_b32_e32 v87, 0x4040404, v87
	v_sub_u16_e32 v123, v61, v87
	v_sub_u16_sdwa v124, v61, v87 dst_sel:BYTE_1 dst_unused:UNUSED_PAD src0_sel:BYTE_1 src1_sel:BYTE_1
	v_sub_u16_sdwa v26, v26, v87 dst_sel:BYTE_1 dst_unused:UNUSED_PAD src0_sel:DWORD src1_sel:BYTE_3
	v_sub_u16_sdwa v61, v61, v87 dst_sel:DWORD dst_unused:UNUSED_PAD src0_sel:WORD_1 src1_sel:WORD_1
	v_or_b32_sdwa v123, v123, v124 dst_sel:DWORD dst_unused:UNUSED_PAD src0_sel:BYTE_0 src1_sel:DWORD
	v_or_b32_sdwa v26, v61, v26 dst_sel:WORD_1 dst_unused:UNUSED_PAD src0_sel:BYTE_0 src1_sel:DWORD
	v_ashrrev_i32_e32 v61, s3, v88
	v_or_b32_sdwa v123, v123, v26 dst_sel:DWORD dst_unused:UNUSED_PAD src0_sel:WORD_0 src1_sel:DWORD
	v_ashrrev_i32_e32 v26, s29, v27
	v_lshlrev_b32_e32 v61, 2, v61
	v_and_b32_e32 v27, 0x3030303, v26
	v_bfe_u32 v26, v26, 24, 2
	v_and_b32_e32 v61, 0x4040404, v61
	v_sub_u16_e32 v87, v27, v61
	v_sub_u16_sdwa v88, v27, v61 dst_sel:BYTE_1 dst_unused:UNUSED_PAD src0_sel:BYTE_1 src1_sel:BYTE_1
	v_sub_u16_sdwa v26, v26, v61 dst_sel:BYTE_1 dst_unused:UNUSED_PAD src0_sel:DWORD src1_sel:BYTE_3
	v_sub_u16_sdwa v27, v27, v61 dst_sel:DWORD dst_unused:UNUSED_PAD src0_sel:WORD_1 src1_sel:WORD_1
	v_or_b32_sdwa v87, v87, v88 dst_sel:DWORD dst_unused:UNUSED_PAD src0_sel:BYTE_0 src1_sel:DWORD
	v_or_b32_sdwa v26, v27, v26 dst_sel:WORD_1 dst_unused:UNUSED_PAD src0_sel:BYTE_0 src1_sel:DWORD
	v_or_b32_sdwa v124, v87, v26 dst_sel:DWORD dst_unused:UNUSED_PAD src0_sel:WORD_0 src1_sel:DWORD
	v_add_u32_e32 v26, 0x2110, v121
	ds_read2_b32 v[26:27], v26 offset1:1
	ds_read2_b32 v[87:88], v89 offset0:4 offset1:5
	s_waitcnt lgkmcnt(1)
	v_ashrrev_i32_e32 v26, s29, v26
	s_waitcnt lgkmcnt(0)
	v_ashrrev_i32_e32 v87, s3, v87
	v_lshlrev_b32_e32 v87, 2, v87
	v_and_b32_e32 v61, 0x3030303, v26
	v_bfe_u32 v26, v26, 24, 2
	v_and_b32_e32 v87, 0x4040404, v87
	v_sub_u16_e32 v125, v61, v87
	v_sub_u16_sdwa v126, v61, v87 dst_sel:BYTE_1 dst_unused:UNUSED_PAD src0_sel:BYTE_1 src1_sel:BYTE_1
	v_sub_u16_sdwa v26, v26, v87 dst_sel:BYTE_1 dst_unused:UNUSED_PAD src0_sel:DWORD src1_sel:BYTE_3
	v_sub_u16_sdwa v61, v61, v87 dst_sel:DWORD dst_unused:UNUSED_PAD src0_sel:WORD_1 src1_sel:WORD_1
	v_or_b32_sdwa v125, v125, v126 dst_sel:DWORD dst_unused:UNUSED_PAD src0_sel:BYTE_0 src1_sel:DWORD
	v_or_b32_sdwa v26, v61, v26 dst_sel:WORD_1 dst_unused:UNUSED_PAD src0_sel:BYTE_0 src1_sel:DWORD
	v_ashrrev_i32_e32 v61, s3, v88
	v_or_b32_sdwa v125, v125, v26 dst_sel:DWORD dst_unused:UNUSED_PAD src0_sel:WORD_0 src1_sel:DWORD
	v_ashrrev_i32_e32 v26, s29, v27
	v_lshlrev_b32_e32 v61, 2, v61
	v_and_b32_e32 v27, 0x3030303, v26
	v_bfe_u32 v26, v26, 24, 2
	v_and_b32_e32 v61, 0x4040404, v61
	v_sub_u16_e32 v87, v27, v61
	v_sub_u16_sdwa v88, v27, v61 dst_sel:BYTE_1 dst_unused:UNUSED_PAD src0_sel:BYTE_1 src1_sel:BYTE_1
	v_sub_u16_sdwa v26, v26, v61 dst_sel:BYTE_1 dst_unused:UNUSED_PAD src0_sel:DWORD src1_sel:BYTE_3
	v_sub_u16_sdwa v27, v27, v61 dst_sel:DWORD dst_unused:UNUSED_PAD src0_sel:WORD_1 src1_sel:WORD_1
	v_or_b32_sdwa v87, v87, v88 dst_sel:DWORD dst_unused:UNUSED_PAD src0_sel:BYTE_0 src1_sel:DWORD
	v_or_b32_sdwa v26, v27, v26 dst_sel:WORD_1 dst_unused:UNUSED_PAD src0_sel:BYTE_0 src1_sel:DWORD
	v_or_b32_sdwa v126, v87, v26 dst_sel:DWORD dst_unused:UNUSED_PAD src0_sel:WORD_0 src1_sel:DWORD
	v_add_u32_e32 v26, 0x2118, v121
	ds_read2_b32 v[26:27], v26 offset1:1
	ds_read2_b32 v[87:88], v89 offset0:6 offset1:7
	s_waitcnt lgkmcnt(1)
	v_ashrrev_i32_e32 v26, s29, v26
	s_waitcnt lgkmcnt(0)
	v_ashrrev_i32_e32 v87, s3, v87
	v_lshlrev_b32_e32 v87, 2, v87
	v_and_b32_e32 v61, 0x3030303, v26
	v_bfe_u32 v26, v26, 24, 2
	v_and_b32_e32 v87, 0x4040404, v87
	v_sub_u16_e32 v89, v61, v87
	v_sub_u16_sdwa v127, v61, v87 dst_sel:BYTE_1 dst_unused:UNUSED_PAD src0_sel:BYTE_1 src1_sel:BYTE_1
	v_sub_u16_sdwa v26, v26, v87 dst_sel:BYTE_1 dst_unused:UNUSED_PAD src0_sel:DWORD src1_sel:BYTE_3
	v_sub_u16_sdwa v61, v61, v87 dst_sel:DWORD dst_unused:UNUSED_PAD src0_sel:WORD_1 src1_sel:WORD_1
	v_or_b32_sdwa v89, v89, v127 dst_sel:DWORD dst_unused:UNUSED_PAD src0_sel:BYTE_0 src1_sel:DWORD
	v_or_b32_sdwa v26, v61, v26 dst_sel:WORD_1 dst_unused:UNUSED_PAD src0_sel:BYTE_0 src1_sel:DWORD
	v_ashrrev_i32_e32 v61, s3, v88
	v_or_b32_sdwa v127, v89, v26 dst_sel:DWORD dst_unused:UNUSED_PAD src0_sel:WORD_0 src1_sel:DWORD
	v_ashrrev_i32_e32 v26, s29, v27
	v_lshlrev_b32_e32 v61, 2, v61
	v_and_b32_e32 v27, 0x3030303, v26
	v_bfe_u32 v26, v26, 24, 2
	v_and_b32_e32 v61, 0x4040404, v61
	v_sub_u16_e32 v87, v27, v61
	v_sub_u16_sdwa v88, v27, v61 dst_sel:BYTE_1 dst_unused:UNUSED_PAD src0_sel:BYTE_1 src1_sel:BYTE_1
	v_sub_u16_sdwa v26, v26, v61 dst_sel:BYTE_1 dst_unused:UNUSED_PAD src0_sel:DWORD src1_sel:BYTE_3
	v_sub_u16_sdwa v27, v27, v61 dst_sel:DWORD dst_unused:UNUSED_PAD src0_sel:WORD_1 src1_sel:WORD_1
	v_or_b32_sdwa v87, v87, v88 dst_sel:DWORD dst_unused:UNUSED_PAD src0_sel:BYTE_0 src1_sel:DWORD
	v_or_b32_sdwa v26, v27, v26 dst_sel:WORD_1 dst_unused:UNUSED_PAD src0_sel:BYTE_0 src1_sel:DWORD
	v_or_b32_sdwa v89, v87, v26 dst_sel:DWORD dst_unused:UNUSED_PAD src0_sel:WORD_0 src1_sel:DWORD
	v_add_u32_e32 v26, s28, v78
	v_add3_u32 v27, s19, v108, v109
	ds_read_b32 v61, v27
	ds_read_u16 v26, v26 offset:27378
	v_dot4_i32_i8 v27, v93, v5, 0
	v_dot4_i32_i8 v27, v122, v6, v27
	;; [unrolled: 1-line block ×4, first 2 shown]
	s_waitcnt lgkmcnt(0)
	v_lshrrev_b16_e32 v88, 8, v26
	v_bfe_i32 v26, v26, 0, 8
	v_dot4_i32_i8 v87, v125, v1, 0
	v_mul_lo_u32 v26, v27, v26
	v_dot4_i32_i8 v87, v126, v2, v87
	v_dot4_i32_i8 v87, v127, v3, v87
	;; [unrolled: 1-line block ×3, first 2 shown]
	v_bfe_i32 v88, v88, 0, 8
                                        ; kill: def $vgpr27 killed $sgpr0 killed $exec
	v_add3_u32 v89, s30, v110, v111
	v_mad_u64_u32 v[26:27], s[34:35], v87, v88, v[26:27]
	v_mul_f32_e32 v27, v120, v61
	ds_read2_b32 v[87:88], v89 offset1:1
	v_cvt_f32_i32_e32 v26, v26
	v_fmac_f32_e32 v75, v27, v26
	v_add_u32_e32 v26, 0x3180, v121
	ds_read2_b32 v[26:27], v26 offset1:1
	s_waitcnt lgkmcnt(1)
	v_ashrrev_i32_e32 v87, s3, v87
	v_lshlrev_b32_e32 v87, 2, v87
	v_and_b32_e32 v87, 0x4040404, v87
	s_waitcnt lgkmcnt(0)
	v_ashrrev_i32_e32 v26, s29, v26
	v_and_b32_e32 v61, 0x3030303, v26
	v_bfe_u32 v26, v26, 24, 2
	v_sub_u16_e32 v93, v61, v87
	v_sub_u16_sdwa v122, v61, v87 dst_sel:BYTE_1 dst_unused:UNUSED_PAD src0_sel:BYTE_1 src1_sel:BYTE_1
	v_sub_u16_sdwa v26, v26, v87 dst_sel:BYTE_1 dst_unused:UNUSED_PAD src0_sel:DWORD src1_sel:BYTE_3
	v_sub_u16_sdwa v61, v61, v87 dst_sel:DWORD dst_unused:UNUSED_PAD src0_sel:WORD_1 src1_sel:WORD_1
	v_or_b32_sdwa v93, v93, v122 dst_sel:DWORD dst_unused:UNUSED_PAD src0_sel:BYTE_0 src1_sel:DWORD
	v_or_b32_sdwa v26, v61, v26 dst_sel:WORD_1 dst_unused:UNUSED_PAD src0_sel:BYTE_0 src1_sel:DWORD
	v_ashrrev_i32_e32 v61, s3, v88
	v_or_b32_sdwa v93, v93, v26 dst_sel:DWORD dst_unused:UNUSED_PAD src0_sel:WORD_0 src1_sel:DWORD
	v_ashrrev_i32_e32 v26, s29, v27
	v_lshlrev_b32_e32 v61, 2, v61
	v_and_b32_e32 v27, 0x3030303, v26
	v_bfe_u32 v26, v26, 24, 2
	v_and_b32_e32 v61, 0x4040404, v61
	v_sub_u16_e32 v87, v27, v61
	v_sub_u16_sdwa v88, v27, v61 dst_sel:BYTE_1 dst_unused:UNUSED_PAD src0_sel:BYTE_1 src1_sel:BYTE_1
	v_sub_u16_sdwa v26, v26, v61 dst_sel:BYTE_1 dst_unused:UNUSED_PAD src0_sel:DWORD src1_sel:BYTE_3
	v_sub_u16_sdwa v27, v27, v61 dst_sel:DWORD dst_unused:UNUSED_PAD src0_sel:WORD_1 src1_sel:WORD_1
	v_or_b32_sdwa v87, v87, v88 dst_sel:DWORD dst_unused:UNUSED_PAD src0_sel:BYTE_0 src1_sel:DWORD
	v_or_b32_sdwa v26, v27, v26 dst_sel:WORD_1 dst_unused:UNUSED_PAD src0_sel:BYTE_0 src1_sel:DWORD
	v_or_b32_sdwa v122, v87, v26 dst_sel:DWORD dst_unused:UNUSED_PAD src0_sel:WORD_0 src1_sel:DWORD
	v_add_u32_e32 v26, 0x3188, v121
	ds_read2_b32 v[26:27], v26 offset1:1
	ds_read2_b32 v[87:88], v89 offset0:2 offset1:3
	v_dot4_i32_i8 v5, v93, v5, 0
	v_dot4_i32_i8 v5, v122, v6, v5
	s_waitcnt lgkmcnt(1)
	v_ashrrev_i32_e32 v26, s29, v26
	s_waitcnt lgkmcnt(0)
	v_ashrrev_i32_e32 v87, s3, v87
	v_lshlrev_b32_e32 v87, 2, v87
	v_and_b32_e32 v61, 0x3030303, v26
	v_bfe_u32 v26, v26, 24, 2
	v_and_b32_e32 v87, 0x4040404, v87
	v_sub_u16_e32 v123, v61, v87
	v_sub_u16_sdwa v124, v61, v87 dst_sel:BYTE_1 dst_unused:UNUSED_PAD src0_sel:BYTE_1 src1_sel:BYTE_1
	v_sub_u16_sdwa v26, v26, v87 dst_sel:BYTE_1 dst_unused:UNUSED_PAD src0_sel:DWORD src1_sel:BYTE_3
	v_sub_u16_sdwa v61, v61, v87 dst_sel:DWORD dst_unused:UNUSED_PAD src0_sel:WORD_1 src1_sel:WORD_1
	v_or_b32_sdwa v123, v123, v124 dst_sel:DWORD dst_unused:UNUSED_PAD src0_sel:BYTE_0 src1_sel:DWORD
	v_or_b32_sdwa v26, v61, v26 dst_sel:WORD_1 dst_unused:UNUSED_PAD src0_sel:BYTE_0 src1_sel:DWORD
	v_ashrrev_i32_e32 v61, s3, v88
	v_or_b32_sdwa v123, v123, v26 dst_sel:DWORD dst_unused:UNUSED_PAD src0_sel:WORD_0 src1_sel:DWORD
	v_ashrrev_i32_e32 v26, s29, v27
	v_lshlrev_b32_e32 v61, 2, v61
	v_and_b32_e32 v27, 0x3030303, v26
	v_bfe_u32 v26, v26, 24, 2
	v_and_b32_e32 v61, 0x4040404, v61
	v_sub_u16_e32 v87, v27, v61
	v_sub_u16_sdwa v88, v27, v61 dst_sel:BYTE_1 dst_unused:UNUSED_PAD src0_sel:BYTE_1 src1_sel:BYTE_1
	v_sub_u16_sdwa v26, v26, v61 dst_sel:BYTE_1 dst_unused:UNUSED_PAD src0_sel:DWORD src1_sel:BYTE_3
	v_sub_u16_sdwa v27, v27, v61 dst_sel:DWORD dst_unused:UNUSED_PAD src0_sel:WORD_1 src1_sel:WORD_1
	v_or_b32_sdwa v87, v87, v88 dst_sel:DWORD dst_unused:UNUSED_PAD src0_sel:BYTE_0 src1_sel:DWORD
	v_or_b32_sdwa v26, v27, v26 dst_sel:WORD_1 dst_unused:UNUSED_PAD src0_sel:BYTE_0 src1_sel:DWORD
	v_or_b32_sdwa v124, v87, v26 dst_sel:DWORD dst_unused:UNUSED_PAD src0_sel:WORD_0 src1_sel:DWORD
	v_add_u32_e32 v26, 0x3190, v121
	ds_read2_b32 v[26:27], v26 offset1:1
	ds_read2_b32 v[87:88], v89 offset0:4 offset1:5
	v_dot4_i32_i8 v5, v123, v7, v5
	v_dot4_i32_i8 v5, v124, v8, v5
	s_waitcnt lgkmcnt(1)
	v_ashrrev_i32_e32 v26, s29, v26
	s_waitcnt lgkmcnt(0)
	v_ashrrev_i32_e32 v87, s3, v87
	v_lshlrev_b32_e32 v87, 2, v87
	v_and_b32_e32 v61, 0x3030303, v26
	v_bfe_u32 v26, v26, 24, 2
	v_and_b32_e32 v87, 0x4040404, v87
	;; [unrolled: 33-line block ×3, first 2 shown]
	v_sub_u16_e32 v89, v61, v87
	v_sub_u16_sdwa v121, v61, v87 dst_sel:BYTE_1 dst_unused:UNUSED_PAD src0_sel:BYTE_1 src1_sel:BYTE_1
	v_sub_u16_sdwa v26, v26, v87 dst_sel:BYTE_1 dst_unused:UNUSED_PAD src0_sel:DWORD src1_sel:BYTE_3
	v_sub_u16_sdwa v61, v61, v87 dst_sel:DWORD dst_unused:UNUSED_PAD src0_sel:WORD_1 src1_sel:WORD_1
	v_or_b32_sdwa v89, v89, v121 dst_sel:DWORD dst_unused:UNUSED_PAD src0_sel:BYTE_0 src1_sel:DWORD
	v_or_b32_sdwa v26, v61, v26 dst_sel:WORD_1 dst_unused:UNUSED_PAD src0_sel:BYTE_0 src1_sel:DWORD
	v_ashrrev_i32_e32 v61, s3, v88
	v_or_b32_sdwa v121, v89, v26 dst_sel:DWORD dst_unused:UNUSED_PAD src0_sel:WORD_0 src1_sel:DWORD
	v_ashrrev_i32_e32 v26, s29, v27
	v_lshlrev_b32_e32 v61, 2, v61
	v_and_b32_e32 v27, 0x3030303, v26
	v_bfe_u32 v26, v26, 24, 2
	v_and_b32_e32 v61, 0x4040404, v61
	v_sub_u16_e32 v87, v27, v61
	v_sub_u16_sdwa v88, v27, v61 dst_sel:BYTE_1 dst_unused:UNUSED_PAD src0_sel:BYTE_1 src1_sel:BYTE_1
	v_sub_u16_sdwa v26, v26, v61 dst_sel:BYTE_1 dst_unused:UNUSED_PAD src0_sel:DWORD src1_sel:BYTE_3
	v_sub_u16_sdwa v27, v27, v61 dst_sel:DWORD dst_unused:UNUSED_PAD src0_sel:WORD_1 src1_sel:WORD_1
	v_or_b32_sdwa v87, v87, v88 dst_sel:DWORD dst_unused:UNUSED_PAD src0_sel:BYTE_0 src1_sel:DWORD
	v_or_b32_sdwa v26, v27, v26 dst_sel:WORD_1 dst_unused:UNUSED_PAD src0_sel:BYTE_0 src1_sel:DWORD
	v_or_b32_sdwa v127, v87, v26 dst_sel:DWORD dst_unused:UNUSED_PAD src0_sel:WORD_0 src1_sel:DWORD
	v_add_u32_e32 v88, s28, v77
	v_add3_u32 v26, s19, v112, v113
	v_dot4_i32_i8 v1, v121, v3, v1
	ds_read_b32 v89, v26
	v_dot4_i32_i8 v2, v127, v4, v1
	ds_read_u16 v1, v88 offset:28402
	s_add_i32 s3, s3, 1
	s_cmp_lt_u32 s18, 22
	s_mov_b32 s19, s18
	s_waitcnt lgkmcnt(0)
	v_lshrrev_b16_e32 v3, 8, v1
	v_bfe_i32 v1, v1, 0, 8
	v_mul_lo_u32 v1, v5, v1
	v_bfe_i32 v3, v3, 0, 8
	v_mad_u64_u32 v[1:2], s[28:29], v2, v3, v[1:2]
	v_mul_f32_e32 v2, v120, v89
	v_cvt_f32_i32_e32 v1, v1
	v_fmac_f32_e32 v25, v2, v1
	s_cbranch_scc1 .LBB230_27
; %bb.28:                               ;   in Loop: Header=BB230_5 Depth=1
	s_or_b32 s2, s26, 0x180
	s_cmp_ge_i32 s2, s9
	s_barrier
	s_cbranch_scc1 .LBB230_4
; %bb.29:                               ;   in Loop: Header=BB230_5 Depth=1
	buffer_load_dword v1, off, s[36:39], 0 offset:12 ; 4-byte Folded Reload
	s_waitcnt vmcnt(0)
	v_add_u32_e32 v1, s27, v1
	v_cmp_gt_i32_e64 s[2:3], s12, v1
	s_and_b64 s[18:19], s[0:1], s[2:3]
	s_and_saveexec_b64 s[2:3], s[18:19]
	s_cbranch_execz .LBB230_31
; %bb.30:                               ;   in Loop: Header=BB230_5 Depth=1
	buffer_load_dword v2, off, s[36:39], 0  ; 4-byte Folded Reload
	buffer_load_dword v3, off, s[36:39], 0 offset:4 ; 4-byte Folded Reload
	v_add_u32_e32 v1, v90, v1
	s_waitcnt vmcnt(0)
	v_mad_i64_i32 v[1:2], s[18:19], v1, 36, v[2:3]
	global_load_dword v1, v[1:2], off offset:4
	s_waitcnt vmcnt(0)
	ds_write_b32 v72, v1
.LBB230_31:                             ;   in Loop: Header=BB230_5 Depth=1
	s_or_b64 exec, exec, s[2:3]
	s_and_saveexec_b64 s[18:19], vcc
	s_cbranch_execz .LBB230_34
; %bb.32:                               ;   in Loop: Header=BB230_5 Depth=1
	v_or_b32_e32 v1, 12, v117
	v_cmp_gt_i32_e64 s[2:3], s12, v1
	s_and_b64 s[2:3], s[0:1], s[2:3]
	s_and_b64 exec, exec, s[2:3]
	s_cbranch_execz .LBB230_34
; %bb.33:                               ;   in Loop: Header=BB230_5 Depth=1
	v_ashrrev_i32_e32 v1, 31, v117
	v_add_co_u32_e64 v2, s[2:3], v90, v117
	v_ashrrev_i32_e32 v3, 31, v90
	v_addc_co_u32_e64 v3, s[2:3], v3, v1, s[2:3]
	v_mad_u64_u32 v[1:2], s[2:3], v2, 36, s[6:7]
	v_mad_i32_i24 v2, v3, 36, v2
	global_load_dword v1, v[1:2], off offset:432
	s_waitcnt vmcnt(0)
	v_cvt_f32_f16_e32 v1, v1
	ds_write_b32 v74, v1
.LBB230_34:                             ;   in Loop: Header=BB230_5 Depth=1
	s_or_b64 exec, exec, s[18:19]
	s_mov_b32 s2, 24
	s_mov_b32 s19, 22
	;; [unrolled: 1-line block ×3, first 2 shown]
	v_mov_b32_e32 v117, v71
	v_mov_b32_e32 v118, v73
	s_waitcnt lgkmcnt(0)
	s_barrier
.LBB230_35:                             ;   Parent Loop BB230_5 Depth=1
                                        ; =>  This Inner Loop Header: Depth=2
	s_add_i32 s18, s19, 2
	s_lshr_b32 s29, s18, 4
	s_and_b32 s28, s18, 0x3ffffff8
	v_lshl_add_u32 v120, s28, 2, v91
	s_lshl_b32 s28, s29, 5
	s_addk_i32 s28, 0x4200
	v_add3_u32 v125, s28, v114, v101
	ds_read_b32 v119, v118
	ds_read_b128 v[5:8], v117
	ds_read_b128 v[1:4], v117 offset:16
	ds_read2_b32 v[26:27], v120 offset1:1
	ds_read2_b32 v[87:88], v125 offset1:1
	s_sub_i32 s27, s19, 22
	s_and_b32 s26, s2, -16
	s_add_i32 s26, s19, s26
	s_waitcnt lgkmcnt(1)
	v_ashrrev_i32_e32 v26, s27, v26
	s_waitcnt lgkmcnt(0)
	v_ashrrev_i32_e32 v87, s3, v87
	v_lshlrev_b32_e32 v87, 2, v87
	v_and_b32_e32 v61, 0x3030303, v26
	v_bfe_u32 v26, v26, 24, 2
	v_and_b32_e32 v87, 0x4040404, v87
	v_sub_u16_e32 v89, v61, v87
	v_sub_u16_sdwa v93, v61, v87 dst_sel:BYTE_1 dst_unused:UNUSED_PAD src0_sel:BYTE_1 src1_sel:BYTE_1
	v_sub_u16_sdwa v26, v26, v87 dst_sel:BYTE_1 dst_unused:UNUSED_PAD src0_sel:DWORD src1_sel:BYTE_3
	v_sub_u16_sdwa v61, v61, v87 dst_sel:DWORD dst_unused:UNUSED_PAD src0_sel:WORD_1 src1_sel:WORD_1
	v_or_b32_sdwa v89, v89, v93 dst_sel:DWORD dst_unused:UNUSED_PAD src0_sel:BYTE_0 src1_sel:DWORD
	v_or_b32_sdwa v26, v61, v26 dst_sel:WORD_1 dst_unused:UNUSED_PAD src0_sel:BYTE_0 src1_sel:DWORD
	v_ashrrev_i32_e32 v61, s3, v88
	v_or_b32_sdwa v93, v89, v26 dst_sel:DWORD dst_unused:UNUSED_PAD src0_sel:WORD_0 src1_sel:DWORD
	v_ashrrev_i32_e32 v26, s27, v27
	v_lshlrev_b32_e32 v61, 2, v61
	v_and_b32_e32 v27, 0x3030303, v26
	v_bfe_u32 v26, v26, 24, 2
	v_and_b32_e32 v61, 0x4040404, v61
	v_sub_u16_e32 v87, v27, v61
	v_sub_u16_sdwa v88, v27, v61 dst_sel:BYTE_1 dst_unused:UNUSED_PAD src0_sel:BYTE_1 src1_sel:BYTE_1
	v_sub_u16_sdwa v26, v26, v61 dst_sel:BYTE_1 dst_unused:UNUSED_PAD src0_sel:DWORD src1_sel:BYTE_3
	v_sub_u16_sdwa v27, v27, v61 dst_sel:DWORD dst_unused:UNUSED_PAD src0_sel:WORD_1 src1_sel:WORD_1
	v_or_b32_sdwa v87, v87, v88 dst_sel:DWORD dst_unused:UNUSED_PAD src0_sel:BYTE_0 src1_sel:DWORD
	v_or_b32_sdwa v26, v27, v26 dst_sel:WORD_1 dst_unused:UNUSED_PAD src0_sel:BYTE_0 src1_sel:DWORD
	v_or_b32_sdwa v121, v87, v26 dst_sel:DWORD dst_unused:UNUSED_PAD src0_sel:WORD_0 src1_sel:DWORD
	ds_read2_b32 v[26:27], v120 offset0:2 offset1:3
	ds_read2_b32 v[87:88], v125 offset0:2 offset1:3
	s_lshl_b32 s19, s29, 2
	s_addk_i32 s19, 0x7380
	s_add_i32 s2, s2, 2
	s_waitcnt lgkmcnt(1)
	v_ashrrev_i32_e32 v26, s27, v26
	s_waitcnt lgkmcnt(0)
	v_ashrrev_i32_e32 v87, s3, v87
	v_lshlrev_b32_e32 v87, 2, v87
	v_and_b32_e32 v61, 0x3030303, v26
	v_bfe_u32 v26, v26, 24, 2
	v_and_b32_e32 v87, 0x4040404, v87
	v_sub_u16_e32 v89, v61, v87
	v_sub_u16_sdwa v122, v61, v87 dst_sel:BYTE_1 dst_unused:UNUSED_PAD src0_sel:BYTE_1 src1_sel:BYTE_1
	v_sub_u16_sdwa v26, v26, v87 dst_sel:BYTE_1 dst_unused:UNUSED_PAD src0_sel:DWORD src1_sel:BYTE_3
	v_sub_u16_sdwa v61, v61, v87 dst_sel:DWORD dst_unused:UNUSED_PAD src0_sel:WORD_1 src1_sel:WORD_1
	v_or_b32_sdwa v89, v89, v122 dst_sel:DWORD dst_unused:UNUSED_PAD src0_sel:BYTE_0 src1_sel:DWORD
	v_or_b32_sdwa v26, v61, v26 dst_sel:WORD_1 dst_unused:UNUSED_PAD src0_sel:BYTE_0 src1_sel:DWORD
	v_ashrrev_i32_e32 v61, s3, v88
	v_or_b32_sdwa v122, v89, v26 dst_sel:DWORD dst_unused:UNUSED_PAD src0_sel:WORD_0 src1_sel:DWORD
	v_ashrrev_i32_e32 v26, s27, v27
	v_lshlrev_b32_e32 v61, 2, v61
	v_and_b32_e32 v27, 0x3030303, v26
	v_bfe_u32 v26, v26, 24, 2
	v_and_b32_e32 v61, 0x4040404, v61
	v_sub_u16_e32 v87, v27, v61
	v_sub_u16_sdwa v88, v27, v61 dst_sel:BYTE_1 dst_unused:UNUSED_PAD src0_sel:BYTE_1 src1_sel:BYTE_1
	v_sub_u16_sdwa v26, v26, v61 dst_sel:BYTE_1 dst_unused:UNUSED_PAD src0_sel:DWORD src1_sel:BYTE_3
	v_sub_u16_sdwa v27, v27, v61 dst_sel:DWORD dst_unused:UNUSED_PAD src0_sel:WORD_1 src1_sel:WORD_1
	v_or_b32_sdwa v87, v87, v88 dst_sel:DWORD dst_unused:UNUSED_PAD src0_sel:BYTE_0 src1_sel:DWORD
	v_or_b32_sdwa v26, v27, v26 dst_sel:WORD_1 dst_unused:UNUSED_PAD src0_sel:BYTE_0 src1_sel:DWORD
	v_or_b32_sdwa v89, v87, v26 dst_sel:DWORD dst_unused:UNUSED_PAD src0_sel:WORD_0 src1_sel:DWORD
	ds_read2_b32 v[26:27], v120 offset0:4 offset1:5
	ds_read2_b32 v[87:88], v125 offset0:4 offset1:5
	v_add_u32_e32 v118, 4, v118
	v_add_u32_e32 v117, 32, v117
	s_waitcnt lgkmcnt(1)
	v_ashrrev_i32_e32 v26, s27, v26
	s_waitcnt lgkmcnt(0)
	v_ashrrev_i32_e32 v87, s3, v87
	v_lshlrev_b32_e32 v87, 2, v87
	v_and_b32_e32 v61, 0x3030303, v26
	v_bfe_u32 v26, v26, 24, 2
	v_and_b32_e32 v87, 0x4040404, v87
	v_sub_u16_e32 v123, v61, v87
	v_sub_u16_sdwa v124, v61, v87 dst_sel:BYTE_1 dst_unused:UNUSED_PAD src0_sel:BYTE_1 src1_sel:BYTE_1
	v_sub_u16_sdwa v26, v26, v87 dst_sel:BYTE_1 dst_unused:UNUSED_PAD src0_sel:DWORD src1_sel:BYTE_3
	v_sub_u16_sdwa v61, v61, v87 dst_sel:DWORD dst_unused:UNUSED_PAD src0_sel:WORD_1 src1_sel:WORD_1
	v_or_b32_sdwa v123, v123, v124 dst_sel:DWORD dst_unused:UNUSED_PAD src0_sel:BYTE_0 src1_sel:DWORD
	v_or_b32_sdwa v26, v61, v26 dst_sel:WORD_1 dst_unused:UNUSED_PAD src0_sel:BYTE_0 src1_sel:DWORD
	v_ashrrev_i32_e32 v61, s3, v88
	v_or_b32_sdwa v123, v123, v26 dst_sel:DWORD dst_unused:UNUSED_PAD src0_sel:WORD_0 src1_sel:DWORD
	v_ashrrev_i32_e32 v26, s27, v27
	v_lshlrev_b32_e32 v61, 2, v61
	v_and_b32_e32 v27, 0x3030303, v26
	v_bfe_u32 v26, v26, 24, 2
	v_and_b32_e32 v61, 0x4040404, v61
	v_sub_u16_e32 v87, v27, v61
	v_sub_u16_sdwa v88, v27, v61 dst_sel:BYTE_1 dst_unused:UNUSED_PAD src0_sel:BYTE_1 src1_sel:BYTE_1
	v_sub_u16_sdwa v26, v26, v61 dst_sel:BYTE_1 dst_unused:UNUSED_PAD src0_sel:DWORD src1_sel:BYTE_3
	v_sub_u16_sdwa v27, v27, v61 dst_sel:DWORD dst_unused:UNUSED_PAD src0_sel:WORD_1 src1_sel:WORD_1
	v_or_b32_sdwa v87, v87, v88 dst_sel:DWORD dst_unused:UNUSED_PAD src0_sel:BYTE_0 src1_sel:DWORD
	v_or_b32_sdwa v26, v27, v26 dst_sel:WORD_1 dst_unused:UNUSED_PAD src0_sel:BYTE_0 src1_sel:DWORD
	v_or_b32_sdwa v124, v87, v26 dst_sel:DWORD dst_unused:UNUSED_PAD src0_sel:WORD_0 src1_sel:DWORD
	ds_read2_b32 v[26:27], v120 offset0:6 offset1:7
	ds_read2_b32 v[87:88], v125 offset0:6 offset1:7
	s_waitcnt lgkmcnt(1)
	v_ashrrev_i32_e32 v26, s27, v26
	s_waitcnt lgkmcnt(0)
	v_ashrrev_i32_e32 v87, s3, v87
	v_lshlrev_b32_e32 v87, 2, v87
	v_and_b32_e32 v61, 0x3030303, v26
	v_bfe_u32 v26, v26, 24, 2
	v_and_b32_e32 v87, 0x4040404, v87
	v_sub_u16_e32 v125, v61, v87
	v_sub_u16_sdwa v126, v61, v87 dst_sel:BYTE_1 dst_unused:UNUSED_PAD src0_sel:BYTE_1 src1_sel:BYTE_1
	v_sub_u16_sdwa v26, v26, v87 dst_sel:BYTE_1 dst_unused:UNUSED_PAD src0_sel:DWORD src1_sel:BYTE_3
	v_sub_u16_sdwa v61, v61, v87 dst_sel:DWORD dst_unused:UNUSED_PAD src0_sel:WORD_1 src1_sel:WORD_1
	v_or_b32_sdwa v125, v125, v126 dst_sel:DWORD dst_unused:UNUSED_PAD src0_sel:BYTE_0 src1_sel:DWORD
	v_or_b32_sdwa v26, v61, v26 dst_sel:WORD_1 dst_unused:UNUSED_PAD src0_sel:BYTE_0 src1_sel:DWORD
	v_ashrrev_i32_e32 v61, s3, v88
	v_or_b32_sdwa v125, v125, v26 dst_sel:DWORD dst_unused:UNUSED_PAD src0_sel:WORD_0 src1_sel:DWORD
	v_ashrrev_i32_e32 v26, s27, v27
	v_lshlrev_b32_e32 v61, 2, v61
	v_and_b32_e32 v27, 0x3030303, v26
	v_bfe_u32 v26, v26, 24, 2
	v_and_b32_e32 v61, 0x4040404, v61
	v_sub_u16_e32 v87, v27, v61
	v_sub_u16_sdwa v88, v27, v61 dst_sel:BYTE_1 dst_unused:UNUSED_PAD src0_sel:BYTE_1 src1_sel:BYTE_1
	v_sub_u16_sdwa v26, v26, v61 dst_sel:BYTE_1 dst_unused:UNUSED_PAD src0_sel:DWORD src1_sel:BYTE_3
	v_sub_u16_sdwa v27, v27, v61 dst_sel:DWORD dst_unused:UNUSED_PAD src0_sel:WORD_1 src1_sel:WORD_1
	v_or_b32_sdwa v87, v87, v88 dst_sel:DWORD dst_unused:UNUSED_PAD src0_sel:BYTE_0 src1_sel:DWORD
	v_or_b32_sdwa v26, v27, v26 dst_sel:WORD_1 dst_unused:UNUSED_PAD src0_sel:BYTE_0 src1_sel:DWORD
	v_or_b32_sdwa v126, v87, v26 dst_sel:DWORD dst_unused:UNUSED_PAD src0_sel:WORD_0 src1_sel:DWORD
	v_add_u32_e32 v26, s26, v80
	v_add3_u32 v27, s19, v115, v116
	ds_read_b32 v61, v27
	ds_read_u16 v26, v26 offset:25330
	v_dot4_i32_i8 v27, v93, v5, 0
	v_dot4_i32_i8 v27, v121, v6, v27
	;; [unrolled: 1-line block ×4, first 2 shown]
	s_waitcnt lgkmcnt(0)
	v_lshrrev_b16_e32 v88, 8, v26
	v_bfe_i32 v26, v26, 0, 8
	v_dot4_i32_i8 v87, v123, v1, 0
	v_mul_lo_u32 v26, v27, v26
	v_dot4_i32_i8 v87, v124, v2, v87
	v_dot4_i32_i8 v87, v125, v3, v87
	;; [unrolled: 1-line block ×3, first 2 shown]
	v_bfe_i32 v88, v88, 0, 8
                                        ; kill: def $vgpr27 killed $sgpr0 killed $exec
	v_add3_u32 v125, s28, v102, v103
	v_mad_u64_u32 v[26:27], s[30:31], v87, v88, v[26:27]
	v_mul_f32_e32 v27, v119, v61
	ds_read2_b32 v[87:88], v125 offset1:1
	v_cvt_f32_i32_e32 v26, v26
	v_fmac_f32_e32 v29, v27, v26
	v_add_u32_e32 v26, 0x1080, v120
	ds_read2_b32 v[26:27], v26 offset1:1
	s_waitcnt lgkmcnt(1)
	v_ashrrev_i32_e32 v87, s3, v87
	v_lshlrev_b32_e32 v87, 2, v87
	v_and_b32_e32 v87, 0x4040404, v87
	s_waitcnt lgkmcnt(0)
	v_ashrrev_i32_e32 v26, s27, v26
	v_and_b32_e32 v61, 0x3030303, v26
	v_bfe_u32 v26, v26, 24, 2
	v_sub_u16_e32 v89, v61, v87
	v_sub_u16_sdwa v93, v61, v87 dst_sel:BYTE_1 dst_unused:UNUSED_PAD src0_sel:BYTE_1 src1_sel:BYTE_1
	v_sub_u16_sdwa v26, v26, v87 dst_sel:BYTE_1 dst_unused:UNUSED_PAD src0_sel:DWORD src1_sel:BYTE_3
	v_sub_u16_sdwa v61, v61, v87 dst_sel:DWORD dst_unused:UNUSED_PAD src0_sel:WORD_1 src1_sel:WORD_1
	v_or_b32_sdwa v89, v89, v93 dst_sel:DWORD dst_unused:UNUSED_PAD src0_sel:BYTE_0 src1_sel:DWORD
	v_or_b32_sdwa v26, v61, v26 dst_sel:WORD_1 dst_unused:UNUSED_PAD src0_sel:BYTE_0 src1_sel:DWORD
	v_ashrrev_i32_e32 v61, s3, v88
	v_or_b32_sdwa v89, v89, v26 dst_sel:DWORD dst_unused:UNUSED_PAD src0_sel:WORD_0 src1_sel:DWORD
	v_ashrrev_i32_e32 v26, s27, v27
	v_lshlrev_b32_e32 v61, 2, v61
	v_and_b32_e32 v27, 0x3030303, v26
	v_bfe_u32 v26, v26, 24, 2
	v_and_b32_e32 v61, 0x4040404, v61
	v_sub_u16_e32 v87, v27, v61
	v_sub_u16_sdwa v88, v27, v61 dst_sel:BYTE_1 dst_unused:UNUSED_PAD src0_sel:BYTE_1 src1_sel:BYTE_1
	v_sub_u16_sdwa v26, v26, v61 dst_sel:BYTE_1 dst_unused:UNUSED_PAD src0_sel:DWORD src1_sel:BYTE_3
	v_sub_u16_sdwa v27, v27, v61 dst_sel:DWORD dst_unused:UNUSED_PAD src0_sel:WORD_1 src1_sel:WORD_1
	v_or_b32_sdwa v87, v87, v88 dst_sel:DWORD dst_unused:UNUSED_PAD src0_sel:BYTE_0 src1_sel:DWORD
	v_or_b32_sdwa v26, v27, v26 dst_sel:WORD_1 dst_unused:UNUSED_PAD src0_sel:BYTE_0 src1_sel:DWORD
	v_or_b32_sdwa v93, v87, v26 dst_sel:DWORD dst_unused:UNUSED_PAD src0_sel:WORD_0 src1_sel:DWORD
	v_add_u32_e32 v26, 0x1088, v120
	ds_read2_b32 v[26:27], v26 offset1:1
	ds_read2_b32 v[87:88], v125 offset0:2 offset1:3
	s_waitcnt lgkmcnt(1)
	v_ashrrev_i32_e32 v26, s27, v26
	s_waitcnt lgkmcnt(0)
	v_ashrrev_i32_e32 v87, s3, v87
	v_lshlrev_b32_e32 v87, 2, v87
	v_and_b32_e32 v61, 0x3030303, v26
	v_bfe_u32 v26, v26, 24, 2
	v_and_b32_e32 v87, 0x4040404, v87
	v_sub_u16_e32 v121, v61, v87
	v_sub_u16_sdwa v122, v61, v87 dst_sel:BYTE_1 dst_unused:UNUSED_PAD src0_sel:BYTE_1 src1_sel:BYTE_1
	v_sub_u16_sdwa v26, v26, v87 dst_sel:BYTE_1 dst_unused:UNUSED_PAD src0_sel:DWORD src1_sel:BYTE_3
	v_sub_u16_sdwa v61, v61, v87 dst_sel:DWORD dst_unused:UNUSED_PAD src0_sel:WORD_1 src1_sel:WORD_1
	v_or_b32_sdwa v121, v121, v122 dst_sel:DWORD dst_unused:UNUSED_PAD src0_sel:BYTE_0 src1_sel:DWORD
	v_or_b32_sdwa v26, v61, v26 dst_sel:WORD_1 dst_unused:UNUSED_PAD src0_sel:BYTE_0 src1_sel:DWORD
	v_ashrrev_i32_e32 v61, s3, v88
	v_or_b32_sdwa v121, v121, v26 dst_sel:DWORD dst_unused:UNUSED_PAD src0_sel:WORD_0 src1_sel:DWORD
	v_ashrrev_i32_e32 v26, s27, v27
	v_lshlrev_b32_e32 v61, 2, v61
	v_and_b32_e32 v27, 0x3030303, v26
	v_bfe_u32 v26, v26, 24, 2
	v_and_b32_e32 v61, 0x4040404, v61
	v_sub_u16_e32 v87, v27, v61
	v_sub_u16_sdwa v88, v27, v61 dst_sel:BYTE_1 dst_unused:UNUSED_PAD src0_sel:BYTE_1 src1_sel:BYTE_1
	v_sub_u16_sdwa v26, v26, v61 dst_sel:BYTE_1 dst_unused:UNUSED_PAD src0_sel:DWORD src1_sel:BYTE_3
	v_sub_u16_sdwa v27, v27, v61 dst_sel:DWORD dst_unused:UNUSED_PAD src0_sel:WORD_1 src1_sel:WORD_1
	v_or_b32_sdwa v87, v87, v88 dst_sel:DWORD dst_unused:UNUSED_PAD src0_sel:BYTE_0 src1_sel:DWORD
	v_or_b32_sdwa v26, v27, v26 dst_sel:WORD_1 dst_unused:UNUSED_PAD src0_sel:BYTE_0 src1_sel:DWORD
	v_or_b32_sdwa v122, v87, v26 dst_sel:DWORD dst_unused:UNUSED_PAD src0_sel:WORD_0 src1_sel:DWORD
	v_add_u32_e32 v26, 0x1090, v120
	ds_read2_b32 v[26:27], v26 offset1:1
	ds_read2_b32 v[87:88], v125 offset0:4 offset1:5
	s_waitcnt lgkmcnt(1)
	v_ashrrev_i32_e32 v26, s27, v26
	s_waitcnt lgkmcnt(0)
	v_ashrrev_i32_e32 v87, s3, v87
	v_lshlrev_b32_e32 v87, 2, v87
	v_and_b32_e32 v61, 0x3030303, v26
	v_bfe_u32 v26, v26, 24, 2
	v_and_b32_e32 v87, 0x4040404, v87
	;; [unrolled: 31-line block ×3, first 2 shown]
	v_sub_u16_e32 v125, v61, v87
	v_sub_u16_sdwa v126, v61, v87 dst_sel:BYTE_1 dst_unused:UNUSED_PAD src0_sel:BYTE_1 src1_sel:BYTE_1
	v_sub_u16_sdwa v26, v26, v87 dst_sel:BYTE_1 dst_unused:UNUSED_PAD src0_sel:DWORD src1_sel:BYTE_3
	v_sub_u16_sdwa v61, v61, v87 dst_sel:DWORD dst_unused:UNUSED_PAD src0_sel:WORD_1 src1_sel:WORD_1
	v_or_b32_sdwa v125, v125, v126 dst_sel:DWORD dst_unused:UNUSED_PAD src0_sel:BYTE_0 src1_sel:DWORD
	v_or_b32_sdwa v26, v61, v26 dst_sel:WORD_1 dst_unused:UNUSED_PAD src0_sel:BYTE_0 src1_sel:DWORD
	v_ashrrev_i32_e32 v61, s3, v88
	v_or_b32_sdwa v125, v125, v26 dst_sel:DWORD dst_unused:UNUSED_PAD src0_sel:WORD_0 src1_sel:DWORD
	v_ashrrev_i32_e32 v26, s27, v27
	v_lshlrev_b32_e32 v61, 2, v61
	v_and_b32_e32 v27, 0x3030303, v26
	v_bfe_u32 v26, v26, 24, 2
	v_and_b32_e32 v61, 0x4040404, v61
	v_sub_u16_e32 v87, v27, v61
	v_sub_u16_sdwa v88, v27, v61 dst_sel:BYTE_1 dst_unused:UNUSED_PAD src0_sel:BYTE_1 src1_sel:BYTE_1
	v_sub_u16_sdwa v26, v26, v61 dst_sel:BYTE_1 dst_unused:UNUSED_PAD src0_sel:DWORD src1_sel:BYTE_3
	v_sub_u16_sdwa v27, v27, v61 dst_sel:DWORD dst_unused:UNUSED_PAD src0_sel:WORD_1 src1_sel:WORD_1
	v_or_b32_sdwa v87, v87, v88 dst_sel:DWORD dst_unused:UNUSED_PAD src0_sel:BYTE_0 src1_sel:DWORD
	v_or_b32_sdwa v26, v27, v26 dst_sel:WORD_1 dst_unused:UNUSED_PAD src0_sel:BYTE_0 src1_sel:DWORD
	v_or_b32_sdwa v126, v87, v26 dst_sel:DWORD dst_unused:UNUSED_PAD src0_sel:WORD_0 src1_sel:DWORD
	v_add_u32_e32 v26, s26, v79
	v_add3_u32 v27, s19, v104, v105
	ds_read_b32 v61, v27
	ds_read_u16 v26, v26 offset:26354
	v_dot4_i32_i8 v27, v89, v5, 0
	v_dot4_i32_i8 v27, v93, v6, v27
	;; [unrolled: 1-line block ×4, first 2 shown]
	s_waitcnt lgkmcnt(0)
	v_lshrrev_b16_e32 v88, 8, v26
	v_bfe_i32 v26, v26, 0, 8
	v_dot4_i32_i8 v87, v123, v1, 0
	v_mul_lo_u32 v26, v27, v26
	v_dot4_i32_i8 v87, v124, v2, v87
	v_dot4_i32_i8 v87, v125, v3, v87
	;; [unrolled: 1-line block ×3, first 2 shown]
	v_bfe_i32 v88, v88, 0, 8
                                        ; kill: def $vgpr27 killed $sgpr0 killed $exec
	v_add3_u32 v89, s28, v106, v107
	v_mad_u64_u32 v[26:27], s[30:31], v87, v88, v[26:27]
	v_mul_f32_e32 v27, v119, v61
	ds_read2_b32 v[87:88], v89 offset1:1
	v_cvt_f32_i32_e32 v26, v26
	v_fmac_f32_e32 v76, v27, v26
	v_add_u32_e32 v26, 0x2100, v120
	ds_read2_b32 v[26:27], v26 offset1:1
	s_waitcnt lgkmcnt(1)
	v_ashrrev_i32_e32 v87, s3, v87
	v_lshlrev_b32_e32 v87, 2, v87
	v_and_b32_e32 v87, 0x4040404, v87
	s_waitcnt lgkmcnt(0)
	v_ashrrev_i32_e32 v26, s27, v26
	v_and_b32_e32 v61, 0x3030303, v26
	v_bfe_u32 v26, v26, 24, 2
	v_sub_u16_e32 v93, v61, v87
	v_sub_u16_sdwa v121, v61, v87 dst_sel:BYTE_1 dst_unused:UNUSED_PAD src0_sel:BYTE_1 src1_sel:BYTE_1
	v_sub_u16_sdwa v26, v26, v87 dst_sel:BYTE_1 dst_unused:UNUSED_PAD src0_sel:DWORD src1_sel:BYTE_3
	v_sub_u16_sdwa v61, v61, v87 dst_sel:DWORD dst_unused:UNUSED_PAD src0_sel:WORD_1 src1_sel:WORD_1
	v_or_b32_sdwa v93, v93, v121 dst_sel:DWORD dst_unused:UNUSED_PAD src0_sel:BYTE_0 src1_sel:DWORD
	v_or_b32_sdwa v26, v61, v26 dst_sel:WORD_1 dst_unused:UNUSED_PAD src0_sel:BYTE_0 src1_sel:DWORD
	v_ashrrev_i32_e32 v61, s3, v88
	v_or_b32_sdwa v93, v93, v26 dst_sel:DWORD dst_unused:UNUSED_PAD src0_sel:WORD_0 src1_sel:DWORD
	v_ashrrev_i32_e32 v26, s27, v27
	v_lshlrev_b32_e32 v61, 2, v61
	v_and_b32_e32 v27, 0x3030303, v26
	v_bfe_u32 v26, v26, 24, 2
	v_and_b32_e32 v61, 0x4040404, v61
	v_sub_u16_e32 v87, v27, v61
	v_sub_u16_sdwa v88, v27, v61 dst_sel:BYTE_1 dst_unused:UNUSED_PAD src0_sel:BYTE_1 src1_sel:BYTE_1
	v_sub_u16_sdwa v26, v26, v61 dst_sel:BYTE_1 dst_unused:UNUSED_PAD src0_sel:DWORD src1_sel:BYTE_3
	v_sub_u16_sdwa v27, v27, v61 dst_sel:DWORD dst_unused:UNUSED_PAD src0_sel:WORD_1 src1_sel:WORD_1
	v_or_b32_sdwa v87, v87, v88 dst_sel:DWORD dst_unused:UNUSED_PAD src0_sel:BYTE_0 src1_sel:DWORD
	v_or_b32_sdwa v26, v27, v26 dst_sel:WORD_1 dst_unused:UNUSED_PAD src0_sel:BYTE_0 src1_sel:DWORD
	v_or_b32_sdwa v121, v87, v26 dst_sel:DWORD dst_unused:UNUSED_PAD src0_sel:WORD_0 src1_sel:DWORD
	v_add_u32_e32 v26, 0x2108, v120
	ds_read2_b32 v[26:27], v26 offset1:1
	ds_read2_b32 v[87:88], v89 offset0:2 offset1:3
	s_waitcnt lgkmcnt(1)
	v_ashrrev_i32_e32 v26, s27, v26
	s_waitcnt lgkmcnt(0)
	v_ashrrev_i32_e32 v87, s3, v87
	v_lshlrev_b32_e32 v87, 2, v87
	v_and_b32_e32 v61, 0x3030303, v26
	v_bfe_u32 v26, v26, 24, 2
	v_and_b32_e32 v87, 0x4040404, v87
	v_sub_u16_e32 v122, v61, v87
	v_sub_u16_sdwa v123, v61, v87 dst_sel:BYTE_1 dst_unused:UNUSED_PAD src0_sel:BYTE_1 src1_sel:BYTE_1
	v_sub_u16_sdwa v26, v26, v87 dst_sel:BYTE_1 dst_unused:UNUSED_PAD src0_sel:DWORD src1_sel:BYTE_3
	v_sub_u16_sdwa v61, v61, v87 dst_sel:DWORD dst_unused:UNUSED_PAD src0_sel:WORD_1 src1_sel:WORD_1
	v_or_b32_sdwa v122, v122, v123 dst_sel:DWORD dst_unused:UNUSED_PAD src0_sel:BYTE_0 src1_sel:DWORD
	v_or_b32_sdwa v26, v61, v26 dst_sel:WORD_1 dst_unused:UNUSED_PAD src0_sel:BYTE_0 src1_sel:DWORD
	v_ashrrev_i32_e32 v61, s3, v88
	v_or_b32_sdwa v122, v122, v26 dst_sel:DWORD dst_unused:UNUSED_PAD src0_sel:WORD_0 src1_sel:DWORD
	v_ashrrev_i32_e32 v26, s27, v27
	v_lshlrev_b32_e32 v61, 2, v61
	v_and_b32_e32 v27, 0x3030303, v26
	v_bfe_u32 v26, v26, 24, 2
	v_and_b32_e32 v61, 0x4040404, v61
	v_sub_u16_e32 v87, v27, v61
	v_sub_u16_sdwa v88, v27, v61 dst_sel:BYTE_1 dst_unused:UNUSED_PAD src0_sel:BYTE_1 src1_sel:BYTE_1
	v_sub_u16_sdwa v26, v26, v61 dst_sel:BYTE_1 dst_unused:UNUSED_PAD src0_sel:DWORD src1_sel:BYTE_3
	v_sub_u16_sdwa v27, v27, v61 dst_sel:DWORD dst_unused:UNUSED_PAD src0_sel:WORD_1 src1_sel:WORD_1
	v_or_b32_sdwa v87, v87, v88 dst_sel:DWORD dst_unused:UNUSED_PAD src0_sel:BYTE_0 src1_sel:DWORD
	v_or_b32_sdwa v26, v27, v26 dst_sel:WORD_1 dst_unused:UNUSED_PAD src0_sel:BYTE_0 src1_sel:DWORD
	v_or_b32_sdwa v123, v87, v26 dst_sel:DWORD dst_unused:UNUSED_PAD src0_sel:WORD_0 src1_sel:DWORD
	v_add_u32_e32 v26, 0x2110, v120
	ds_read2_b32 v[26:27], v26 offset1:1
	ds_read2_b32 v[87:88], v89 offset0:4 offset1:5
	s_waitcnt lgkmcnt(1)
	v_ashrrev_i32_e32 v26, s27, v26
	s_waitcnt lgkmcnt(0)
	v_ashrrev_i32_e32 v87, s3, v87
	v_lshlrev_b32_e32 v87, 2, v87
	v_and_b32_e32 v61, 0x3030303, v26
	v_bfe_u32 v26, v26, 24, 2
	v_and_b32_e32 v87, 0x4040404, v87
	;; [unrolled: 31-line block ×3, first 2 shown]
	v_sub_u16_e32 v89, v61, v87
	v_sub_u16_sdwa v126, v61, v87 dst_sel:BYTE_1 dst_unused:UNUSED_PAD src0_sel:BYTE_1 src1_sel:BYTE_1
	v_sub_u16_sdwa v26, v26, v87 dst_sel:BYTE_1 dst_unused:UNUSED_PAD src0_sel:DWORD src1_sel:BYTE_3
	v_sub_u16_sdwa v61, v61, v87 dst_sel:DWORD dst_unused:UNUSED_PAD src0_sel:WORD_1 src1_sel:WORD_1
	v_or_b32_sdwa v89, v89, v126 dst_sel:DWORD dst_unused:UNUSED_PAD src0_sel:BYTE_0 src1_sel:DWORD
	v_or_b32_sdwa v26, v61, v26 dst_sel:WORD_1 dst_unused:UNUSED_PAD src0_sel:BYTE_0 src1_sel:DWORD
	v_ashrrev_i32_e32 v61, s3, v88
	v_or_b32_sdwa v126, v89, v26 dst_sel:DWORD dst_unused:UNUSED_PAD src0_sel:WORD_0 src1_sel:DWORD
	v_ashrrev_i32_e32 v26, s27, v27
	v_lshlrev_b32_e32 v61, 2, v61
	v_and_b32_e32 v27, 0x3030303, v26
	v_bfe_u32 v26, v26, 24, 2
	v_and_b32_e32 v61, 0x4040404, v61
	v_sub_u16_e32 v87, v27, v61
	v_sub_u16_sdwa v88, v27, v61 dst_sel:BYTE_1 dst_unused:UNUSED_PAD src0_sel:BYTE_1 src1_sel:BYTE_1
	v_sub_u16_sdwa v26, v26, v61 dst_sel:BYTE_1 dst_unused:UNUSED_PAD src0_sel:DWORD src1_sel:BYTE_3
	v_sub_u16_sdwa v27, v27, v61 dst_sel:DWORD dst_unused:UNUSED_PAD src0_sel:WORD_1 src1_sel:WORD_1
	v_or_b32_sdwa v87, v87, v88 dst_sel:DWORD dst_unused:UNUSED_PAD src0_sel:BYTE_0 src1_sel:DWORD
	v_or_b32_sdwa v26, v27, v26 dst_sel:WORD_1 dst_unused:UNUSED_PAD src0_sel:BYTE_0 src1_sel:DWORD
	v_or_b32_sdwa v89, v87, v26 dst_sel:DWORD dst_unused:UNUSED_PAD src0_sel:WORD_0 src1_sel:DWORD
	v_add_u32_e32 v26, s26, v78
	v_add3_u32 v27, s19, v108, v109
	ds_read_b32 v61, v27
	ds_read_u16 v26, v26 offset:27378
	v_dot4_i32_i8 v27, v93, v5, 0
	v_dot4_i32_i8 v27, v121, v6, v27
	;; [unrolled: 1-line block ×4, first 2 shown]
	s_waitcnt lgkmcnt(0)
	v_lshrrev_b16_e32 v88, 8, v26
	v_bfe_i32 v26, v26, 0, 8
	v_dot4_i32_i8 v87, v124, v1, 0
	v_mul_lo_u32 v26, v27, v26
	v_dot4_i32_i8 v87, v125, v2, v87
	v_dot4_i32_i8 v87, v126, v3, v87
	;; [unrolled: 1-line block ×3, first 2 shown]
	v_bfe_i32 v88, v88, 0, 8
                                        ; kill: def $vgpr27 killed $sgpr0 killed $exec
	v_add3_u32 v89, s28, v110, v111
	v_mad_u64_u32 v[26:27], s[30:31], v87, v88, v[26:27]
	v_mul_f32_e32 v27, v119, v61
	ds_read2_b32 v[87:88], v89 offset1:1
	v_cvt_f32_i32_e32 v26, v26
	v_fmac_f32_e32 v75, v27, v26
	v_add_u32_e32 v26, 0x3180, v120
	ds_read2_b32 v[26:27], v26 offset1:1
	s_waitcnt lgkmcnt(1)
	v_ashrrev_i32_e32 v87, s3, v87
	v_lshlrev_b32_e32 v87, 2, v87
	v_and_b32_e32 v87, 0x4040404, v87
	s_waitcnt lgkmcnt(0)
	v_ashrrev_i32_e32 v26, s27, v26
	v_and_b32_e32 v61, 0x3030303, v26
	v_bfe_u32 v26, v26, 24, 2
	v_sub_u16_e32 v93, v61, v87
	v_sub_u16_sdwa v121, v61, v87 dst_sel:BYTE_1 dst_unused:UNUSED_PAD src0_sel:BYTE_1 src1_sel:BYTE_1
	v_sub_u16_sdwa v26, v26, v87 dst_sel:BYTE_1 dst_unused:UNUSED_PAD src0_sel:DWORD src1_sel:BYTE_3
	v_sub_u16_sdwa v61, v61, v87 dst_sel:DWORD dst_unused:UNUSED_PAD src0_sel:WORD_1 src1_sel:WORD_1
	v_or_b32_sdwa v93, v93, v121 dst_sel:DWORD dst_unused:UNUSED_PAD src0_sel:BYTE_0 src1_sel:DWORD
	v_or_b32_sdwa v26, v61, v26 dst_sel:WORD_1 dst_unused:UNUSED_PAD src0_sel:BYTE_0 src1_sel:DWORD
	v_ashrrev_i32_e32 v61, s3, v88
	v_or_b32_sdwa v93, v93, v26 dst_sel:DWORD dst_unused:UNUSED_PAD src0_sel:WORD_0 src1_sel:DWORD
	v_ashrrev_i32_e32 v26, s27, v27
	v_lshlrev_b32_e32 v61, 2, v61
	v_and_b32_e32 v27, 0x3030303, v26
	v_bfe_u32 v26, v26, 24, 2
	v_and_b32_e32 v61, 0x4040404, v61
	v_sub_u16_e32 v87, v27, v61
	v_sub_u16_sdwa v88, v27, v61 dst_sel:BYTE_1 dst_unused:UNUSED_PAD src0_sel:BYTE_1 src1_sel:BYTE_1
	v_sub_u16_sdwa v26, v26, v61 dst_sel:BYTE_1 dst_unused:UNUSED_PAD src0_sel:DWORD src1_sel:BYTE_3
	v_sub_u16_sdwa v27, v27, v61 dst_sel:DWORD dst_unused:UNUSED_PAD src0_sel:WORD_1 src1_sel:WORD_1
	v_or_b32_sdwa v87, v87, v88 dst_sel:DWORD dst_unused:UNUSED_PAD src0_sel:BYTE_0 src1_sel:DWORD
	v_or_b32_sdwa v26, v27, v26 dst_sel:WORD_1 dst_unused:UNUSED_PAD src0_sel:BYTE_0 src1_sel:DWORD
	v_or_b32_sdwa v121, v87, v26 dst_sel:DWORD dst_unused:UNUSED_PAD src0_sel:WORD_0 src1_sel:DWORD
	v_add_u32_e32 v26, 0x3188, v120
	ds_read2_b32 v[26:27], v26 offset1:1
	ds_read2_b32 v[87:88], v89 offset0:2 offset1:3
	v_dot4_i32_i8 v5, v93, v5, 0
	v_dot4_i32_i8 v5, v121, v6, v5
	s_waitcnt lgkmcnt(1)
	v_ashrrev_i32_e32 v26, s27, v26
	s_waitcnt lgkmcnt(0)
	v_ashrrev_i32_e32 v87, s3, v87
	v_lshlrev_b32_e32 v87, 2, v87
	v_and_b32_e32 v61, 0x3030303, v26
	v_bfe_u32 v26, v26, 24, 2
	v_and_b32_e32 v87, 0x4040404, v87
	v_sub_u16_e32 v122, v61, v87
	v_sub_u16_sdwa v123, v61, v87 dst_sel:BYTE_1 dst_unused:UNUSED_PAD src0_sel:BYTE_1 src1_sel:BYTE_1
	v_sub_u16_sdwa v26, v26, v87 dst_sel:BYTE_1 dst_unused:UNUSED_PAD src0_sel:DWORD src1_sel:BYTE_3
	v_sub_u16_sdwa v61, v61, v87 dst_sel:DWORD dst_unused:UNUSED_PAD src0_sel:WORD_1 src1_sel:WORD_1
	v_or_b32_sdwa v122, v122, v123 dst_sel:DWORD dst_unused:UNUSED_PAD src0_sel:BYTE_0 src1_sel:DWORD
	v_or_b32_sdwa v26, v61, v26 dst_sel:WORD_1 dst_unused:UNUSED_PAD src0_sel:BYTE_0 src1_sel:DWORD
	v_ashrrev_i32_e32 v61, s3, v88
	v_or_b32_sdwa v122, v122, v26 dst_sel:DWORD dst_unused:UNUSED_PAD src0_sel:WORD_0 src1_sel:DWORD
	v_ashrrev_i32_e32 v26, s27, v27
	v_lshlrev_b32_e32 v61, 2, v61
	v_and_b32_e32 v27, 0x3030303, v26
	v_bfe_u32 v26, v26, 24, 2
	v_and_b32_e32 v61, 0x4040404, v61
	v_sub_u16_e32 v87, v27, v61
	v_sub_u16_sdwa v88, v27, v61 dst_sel:BYTE_1 dst_unused:UNUSED_PAD src0_sel:BYTE_1 src1_sel:BYTE_1
	v_sub_u16_sdwa v26, v26, v61 dst_sel:BYTE_1 dst_unused:UNUSED_PAD src0_sel:DWORD src1_sel:BYTE_3
	v_sub_u16_sdwa v27, v27, v61 dst_sel:DWORD dst_unused:UNUSED_PAD src0_sel:WORD_1 src1_sel:WORD_1
	v_or_b32_sdwa v87, v87, v88 dst_sel:DWORD dst_unused:UNUSED_PAD src0_sel:BYTE_0 src1_sel:DWORD
	v_or_b32_sdwa v26, v27, v26 dst_sel:WORD_1 dst_unused:UNUSED_PAD src0_sel:BYTE_0 src1_sel:DWORD
	v_or_b32_sdwa v123, v87, v26 dst_sel:DWORD dst_unused:UNUSED_PAD src0_sel:WORD_0 src1_sel:DWORD
	v_add_u32_e32 v26, 0x3190, v120
	ds_read2_b32 v[26:27], v26 offset1:1
	ds_read2_b32 v[87:88], v89 offset0:4 offset1:5
	v_dot4_i32_i8 v5, v122, v7, v5
	v_dot4_i32_i8 v5, v123, v8, v5
	s_waitcnt lgkmcnt(1)
	v_ashrrev_i32_e32 v26, s27, v26
	s_waitcnt lgkmcnt(0)
	v_ashrrev_i32_e32 v87, s3, v87
	v_lshlrev_b32_e32 v87, 2, v87
	v_and_b32_e32 v61, 0x3030303, v26
	v_bfe_u32 v26, v26, 24, 2
	v_and_b32_e32 v87, 0x4040404, v87
	;; [unrolled: 33-line block ×3, first 2 shown]
	v_sub_u16_e32 v89, v61, v87
	v_sub_u16_sdwa v120, v61, v87 dst_sel:BYTE_1 dst_unused:UNUSED_PAD src0_sel:BYTE_1 src1_sel:BYTE_1
	v_sub_u16_sdwa v26, v26, v87 dst_sel:BYTE_1 dst_unused:UNUSED_PAD src0_sel:DWORD src1_sel:BYTE_3
	v_sub_u16_sdwa v61, v61, v87 dst_sel:DWORD dst_unused:UNUSED_PAD src0_sel:WORD_1 src1_sel:WORD_1
	v_or_b32_sdwa v89, v89, v120 dst_sel:DWORD dst_unused:UNUSED_PAD src0_sel:BYTE_0 src1_sel:DWORD
	v_or_b32_sdwa v26, v61, v26 dst_sel:WORD_1 dst_unused:UNUSED_PAD src0_sel:BYTE_0 src1_sel:DWORD
	v_ashrrev_i32_e32 v61, s3, v88
	v_or_b32_sdwa v120, v89, v26 dst_sel:DWORD dst_unused:UNUSED_PAD src0_sel:WORD_0 src1_sel:DWORD
	v_ashrrev_i32_e32 v26, s27, v27
	v_lshlrev_b32_e32 v61, 2, v61
	v_and_b32_e32 v27, 0x3030303, v26
	v_bfe_u32 v26, v26, 24, 2
	v_and_b32_e32 v61, 0x4040404, v61
	v_sub_u16_e32 v87, v27, v61
	v_sub_u16_sdwa v88, v27, v61 dst_sel:BYTE_1 dst_unused:UNUSED_PAD src0_sel:BYTE_1 src1_sel:BYTE_1
	v_sub_u16_sdwa v26, v26, v61 dst_sel:BYTE_1 dst_unused:UNUSED_PAD src0_sel:DWORD src1_sel:BYTE_3
	v_sub_u16_sdwa v27, v27, v61 dst_sel:DWORD dst_unused:UNUSED_PAD src0_sel:WORD_1 src1_sel:WORD_1
	v_or_b32_sdwa v87, v87, v88 dst_sel:DWORD dst_unused:UNUSED_PAD src0_sel:BYTE_0 src1_sel:DWORD
	v_or_b32_sdwa v26, v27, v26 dst_sel:WORD_1 dst_unused:UNUSED_PAD src0_sel:BYTE_0 src1_sel:DWORD
	v_or_b32_sdwa v126, v87, v26 dst_sel:DWORD dst_unused:UNUSED_PAD src0_sel:WORD_0 src1_sel:DWORD
	v_add_u32_e32 v88, s26, v77
	v_add3_u32 v26, s19, v112, v113
	v_dot4_i32_i8 v1, v120, v3, v1
	ds_read_b32 v89, v26
	v_dot4_i32_i8 v2, v126, v4, v1
	ds_read_u16 v1, v88 offset:28402
	s_add_i32 s3, s3, 1
	s_cmp_lt_u32 s18, 30
	s_mov_b32 s19, s18
	s_waitcnt lgkmcnt(0)
	v_lshrrev_b16_e32 v3, 8, v1
	v_bfe_i32 v1, v1, 0, 8
	v_mul_lo_u32 v1, v5, v1
	v_bfe_i32 v3, v3, 0, 8
	v_mad_u64_u32 v[1:2], s[26:27], v2, v3, v[1:2]
	v_mul_f32_e32 v2, v119, v89
	v_cvt_f32_i32_e32 v1, v1
	v_fmac_f32_e32 v25, v2, v1
	s_cbranch_scc1 .LBB230_35
; %bb.36:                               ;   in Loop: Header=BB230_5 Depth=1
	s_barrier
	s_branch .LBB230_4
.LBB230_37:
	buffer_load_dword v81, off, s[36:39], 0 offset:16 ; 4-byte Folded Reload
.LBB230_38:
	s_mul_i32 s0, s14, s11
	s_waitcnt vmcnt(0)
	v_cmp_gt_i32_e32 vcc, s0, v81
	s_and_saveexec_b64 s[0:1], vcc
	s_cbranch_execz .LBB230_47
; %bb.39:
	v_mul_lo_u32 v1, v81, s13
	v_add_u32_e32 v0, s15, v0
	v_cmp_gt_u32_e32 vcc, s13, v0
	s_and_saveexec_b64 s[0:1], vcc
	s_cbranch_execz .LBB230_41
; %bb.40:
	v_bfe_u32 v2, v29, 16, 1
	s_movk_i32 s2, 0x7fff
	v_add3_u32 v2, v29, v2, s2
	v_cmp_o_f32_e32 vcc, v29, v29
	v_mov_b32_e32 v3, 0x7fc0
	v_cndmask_b32_sdwa v4, v3, v2, vcc dst_sel:DWORD dst_unused:UNUSED_PAD src0_sel:DWORD src1_sel:WORD_1
	v_add_u32_e32 v2, v1, v0
	v_mov_b32_e32 v3, 0
	v_lshlrev_b64 v[2:3], 1, v[2:3]
	v_mov_b32_e32 v5, s17
	v_add_co_u32_e32 v2, vcc, s16, v2
	v_addc_co_u32_e32 v3, vcc, v5, v3, vcc
	global_store_short v[2:3], v4, off
.LBB230_41:
	s_or_b64 exec, exec, s[0:1]
	v_add_u32_e32 v2, 32, v0
	v_cmp_gt_u32_e32 vcc, s13, v2
	s_and_saveexec_b64 s[0:1], vcc
	s_cbranch_execz .LBB230_43
; %bb.42:
	v_bfe_u32 v3, v76, 16, 1
	s_movk_i32 s2, 0x7fff
	v_add3_u32 v3, v76, v3, s2
	v_cmp_o_f32_e32 vcc, v76, v76
	v_mov_b32_e32 v4, 0x7fc0
	v_cndmask_b32_sdwa v4, v4, v3, vcc dst_sel:DWORD dst_unused:UNUSED_PAD src0_sel:DWORD src1_sel:WORD_1
	v_add_u32_e32 v2, v1, v2
	v_mov_b32_e32 v3, 0
	v_lshlrev_b64 v[2:3], 1, v[2:3]
	v_mov_b32_e32 v5, s17
	v_add_co_u32_e32 v2, vcc, s16, v2
	v_addc_co_u32_e32 v3, vcc, v5, v3, vcc
	global_store_short v[2:3], v4, off
.LBB230_43:
	s_or_b64 exec, exec, s[0:1]
	;; [unrolled: 20-line block ×3, first 2 shown]
	v_add_u32_e32 v0, 0x60, v0
	v_cmp_gt_u32_e32 vcc, s13, v0
	s_and_b64 exec, exec, vcc
	s_cbranch_execz .LBB230_47
; %bb.46:
	v_add_u32_e32 v0, v1, v0
	v_mov_b32_e32 v1, 0
	v_bfe_u32 v2, v25, 16, 1
	s_movk_i32 s0, 0x7fff
	v_lshlrev_b64 v[0:1], 1, v[0:1]
	v_add3_u32 v2, v25, v2, s0
	v_cmp_o_f32_e32 vcc, v25, v25
	v_mov_b32_e32 v3, 0x7fc0
	v_cndmask_b32_sdwa v2, v3, v2, vcc dst_sel:DWORD dst_unused:UNUSED_PAD src0_sel:DWORD src1_sel:WORD_1
	v_mov_b32_e32 v3, s17
	v_add_co_u32_e32 v0, vcc, s16, v0
	v_addc_co_u32_e32 v1, vcc, v3, v1, vcc
	global_store_short v[0:1], v2, off
.LBB230_47:
	s_endpgm
	.section	.rodata,"a",@progbits
	.p2align	6, 0x0
	.amdhsa_kernel _ZL8moe_q3_KIN3c108BFloat16ELb1EEvPKvS3_PT_PKiS7_S7_iiiiiii
		.amdhsa_group_segment_fixed_size 31776
		.amdhsa_private_segment_fixed_size 24
		.amdhsa_kernarg_size 76
		.amdhsa_user_sgpr_count 6
		.amdhsa_user_sgpr_private_segment_buffer 1
		.amdhsa_user_sgpr_dispatch_ptr 0
		.amdhsa_user_sgpr_queue_ptr 0
		.amdhsa_user_sgpr_kernarg_segment_ptr 1
		.amdhsa_user_sgpr_dispatch_id 0
		.amdhsa_user_sgpr_flat_scratch_init 0
		.amdhsa_user_sgpr_private_segment_size 0
		.amdhsa_uses_dynamic_stack 0
		.amdhsa_system_sgpr_private_segment_wavefront_offset 1
		.amdhsa_system_sgpr_workgroup_id_x 1
		.amdhsa_system_sgpr_workgroup_id_y 1
		.amdhsa_system_sgpr_workgroup_id_z 0
		.amdhsa_system_sgpr_workgroup_info 0
		.amdhsa_system_vgpr_workitem_id 1
		.amdhsa_next_free_vgpr 128
		.amdhsa_next_free_sgpr 98
		.amdhsa_reserve_vcc 1
		.amdhsa_reserve_flat_scratch 0
		.amdhsa_float_round_mode_32 0
		.amdhsa_float_round_mode_16_64 0
		.amdhsa_float_denorm_mode_32 3
		.amdhsa_float_denorm_mode_16_64 3
		.amdhsa_dx10_clamp 1
		.amdhsa_ieee_mode 1
		.amdhsa_fp16_overflow 0
		.amdhsa_exception_fp_ieee_invalid_op 0
		.amdhsa_exception_fp_denorm_src 0
		.amdhsa_exception_fp_ieee_div_zero 0
		.amdhsa_exception_fp_ieee_overflow 0
		.amdhsa_exception_fp_ieee_underflow 0
		.amdhsa_exception_fp_ieee_inexact 0
		.amdhsa_exception_int_div_zero 0
	.end_amdhsa_kernel
	.section	.text._ZL8moe_q3_KIN3c108BFloat16ELb1EEvPKvS3_PT_PKiS7_S7_iiiiiii,"axG",@progbits,_ZL8moe_q3_KIN3c108BFloat16ELb1EEvPKvS3_PT_PKiS7_S7_iiiiiii,comdat
.Lfunc_end230:
	.size	_ZL8moe_q3_KIN3c108BFloat16ELb1EEvPKvS3_PT_PKiS7_S7_iiiiiii, .Lfunc_end230-_ZL8moe_q3_KIN3c108BFloat16ELb1EEvPKvS3_PT_PKiS7_S7_iiiiiii
                                        ; -- End function
	.set _ZL8moe_q3_KIN3c108BFloat16ELb1EEvPKvS3_PT_PKiS7_S7_iiiiiii.num_vgpr, 128
	.set _ZL8moe_q3_KIN3c108BFloat16ELb1EEvPKvS3_PT_PKiS7_S7_iiiiiii.num_agpr, 0
	.set _ZL8moe_q3_KIN3c108BFloat16ELb1EEvPKvS3_PT_PKiS7_S7_iiiiiii.numbered_sgpr, 40
	.set _ZL8moe_q3_KIN3c108BFloat16ELb1EEvPKvS3_PT_PKiS7_S7_iiiiiii.num_named_barrier, 0
	.set _ZL8moe_q3_KIN3c108BFloat16ELb1EEvPKvS3_PT_PKiS7_S7_iiiiiii.private_seg_size, 24
	.set _ZL8moe_q3_KIN3c108BFloat16ELb1EEvPKvS3_PT_PKiS7_S7_iiiiiii.uses_vcc, 1
	.set _ZL8moe_q3_KIN3c108BFloat16ELb1EEvPKvS3_PT_PKiS7_S7_iiiiiii.uses_flat_scratch, 0
	.set _ZL8moe_q3_KIN3c108BFloat16ELb1EEvPKvS3_PT_PKiS7_S7_iiiiiii.has_dyn_sized_stack, 0
	.set _ZL8moe_q3_KIN3c108BFloat16ELb1EEvPKvS3_PT_PKiS7_S7_iiiiiii.has_recursion, 0
	.set _ZL8moe_q3_KIN3c108BFloat16ELb1EEvPKvS3_PT_PKiS7_S7_iiiiiii.has_indirect_call, 0
	.section	.AMDGPU.csdata,"",@progbits
; Kernel info:
; codeLenInByte = 21128
; TotalNumSgprs: 44
; NumVgprs: 128
; ScratchSize: 24
; MemoryBound: 0
; FloatMode: 240
; IeeeMode: 1
; LDSByteSize: 31776 bytes/workgroup (compile time only)
; SGPRBlocks: 12
; VGPRBlocks: 31
; NumSGPRsForWavesPerEU: 102
; NumVGPRsForWavesPerEU: 128
; Occupancy: 2
; WaveLimiterHint : 1
; COMPUTE_PGM_RSRC2:SCRATCH_EN: 1
; COMPUTE_PGM_RSRC2:USER_SGPR: 6
; COMPUTE_PGM_RSRC2:TRAP_HANDLER: 0
; COMPUTE_PGM_RSRC2:TGID_X_EN: 1
; COMPUTE_PGM_RSRC2:TGID_Y_EN: 1
; COMPUTE_PGM_RSRC2:TGID_Z_EN: 0
; COMPUTE_PGM_RSRC2:TIDIG_COMP_CNT: 1
	.section	.text._ZL8moe_q4_KIN3c108BFloat16ELb0EEvPKvS3_PT_PKiS7_S7_iiiiiii,"axG",@progbits,_ZL8moe_q4_KIN3c108BFloat16ELb0EEvPKvS3_PT_PKiS7_S7_iiiiiii,comdat
	.globl	_ZL8moe_q4_KIN3c108BFloat16ELb0EEvPKvS3_PT_PKiS7_S7_iiiiiii ; -- Begin function _ZL8moe_q4_KIN3c108BFloat16ELb0EEvPKvS3_PT_PKiS7_S7_iiiiiii
	.p2align	8
	.type	_ZL8moe_q4_KIN3c108BFloat16ELb0EEvPKvS3_PT_PKiS7_S7_iiiiiii,@function
_ZL8moe_q4_KIN3c108BFloat16ELb0EEvPKvS3_PT_PKiS7_S7_iiiiiii: ; @_ZL8moe_q4_KIN3c108BFloat16ELb0EEvPKvS3_PT_PKiS7_S7_iiiiiii
; %bb.0:
	s_load_dwordx4 s[0:3], s[4:5], 0x18
	s_mov_b32 s8, s7
	s_mov_b32 s9, 0
	s_lshl_b64 s[10:11], s[8:9], 2
	s_waitcnt lgkmcnt(0)
	s_add_u32 s2, s2, s10
	s_addc_u32 s3, s3, s11
	s_load_dword s2, s[2:3], 0x0
	s_waitcnt lgkmcnt(0)
	s_cmpk_gt_u32 s2, 0xff
	s_cbranch_scc1 .LBB231_26
; %bb.1:
	s_load_dwordx2 s[10:11], s[4:5], 0x28
	s_lshl_b32 s3, s8, 3
	s_waitcnt lgkmcnt(0)
	s_load_dword s7, s[10:11], 0x0
	s_waitcnt lgkmcnt(0)
	s_cmp_gt_u32 s3, s7
	s_cbranch_scc1 .LBB231_26
; %bb.2:
	v_add_u32_e32 v4, s3, v1
	v_mov_b32_e32 v5, 0
	v_lshlrev_b64 v[2:3], 2, v[4:5]
	v_mov_b32_e32 v4, s1
	v_add_co_u32_e32 v2, vcc, s0, v2
	v_addc_co_u32_e32 v3, vcc, v4, v3, vcc
	global_load_dword v33, v[2:3], off
	s_load_dwordx2 s[18:19], s[4:5], 0x30
	s_load_dwordx2 s[16:17], s[4:5], 0x10
	s_load_dwordx4 s[8:11], s[4:5], 0x3c
	s_lshl_b32 s22, s6, 7
	v_mov_b32_e32 v8, v5
	s_waitcnt lgkmcnt(0)
	s_cmpk_lt_i32 s19, 0x100
	v_mov_b32_e32 v7, v5
	v_mov_b32_e32 v6, v5
	s_cbranch_scc1 .LBB231_17
; %bb.3:
	s_ashr_i32 s0, s19, 31
	s_lshr_b32 s0, s0, 24
	s_add_i32 s0, s19, s0
	s_ashr_i32 s23, s0, 8
	s_ashr_i32 s0, s9, 31
	s_lshr_b32 s0, s0, 27
	s_add_i32 s0, s9, s0
	s_ashr_i32 s9, s0, 5
	v_lshlrev_b32_e32 v12, 2, v0
	s_movk_i32 s0, 0x84
	v_mad_u32_u24 v34, v1, s0, v12
	s_lshl_b32 s0, s23, 3
	v_mov_b32_e32 v3, s0
	v_mad_i32_i24 v20, s23, v1, v3
	v_add_u32_e32 v23, s0, v20
	v_add_u32_e32 v24, s0, v23
	;; [unrolled: 1-line block ×5, first 2 shown]
	v_lshl_add_u32 v3, v1, 5, v0
	v_add_u32_e32 v28, s0, v27
	v_and_b32_e32 v4, 0x7f, v3
	v_lshrrev_b32_e32 v3, 3, v3
	s_mul_i32 s18, s2, s18
	v_add_u32_e32 v29, s0, v28
	v_mul_i32_i24_e32 v5, s23, v4
	v_and_b32_e32 v3, 12, v3
	v_lshlrev_b32_e32 v4, 2, v4
	s_movk_i32 s2, 0x4e40
	v_and_b32_e32 v16, 3, v0
	v_add_u32_e32 v15, s0, v29
	v_add3_u32 v35, v4, v3, s2
	v_add_u32_e32 v4, 0xfe, v16
	v_add_u32_e32 v14, s0, v15
	v_and_b32_e32 v4, 0xff, v4
	v_cmp_gt_u32_e32 vcc, 2, v16
	v_add_u32_e32 v13, s0, v14
	v_lshlrev_b32_e32 v3, 3, v1
	v_lshrrev_b32_e32 v7, 2, v0
	v_cndmask_b32_e32 v17, v4, v16, vcc
	v_cmp_ne_u32_e32 vcc, 0, v16
	v_add_u32_e32 v11, s0, v13
	v_add_u32_e32 v8, v7, v3
	v_addc_co_u32_e32 v4, vcc, 0, v17, vcc
	v_add_u16_e32 v3, v7, v3
	s_load_dwordx4 s[12:15], s[4:5], 0x0
	v_add_u32_e32 v10, s0, v11
	v_and_b32_e32 v21, 4, v12
	v_cmp_lt_u32_e32 vcc, 1, v16
	v_lshlrev_b32_e32 v37, 1, v17
	v_and_b32_e32 v17, 0x7f, v8
	v_lshlrev_b32_e32 v16, 2, v16
	v_lshrrev_b16_e32 v3, 1, v3
	s_abs_i32 s5, s11
	v_add_u32_e32 v9, s0, v10
	v_cndmask_b32_e32 v36, 0, v21, vcc
	v_lshl_or_b32 v21, v17, 4, v16
	v_and_b32_e32 v3, 60, v3
	s_movk_i32 s0, 0x4200
	v_cvt_f32_u32_e32 v22, s5
	v_add3_u32 v38, v21, v3, s0
	v_xor_b32_e32 v3, 64, v17
	v_mul_i32_i24_e32 v7, s23, v3
	v_lshl_or_b32 v16, v3, 4, v16
	v_lshrrev_b32_e32 v3, 1, v3
	v_and_b32_e32 v3, 60, v3
	v_lshrrev_b32_e32 v41, 3, v0
	v_lshrrev_b32_e32 v18, 5, v0
	v_mul_i32_i24_e32 v8, s23, v17
	v_add3_u32 v39, v16, v3, s0
	v_add_u32_e32 v16, v41, v12
	v_mov_b32_e32 v17, 0x4200
	v_rcp_iflag_f32_e32 v22, v22
	v_lshl_add_u32 v42, v16, 2, v17
	v_lshlrev_b32_e32 v16, 2, v18
	v_add3_u32 v43, v12, v16, s2
	v_add_u32_e32 v16, 32, v0
	v_lshrrev_b32_e32 v44, 3, v16
	v_lshl_add_u32 v16, v16, 2, v44
	v_mul_f32_e32 v22, 0x4f7ffffe, v22
	v_lshl_add_u32 v45, v16, 2, v17
	v_and_b32_e32 v16, 60, v44
	v_cvt_u32_f32_e32 v22, v22
	v_add3_u32 v46, v12, v16, s2
	v_add_u32_e32 v16, 64, v0
	v_lshrrev_b32_e32 v30, 3, v16
	v_lshl_add_u32 v16, v16, 2, v30
	s_sub_i32 s3, 0, s5
	v_lshl_add_u32 v47, v16, 2, v17
	v_mul_lo_u32 v16, s3, v22
	s_waitcnt vmcnt(0)
	v_sub_u32_e32 v32, 0, v33
	v_max_i32_e32 v32, v33, v32
	v_and_b32_e32 v30, 60, v30
	v_mul_hi_u32 v16, v22, v16
	v_add3_u32 v48, v12, v30, s2
	v_add_u32_e32 v30, 0x60, v0
	v_lshrrev_b32_e32 v31, 3, v30
	v_add_u32_e32 v16, v22, v16
	v_mul_hi_u32 v16, v32, v16
	v_lshl_add_u32 v22, v30, 2, v31
	v_lshl_add_u32 v49, v22, 2, v17
	v_and_b32_e32 v17, 60, v31
	v_mul_lo_u32 v22, v16, s5
	v_add3_u32 v50, v12, v17, s2
	v_and_b32_e32 v2, 0x7c, v12
	v_add_u32_e32 v40, 0x5050, v12
	v_sub_u32_e32 v17, v32, v22
	v_add_u32_e32 v22, 1, v16
	v_cmp_le_u32_e64 s[2:3], s5, v17
	v_cndmask_b32_e64 v16, v16, v22, s[2:3]
	v_subrev_u32_e32 v22, s5, v17
	v_cndmask_b32_e64 v17, v17, v22, s[2:3]
	v_and_b32_e32 v21, 28, v12
	v_xor_b32_e32 v12, s11, v33
	v_add_u32_e32 v22, 1, v16
	v_cmp_le_u32_e64 s[2:3], s5, v17
	s_mul_i32 s4, s23, s22
	v_ashrrev_i32_e32 v12, 31, v12
	v_cndmask_b32_e64 v16, v16, v22, s[2:3]
	v_xor_b32_e32 v16, v16, v12
	s_mul_i32 s20, s4, 0x90
	v_sub_u32_e32 v12, v16, v12
	s_mul_hi_i32 s21, s4, 0x90
	v_mov_b32_e32 v16, s20
	s_movk_i32 s25, 0x90
	v_mov_b32_e32 v17, s21
	v_mad_u64_u32 v[16:17], s[2:3], v18, s25, v[16:17]
	v_mul_i32_i24_e32 v19, s23, v1
	s_waitcnt lgkmcnt(0)
	v_mov_b32_e32 v22, s15
	v_mad_u64_u32 v[18:19], s[4:5], v19, s25, v[16:17]
	v_add_co_u32_e64 v21, s[4:5], s14, v21
	v_addc_co_u32_e64 v22, s[4:5], 0, v22, s[4:5]
	v_add_co_u32_e64 v30, s[4:5], v18, v2
	v_addc_co_u32_e64 v31, s[4:5], 0, v19, s[4:5]
	v_mad_u64_u32 v[18:19], s[4:5], v20, s25, v[16:17]
	v_mov_b32_e32 v32, s13
	v_add_co_u32_e64 v20, s[4:5], s12, v30
	v_addc_co_u32_e64 v30, s[4:5], v32, v31, s[4:5]
	v_add_co_u32_e64 v31, s[4:5], v18, v2
	v_addc_co_u32_e64 v32, s[4:5], 0, v19, s[4:5]
	v_mad_u64_u32 v[18:19], s[4:5], v23, s25, v[16:17]
	v_mov_b32_e32 v51, s13
	;; [unrolled: 6-line block ×4, first 2 shown]
	v_add_co_u32_e64 v25, s[4:5], s12, v23
	v_addc_co_u32_e64 v62, s[4:5], v51, v24, s[4:5]
	v_add_co_u32_e64 v23, s[4:5], v18, v2
	v_addc_co_u32_e64 v24, s[4:5], 0, v19, s[4:5]
	v_mad_u64_u32 v[18:19], s[4:5], v26, s25, v[16:17]
	v_add_co_u32_e64 v26, s[4:5], s12, v23
	v_addc_co_u32_e64 v64, s[4:5], v51, v24, s[4:5]
	v_add_co_u32_e64 v23, s[4:5], v18, v2
	v_addc_co_u32_e64 v24, s[4:5], 0, v19, s[4:5]
	v_mad_u64_u32 v[18:19], s[4:5], v27, s25, v[16:17]
	;; [unrolled: 5-line block ×6, first 2 shown]
	v_mov_b32_e32 v23, s13
	v_add_co_u32_e64 v18, s[4:5], s12, v18
	v_addc_co_u32_e64 v19, s[4:5], v23, v19, s[4:5]
	v_add_co_u32_e64 v23, s[4:5], v14, v2
	v_addc_co_u32_e64 v15, s[4:5], 0, v15, s[4:5]
	v_mad_u64_u32 v[13:14], s[4:5], v13, s25, v[16:17]
	v_mov_b32_e32 v24, s13
	v_add_co_u32_e64 v75, s[4:5], s12, v23
	v_addc_co_u32_e64 v15, s[4:5], v24, v15, s[4:5]
	v_add_co_u32_e64 v23, s[4:5], v13, v2
	v_addc_co_u32_e64 v24, s[4:5], 0, v14, s[4:5]
	v_mad_u64_u32 v[13:14], s[4:5], v11, s25, v[16:17]
	v_add_co_u32_e64 v77, s[4:5], s12, v23
	v_addc_co_u32_e64 v78, s[4:5], v51, v24, s[4:5]
	v_add_co_u32_e64 v13, s[4:5], v13, v2
	v_addc_co_u32_e64 v14, s[4:5], 0, v14, s[4:5]
	v_mad_u64_u32 v[10:11], s[4:5], v10, s25, v[16:17]
	v_mov_b32_e32 v23, s13
	v_add_co_u32_e64 v79, s[4:5], s12, v13
	v_addc_co_u32_e64 v80, s[4:5], v23, v14, s[4:5]
	v_add_co_u32_e64 v13, s[4:5], v10, v2
	v_addc_co_u32_e64 v11, s[4:5], 0, v11, s[4:5]
	v_mad_u64_u32 v[9:10], s[4:5], v9, s25, v[16:17]
	v_mov_b32_e32 v14, s13
	v_add_co_u32_e64 v81, s[4:5], s12, v13
	v_addc_co_u32_e64 v11, s[4:5], v14, v11, s[4:5]
	v_add_co_u32_e64 v13, s[4:5], v9, v2
	v_addc_co_u32_e64 v14, s[4:5], 0, v10, s[4:5]
	s_mul_i32 s4, s23, 0x78
	v_mov_b32_e32 v9, s4
	v_mad_i32_i24 v9, s23, v1, v9
	v_mad_u64_u32 v[9:10], s[4:5], v9, s25, v[16:17]
	v_add_co_u32_e64 v16, s[4:5], s12, v13
	v_addc_co_u32_e64 v17, s[4:5], v23, v14, s[4:5]
	v_add_co_u32_e64 v2, s[4:5], v9, v2
	v_addc_co_u32_e64 v9, s[4:5], 0, v10, s[4:5]
	v_cmp_gt_u32_e64 s[0:1], 4, v0
	v_cmp_gt_i32_e64 s[2:3], s8, v12
	v_mov_b32_e32 v10, s13
	v_add_co_u32_e64 v2, s[4:5], s12, v2
	s_ashr_i32 s24, s18, 31
	s_and_b64 s[6:7], s[0:1], s[2:3]
	v_addc_co_u32_e64 v86, s[4:5], v10, v9, s[4:5]
	s_add_u32 s4, s12, s20
	s_addc_u32 s5, s13, s21
	v_mov_b32_e32 v10, s5
	v_mov_b32_e32 v9, s4
	v_mad_u64_u32 v[13:14], s[4:5], v8, s25, 0
	v_mad_u64_u32 v[23:24], s[4:5], v5, s25, v[9:10]
	v_mov_b32_e32 v5, s21
	v_add_co_u32_e64 v9, s[4:5], s20, v13
	v_cndmask_b32_e64 v8, 0, 1, vcc
	v_addc_co_u32_e64 v5, s[4:5], v5, v14, s[4:5]
	v_lshlrev_b32_e32 v10, 2, v8
	v_mad_u64_u32 v[7:8], s[4:5], v7, s25, 0
	v_mov_b32_e32 v14, s21
	v_or_b32_e32 v13, v9, v10
	v_add_co_u32_e32 v7, vcc, s20, v7
	v_addc_co_u32_e32 v8, vcc, v14, v8, vcc
	v_mov_b32_e32 v14, s13
	v_add_co_u32_e32 v13, vcc, s12, v13
	v_addc_co_u32_e32 v14, vcc, v14, v5, vcc
	v_lshlrev_b32_e32 v4, 2, v4
	v_add_co_u32_e32 v9, vcc, v9, v4
	v_addc_co_u32_e32 v5, vcc, 0, v5, vcc
	v_add_co_u32_e32 v9, vcc, s12, v9
	v_addc_co_u32_e32 v5, vcc, v51, v5, vcc
	v_or_b32_e32 v10, v7, v10
	v_add_co_u32_e32 v10, vcc, s12, v10
	v_addc_co_u32_e32 v92, vcc, v51, v8, vcc
	v_add_co_u32_e32 v4, vcc, v7, v4
	v_addc_co_u32_e32 v7, vcc, 0, v8, vcc
	v_mov_b32_e32 v8, s13
	v_add_co_u32_e32 v4, vcc, s12, v4
	v_addc_co_u32_e32 v7, vcc, v8, v7, vcc
	v_add_co_u32_e32 v55, vcc, 16, v20
	v_addc_co_u32_e32 v56, vcc, 0, v30, vcc
	;; [unrolled: 2-line block ×19, first 2 shown]
	v_mul_lo_u32 v54, v12, s9
	v_add_co_u32_e32 v91, vcc, 4, v10
	v_mov_b32_e32 v8, 0x4a40
	v_addc_co_u32_e32 v92, vcc, 0, v92, vcc
	v_and_b32_e32 v3, 31, v0
	v_lshl_add_u32 v51, v1, 7, v8
	v_add_co_u32_e32 v93, vcc, 4, v4
	v_mov_b32_e32 v6, 0
	v_lshl_add_u32 v52, v3, 2, v51
	v_lshlrev_b32_e32 v53, 4, v1
	v_addc_co_u32_e32 v94, vcc, 0, v7, vcc
	s_movk_i32 s12, 0x80
	s_mov_b32 s13, 0x30303030
	v_mul_u32_u24_e32 v95, 0x84, v0
	v_mov_b32_e32 v96, v0
	v_mov_b32_e32 v7, 0
	;; [unrolled: 1-line block ×4, first 2 shown]
	s_branch .LBB231_6
.LBB231_4:                              ;   in Loop: Header=BB231_6 Depth=1
	s_or_b64 exec, exec, s[4:5]
	s_waitcnt lgkmcnt(0)
	s_barrier
	ds_read_b128 v[1:4], v51
	ds_read_b128 v[104:107], v51 offset:16
	ds_read_b128 v[108:111], v51 offset:32
	;; [unrolled: 1-line block ×3, first 2 shown]
	ds_read_b32 v97, v43
	ds_read2_b32 v[11:12], v95 offset0:16 offset1:17
	ds_read2_b32 v[13:14], v95 offset0:18 offset1:19
	;; [unrolled: 1-line block ×3, first 2 shown]
	ds_read_b32 v98, v46 offset:128
	ds_read2_b32 v[17:18], v95 offset0:22 offset1:23
	ds_read_b32 v99, v48 offset:256
	s_waitcnt lgkmcnt(5)
	v_and_b32_e32 v9, 0xf0f0f0f, v11
	v_lshrrev_b32_e32 v11, 4, v11
	v_and_b32_e32 v10, 0xf0f0f0f, v12
	v_and_b32_e32 v11, 0xf0f0f0f, v11
	v_lshrrev_b32_e32 v12, 4, v12
	v_dot4_i32_i8 v11, v11, v108, 0
	v_and_b32_e32 v12, 0xf0f0f0f, v12
	v_dot4_i32_i8 v11, v12, v109, v11
	s_waitcnt lgkmcnt(4)
	v_lshrrev_b32_e32 v12, 4, v13
	v_and_b32_e32 v12, 0xf0f0f0f, v12
	v_dot4_i32_i8 v9, v9, v1, 0
	v_dot4_i32_i8 v11, v12, v110, v11
	v_lshrrev_b32_e32 v12, 4, v14
	v_dot4_i32_i8 v9, v10, v2, v9
	v_and_b32_e32 v10, 0xf0f0f0f, v13
	v_and_b32_e32 v12, 0xf0f0f0f, v12
	v_dot4_i32_i8 v9, v10, v3, v9
	v_and_b32_e32 v10, 0xf0f0f0f, v14
	v_dot4_i32_i8 v11, v12, v111, v11
	s_waitcnt lgkmcnt(3)
	v_lshrrev_b32_e32 v12, 4, v15
	v_dot4_i32_i8 v9, v10, v4, v9
	v_and_b32_e32 v10, 0xf0f0f0f, v15
	v_and_b32_e32 v12, 0xf0f0f0f, v12
	v_add_u32_e32 v13, 0x10c0, v95
	v_dot4_i32_i8 v9, v10, v104, v9
	v_and_b32_e32 v10, 0xf0f0f0f, v16
	v_dot4_i32_i8 v11, v12, v112, v11
	v_lshrrev_b32_e32 v12, 4, v16
	ds_read2_b32 v[15:16], v13 offset1:1
	v_and_b32_e32 v12, 0xf0f0f0f, v12
	v_dot4_i32_i8 v11, v12, v113, v11
	s_waitcnt lgkmcnt(2)
	v_lshrrev_b32_e32 v12, 4, v17
	v_dot4_i32_i8 v9, v10, v105, v9
	s_waitcnt lgkmcnt(0)
	v_and_b32_e32 v13, 0xf0f0f0f, v15
	v_dot4_i32_i8 v13, v13, v1, 0
	v_and_b32_e32 v14, 0xf0f0f0f, v16
	v_and_b32_e32 v10, 0xf0f0f0f, v17
	;; [unrolled: 1-line block ×3, first 2 shown]
	v_dot4_i32_i8 v13, v14, v2, v13
	v_add_u32_e32 v14, 0x10c8, v95
	v_dot4_i32_i8 v9, v10, v106, v9
	v_and_b32_e32 v10, 0xf0f0f0f, v18
	v_dot4_i32_i8 v11, v12, v114, v11
	v_lshrrev_b32_e32 v12, 4, v18
	ds_read2_b32 v[17:18], v14 offset1:1
	ds_read_b32 v100, v50 offset:384
	v_lshrrev_b32_e32 v15, 4, v15
	v_and_b32_e32 v15, 0xf0f0f0f, v15
	v_lshrrev_b32_e32 v16, 4, v16
	s_waitcnt lgkmcnt(1)
	v_and_b32_e32 v14, 0xf0f0f0f, v17
	v_dot4_i32_i8 v13, v14, v3, v13
	v_and_b32_e32 v14, 0xf0f0f0f, v18
	v_dot4_i32_i8 v13, v14, v4, v13
	v_add_u32_e32 v14, 0x10d0, v95
	ds_read2_b32 v[19:20], v14 offset1:1
	v_dot4_i32_i8 v15, v15, v108, 0
	v_and_b32_e32 v16, 0xf0f0f0f, v16
	v_dot4_i32_i8 v15, v16, v109, v15
	v_lshrrev_b32_e32 v16, 4, v17
	v_and_b32_e32 v16, 0xf0f0f0f, v16
	v_dot4_i32_i8 v15, v16, v110, v15
	v_lshrrev_b32_e32 v16, 4, v18
	s_waitcnt lgkmcnt(0)
	v_and_b32_e32 v14, 0xf0f0f0f, v19
	v_and_b32_e32 v16, 0xf0f0f0f, v16
	v_dot4_i32_i8 v13, v14, v104, v13
	v_and_b32_e32 v14, 0xf0f0f0f, v20
	v_dot4_i32_i8 v15, v16, v111, v15
	v_lshrrev_b32_e32 v16, 4, v19
	v_dot4_i32_i8 v13, v14, v105, v13
	v_add_u32_e32 v14, 0x10d8, v95
	v_and_b32_e32 v16, 0xf0f0f0f, v16
	v_add_u32_e32 v17, 0x2140, v95
	ds_read2_b32 v[25:26], v14 offset1:1
	v_dot4_i32_i8 v15, v16, v112, v15
	v_lshrrev_b32_e32 v16, 4, v20
	ds_read2_b32 v[19:20], v17 offset1:1
	v_and_b32_e32 v16, 0xf0f0f0f, v16
	v_dot4_i32_i8 v15, v16, v113, v15
	s_waitcnt lgkmcnt(1)
	v_lshrrev_b32_e32 v16, 4, v25
	v_and_b32_e32 v14, 0xf0f0f0f, v25
	s_waitcnt lgkmcnt(0)
	v_and_b32_e32 v17, 0xf0f0f0f, v19
	v_dot4_i32_i8 v17, v17, v1, 0
	v_and_b32_e32 v18, 0xf0f0f0f, v20
	v_and_b32_e32 v16, 0xf0f0f0f, v16
	v_dot4_i32_i8 v17, v18, v2, v17
	v_add_u32_e32 v18, 0x2148, v95
	v_dot4_i32_i8 v13, v14, v106, v13
	v_and_b32_e32 v14, 0xf0f0f0f, v26
	v_dot4_i32_i8 v15, v16, v114, v15
	v_lshrrev_b32_e32 v16, 4, v26
	ds_read2_b32 v[25:26], v18 offset1:1
	v_lshrrev_b32_e32 v19, 4, v19
	v_and_b32_e32 v19, 0xf0f0f0f, v19
	v_lshrrev_b32_e32 v20, 4, v20
	v_dot4_i32_i8 v19, v19, v108, 0
	s_waitcnt lgkmcnt(0)
	v_and_b32_e32 v18, 0xf0f0f0f, v25
	v_dot4_i32_i8 v17, v18, v3, v17
	v_and_b32_e32 v18, 0xf0f0f0f, v26
	v_dot4_i32_i8 v17, v18, v4, v17
	v_add_u32_e32 v18, 0x2150, v95
	ds_read2_b32 v[116:117], v18 offset1:1
	v_and_b32_e32 v20, 0xf0f0f0f, v20
	v_dot4_i32_i8 v19, v20, v109, v19
	v_lshrrev_b32_e32 v20, 4, v25
	v_and_b32_e32 v20, 0xf0f0f0f, v20
	v_dot4_i32_i8 v19, v20, v110, v19
	v_lshrrev_b32_e32 v20, 4, v26
	s_waitcnt lgkmcnt(0)
	v_and_b32_e32 v18, 0xf0f0f0f, v116
	v_and_b32_e32 v20, 0xf0f0f0f, v20
	v_dot4_i32_i8 v17, v18, v104, v17
	v_and_b32_e32 v18, 0xf0f0f0f, v117
	v_dot4_i32_i8 v19, v20, v111, v19
	v_lshrrev_b32_e32 v20, 4, v116
	v_dot4_i32_i8 v17, v18, v105, v17
	v_add_u32_e32 v18, 0x2158, v95
	v_and_b32_e32 v20, 0xf0f0f0f, v20
	v_add_u32_e32 v25, 0x31c0, v95
	ds_read2_b32 v[118:119], v18 offset1:1
	v_dot4_i32_i8 v19, v20, v112, v19
	v_lshrrev_b32_e32 v20, 4, v117
	ds_read2_b32 v[116:117], v25 offset1:1
	v_and_b32_e32 v20, 0xf0f0f0f, v20
	v_dot4_i32_i8 v19, v20, v113, v19
	v_dot4_i32_i8 v9, v10, v107, v9
	;; [unrolled: 1-line block ×3, first 2 shown]
	s_waitcnt lgkmcnt(0)
	v_and_b32_e32 v25, 0xf0f0f0f, v116
	v_dot4_i32_i8 v1, v25, v1, 0
	v_and_b32_e32 v25, 0xf0f0f0f, v117
	v_dot4_i32_i8 v25, v25, v2, v1
	v_add_u32_e32 v1, 0x31c8, v95
	ds_read2_b32 v[1:2], v1 offset1:1
	v_lshrrev_b32_e32 v20, 4, v118
	v_and_b32_e32 v18, 0xf0f0f0f, v118
	v_and_b32_e32 v20, 0xf0f0f0f, v20
	v_dot4_i32_i8 v17, v18, v106, v17
	s_waitcnt lgkmcnt(0)
	v_and_b32_e32 v26, 0xf0f0f0f, v1
	v_dot4_i32_i8 v3, v26, v3, v25
	v_and_b32_e32 v25, 0xf0f0f0f, v2
	v_dot4_i32_i8 v25, v25, v4, v3
	v_add_u32_e32 v3, 0x31d0, v95
	ds_read2_b32 v[3:4], v3 offset1:1
	v_and_b32_e32 v18, 0xf0f0f0f, v119
	v_dot4_i32_i8 v19, v20, v114, v19
	v_lshrrev_b32_e32 v20, 4, v119
	v_dot4_i32_i8 v17, v18, v107, v17
	s_waitcnt lgkmcnt(0)
	v_and_b32_e32 v26, 0xf0f0f0f, v3
	v_dot4_i32_i8 v25, v26, v104, v25
	v_and_b32_e32 v26, 0xf0f0f0f, v4
	v_dot4_i32_i8 v25, v26, v105, v25
	v_add_u32_e32 v26, 0x31d8, v95
	ds_read2_b32 v[118:119], v26 offset1:1
	v_lshrrev_b32_e32 v1, 4, v1
	v_and_b32_e32 v1, 0xf0f0f0f, v1
	v_lshrrev_b32_e32 v2, 4, v2
	v_and_b32_e32 v2, 0xf0f0f0f, v2
	s_waitcnt lgkmcnt(0)
	v_and_b32_e32 v26, 0xf0f0f0f, v118
	v_dot4_i32_i8 v25, v26, v106, v25
	v_and_b32_e32 v26, 0xf0f0f0f, v119
	v_lshrrev_b32_e32 v106, 4, v116
	v_dot4_i32_i8 v105, v26, v107, v25
	v_and_b32_e32 v106, 0xf0f0f0f, v106
	v_lshrrev_b32_e32 v107, 4, v117
	v_dot4_i32_i8 v106, v106, v108, 0
	v_and_b32_e32 v107, 0xf0f0f0f, v107
	v_dot4_i32_i8 v106, v107, v109, v106
	v_dot4_i32_i8 v1, v1, v110, v106
	ds_read2_b32 v[27:28], v42 offset0:1 offset1:3
	v_dot4_i32_i8 v1, v2, v111, v1
	v_lshrrev_b32_e32 v2, 4, v3
	v_and_b32_e32 v2, 0xf0f0f0f, v2
	v_dot4_i32_i8 v1, v2, v112, v1
	v_lshrrev_b32_e32 v2, 4, v4
	v_and_b32_e32 v2, 0xf0f0f0f, v2
	;; [unrolled: 3-line block ×3, first 2 shown]
	v_and_b32_e32 v2, 0xf0f0f0f, v2
	s_waitcnt lgkmcnt(0)
	v_and_b32_e32 v106, 0xff, v27
	v_dot4_i32_i8 v12, v12, v115, v11
	v_dot4_i32_i8 v1, v2, v114, v1
	v_lshrrev_b32_e32 v2, 4, v119
	v_bfe_u32 v107, v27, 8, 8
	v_mul_lo_u32 v9, v9, v106
	v_and_b32_e32 v2, 0xf0f0f0f, v2
	v_mul_lo_u32 v12, v12, v107
	v_dot4_i32_i8 v113, v2, v115, v1
	ds_read_b128 v[1:4], v53 offset:20560
	v_cvt_f32_i32_e32 v9, v9
	v_cvt_f32_f16_sdwa v101, v97 dst_sel:DWORD dst_unused:UNUSED_PAD src0_sel:WORD_1
	v_cvt_f32_i32_e32 v12, v12
	v_cvt_f32_ubyte0_e32 v10, v28
	ds_read2_b32 v[29:30], v45 offset0:1 offset1:3
	v_cvt_f32_ubyte1_e32 v11, v28
	s_waitcnt lgkmcnt(1)
	v_fma_mix_f32 v10, v1, v10, 0 op_sel:[1,0,0] op_sel_hi:[1,0,0]
	v_fma_mix_f32 v9, v1, v9, 0 op_sel_hi:[1,0,0]
	v_fma_mix_f32 v10, v2, v11, v10 op_sel:[1,0,0] op_sel_hi:[1,0,0]
	v_fma_mix_f32 v9, v2, v12, v9 op_sel_hi:[1,0,0]
	v_mul_f32_e32 v10, v10, v101
	v_fma_mix_f32 v9, v9, v97, -v10 op_sel_hi:[0,1,0]
	v_and_b32_e32 v16, 0xf0f0f0f, v16
	v_add_f32_e32 v111, v6, v9
	s_waitcnt lgkmcnt(0)
	v_and_b32_e32 v9, 0xff, v29
	v_dot4_i32_i8 v16, v16, v115, v15
	v_bfe_u32 v10, v29, 8, 8
	v_mul_lo_u32 v9, v13, v9
	v_mul_lo_u32 v10, v16, v10
	v_cvt_f32_f16_sdwa v102, v98 dst_sel:DWORD dst_unused:UNUSED_PAD src0_sel:WORD_1
	v_cvt_f32_ubyte0_e32 v14, v30
	v_cvt_f32_i32_e32 v9, v9
	v_cvt_f32_i32_e32 v10, v10
	ds_read2_b32 v[31:32], v47 offset0:1 offset1:3
	v_cvt_f32_ubyte1_e32 v15, v30
	v_fma_mix_f32 v6, v1, v14, 0 op_sel:[1,0,0] op_sel_hi:[1,0,0]
	v_fma_mix_f32 v9, v1, v9, 0 op_sel_hi:[1,0,0]
	v_fma_mix_f32 v6, v2, v15, v6 op_sel:[1,0,0] op_sel_hi:[1,0,0]
	v_fma_mix_f32 v9, v2, v10, v9 op_sel_hi:[1,0,0]
	v_mul_f32_e32 v6, v6, v102
	v_fma_mix_f32 v6, v9, v98, -v6 op_sel_hi:[0,1,0]
	v_and_b32_e32 v20, 0xf0f0f0f, v20
	v_add_f32_e32 v109, v7, v6
	s_waitcnt lgkmcnt(0)
	v_and_b32_e32 v7, 0xff, v31
	v_dot4_i32_i8 v20, v20, v115, v19
	v_bfe_u32 v9, v31, 8, 8
	v_mul_lo_u32 v7, v17, v7
	v_mul_lo_u32 v9, v20, v9
	v_cvt_f32_f16_sdwa v103, v99 dst_sel:DWORD dst_unused:UNUSED_PAD src0_sel:WORD_1
	v_cvt_f32_ubyte0_e32 v18, v32
	v_cvt_f32_i32_e32 v7, v7
	v_cvt_f32_i32_e32 v9, v9
	ds_read2_b32 v[25:26], v49 offset0:1 offset1:3
	v_cvt_f32_ubyte1_e32 v19, v32
	v_fma_mix_f32 v6, v1, v18, 0 op_sel:[1,0,0] op_sel_hi:[1,0,0]
	v_fma_mix_f32 v7, v1, v7, 0 op_sel_hi:[1,0,0]
	v_fma_mix_f32 v6, v2, v19, v6 op_sel:[1,0,0] op_sel_hi:[1,0,0]
	v_fma_mix_f32 v7, v2, v9, v7 op_sel_hi:[1,0,0]
	v_mul_f32_e32 v6, v6, v103
	v_fma_mix_f32 v6, v7, v99, -v6 op_sel_hi:[0,1,0]
	v_add_f32_e32 v107, v8, v6
	s_waitcnt lgkmcnt(0)
	v_and_b32_e32 v6, 0xff, v25
	v_mul_lo_u32 v6, v105, v6
	v_bfe_u32 v7, v25, 8, 8
	v_mul_lo_u32 v7, v113, v7
	v_cvt_f32_ubyte0_e32 v104, v26
	v_cvt_f32_i32_e32 v6, v6
	v_lshrrev_b32_e32 v112, 24, v27
	v_cvt_f32_i32_e32 v7, v7
	v_lshrrev_b32_e32 v110, 24, v29
	v_fma_mix_f32 v6, v1, v6, 0 op_sel_hi:[1,0,0]
	v_fma_mix_f32 v1, v1, v104, 0 op_sel:[1,0,0] op_sel_hi:[1,0,0]
	v_cvt_f32_f16_sdwa v104, v100 dst_sel:DWORD dst_unused:UNUSED_PAD src0_sel:WORD_1
	v_fma_mix_f32 v6, v2, v7, v6 op_sel_hi:[1,0,0]
	v_cvt_f32_ubyte1_e32 v7, v26
	v_fma_mix_f32 v1, v2, v7, v1 op_sel:[1,0,0] op_sel_hi:[1,0,0]
	v_mul_f32_e32 v1, v1, v104
	v_fma_mix_f32 v1, v6, v100, -v1 op_sel_hi:[0,1,0]
	v_add_f32_e32 v105, v5, v1
	ds_read_b128 v[17:20], v51 offset:64
	ds_read_b128 v[13:16], v51 offset:80
	;; [unrolled: 1-line block ×4, first 2 shown]
	ds_read2_b32 v[1:2], v95 offset0:24 offset1:25
	ds_read2_b32 v[115:116], v95 offset0:26 offset1:27
	;; [unrolled: 1-line block ×4, first 2 shown]
	v_lshrrev_b32_e32 v108, 24, v31
	s_waitcnt lgkmcnt(3)
	v_and_b32_e32 v113, 0xf0f0f0f, v1
	v_lshrrev_b32_e32 v1, 4, v1
	v_and_b32_e32 v114, 0xf0f0f0f, v2
	v_and_b32_e32 v1, 0xf0f0f0f, v1
	v_lshrrev_b32_e32 v2, 4, v2
	v_dot4_i32_i8 v1, v1, v9, 0
	v_and_b32_e32 v2, 0xf0f0f0f, v2
	v_dot4_i32_i8 v1, v2, v10, v1
	s_waitcnt lgkmcnt(2)
	v_lshrrev_b32_e32 v2, 4, v115
	v_and_b32_e32 v2, 0xf0f0f0f, v2
	v_dot4_i32_i8 v1, v2, v11, v1
	v_lshrrev_b32_e32 v2, 4, v116
	v_and_b32_e32 v2, 0xf0f0f0f, v2
	v_dot4_i32_i8 v1, v2, v12, v1
	s_waitcnt lgkmcnt(1)
	v_lshrrev_b32_e32 v2, 4, v117
	v_and_b32_e32 v2, 0xf0f0f0f, v2
	v_dot4_i32_i8 v1, v2, v5, v1
	v_lshrrev_b32_e32 v2, 4, v118
	;; [unrolled: 7-line block ×3, first 2 shown]
	v_dot4_i32_i8 v113, v113, v17, 0
	v_and_b32_e32 v2, 0xf0f0f0f, v2
	v_dot4_i32_i8 v113, v114, v18, v113
	v_and_b32_e32 v114, 0xf0f0f0f, v115
	v_dot4_i32_i8 v115, v2, v8, v1
	v_add_u32_e32 v1, 0x10e0, v95
	ds_read2_b32 v[1:2], v1 offset1:1
	v_dot4_i32_i8 v113, v114, v19, v113
	v_and_b32_e32 v114, 0xf0f0f0f, v116
	v_dot4_i32_i8 v113, v114, v20, v113
	v_and_b32_e32 v114, 0xf0f0f0f, v117
	s_waitcnt lgkmcnt(0)
	v_and_b32_e32 v116, 0xf0f0f0f, v1
	v_dot4_i32_i8 v116, v116, v17, 0
	v_and_b32_e32 v117, 0xf0f0f0f, v2
	v_dot4_i32_i8 v113, v114, v13, v113
	;; [unrolled: 2-line block ×3, first 2 shown]
	v_add_u32_e32 v117, 0x10e8, v95
	v_dot4_i32_i8 v113, v114, v14, v113
	v_and_b32_e32 v114, 0xf0f0f0f, v119
	ds_read2_b32 v[118:119], v117 offset1:1
	v_dot4_i32_i8 v113, v114, v15, v113
	v_and_b32_e32 v114, 0xf0f0f0f, v120
	v_lshrrev_b32_e32 v1, 4, v1
	v_and_b32_e32 v1, 0xf0f0f0f, v1
	s_waitcnt lgkmcnt(0)
	v_and_b32_e32 v117, 0xf0f0f0f, v118
	v_dot4_i32_i8 v116, v117, v19, v116
	v_and_b32_e32 v117, 0xf0f0f0f, v119
	v_dot4_i32_i8 v116, v117, v20, v116
	v_add_u32_e32 v117, 0x10f0, v95
	ds_read2_b32 v[120:121], v117 offset1:1
	v_lshrrev_b32_e32 v2, 4, v2
	v_dot4_i32_i8 v1, v1, v9, 0
	v_and_b32_e32 v2, 0xf0f0f0f, v2
	v_dot4_i32_i8 v1, v2, v10, v1
	s_waitcnt lgkmcnt(0)
	v_and_b32_e32 v117, 0xf0f0f0f, v120
	v_lshrrev_b32_e32 v2, 4, v118
	v_dot4_i32_i8 v116, v117, v13, v116
	v_and_b32_e32 v117, 0xf0f0f0f, v121
	v_and_b32_e32 v2, 0xf0f0f0f, v2
	v_dot4_i32_i8 v116, v117, v14, v116
	v_add_u32_e32 v117, 0x10f8, v95
	v_dot4_i32_i8 v1, v2, v11, v1
	v_lshrrev_b32_e32 v2, 4, v119
	ds_read2_b32 v[122:123], v117 offset1:1
	v_and_b32_e32 v2, 0xf0f0f0f, v2
	v_dot4_i32_i8 v1, v2, v12, v1
	v_lshrrev_b32_e32 v2, 4, v120
	v_and_b32_e32 v2, 0xf0f0f0f, v2
	v_dot4_i32_i8 v1, v2, v5, v1
	v_lshrrev_b32_e32 v2, 4, v121
	v_and_b32_e32 v2, 0xf0f0f0f, v2
	v_dot4_i32_i8 v1, v2, v6, v1
	s_waitcnt lgkmcnt(0)
	v_lshrrev_b32_e32 v2, 4, v122
	v_and_b32_e32 v2, 0xf0f0f0f, v2
	v_and_b32_e32 v117, 0xf0f0f0f, v122
	v_dot4_i32_i8 v1, v2, v7, v1
	v_lshrrev_b32_e32 v2, 4, v123
	v_dot4_i32_i8 v116, v117, v15, v116
	v_and_b32_e32 v117, 0xf0f0f0f, v123
	v_and_b32_e32 v2, 0xf0f0f0f, v2
	v_dot4_i32_i8 v116, v117, v16, v116
	v_cvt_f32_ubyte2_e32 v117, v30
	v_dot4_i32_i8 v2, v2, v8, v1
	v_cvt_f32_ubyte3_e32 v1, v30
	v_add_u32_e32 v30, 0x2160, v95
	ds_read2_b32 v[120:121], v30 offset1:1
	v_cvt_f32_ubyte2_e32 v119, v32
	v_dot4_i32_i8 v113, v114, v16, v113
	v_mul_lo_u32 v2, v2, v110
	v_cvt_f32_ubyte2_e32 v114, v28
	s_waitcnt lgkmcnt(0)
	v_and_b32_e32 v30, 0xf0f0f0f, v120
	v_dot4_i32_i8 v30, v30, v17, 0
	v_and_b32_e32 v118, 0xf0f0f0f, v121
	v_dot4_i32_i8 v30, v118, v18, v30
	v_add_u32_e32 v118, 0x2168, v95
	ds_read2_b32 v[122:123], v118 offset1:1
	v_cvt_f32_ubyte3_e32 v28, v28
	v_cvt_f32_i32_e32 v2, v2
	v_lshrrev_b32_e32 v106, 24, v25
	s_waitcnt lgkmcnt(0)
	v_and_b32_e32 v118, 0xf0f0f0f, v122
	v_dot4_i32_i8 v30, v118, v19, v30
	v_and_b32_e32 v118, 0xf0f0f0f, v123
	v_dot4_i32_i8 v30, v118, v20, v30
	v_add_u32_e32 v118, 0x2170, v95
	ds_read2_b32 v[124:125], v118 offset1:1
	s_waitcnt lgkmcnt(0)
	v_and_b32_e32 v118, 0xf0f0f0f, v124
	v_dot4_i32_i8 v30, v118, v13, v30
	v_and_b32_e32 v118, 0xf0f0f0f, v125
	v_dot4_i32_i8 v30, v118, v14, v30
	v_add_u32_e32 v118, 0x2178, v95
	ds_read2_b32 v[126:127], v118 offset1:1
	s_waitcnt lgkmcnt(0)
	v_and_b32_e32 v118, 0xf0f0f0f, v126
	v_dot4_i32_i8 v30, v118, v15, v30
	v_and_b32_e32 v118, 0xf0f0f0f, v127
	v_dot4_i32_i8 v118, v118, v16, v30
	v_lshrrev_b32_e32 v30, 4, v120
	v_and_b32_e32 v30, 0xf0f0f0f, v30
	v_lshrrev_b32_e32 v120, 4, v121
	v_dot4_i32_i8 v30, v30, v9, 0
	v_and_b32_e32 v120, 0xf0f0f0f, v120
	v_dot4_i32_i8 v30, v120, v10, v30
	v_lshrrev_b32_e32 v120, 4, v122
	v_and_b32_e32 v120, 0xf0f0f0f, v120
	v_dot4_i32_i8 v30, v120, v11, v30
	v_lshrrev_b32_e32 v120, 4, v123
	;; [unrolled: 3-line block ×6, first 2 shown]
	v_and_b32_e32 v120, 0xf0f0f0f, v120
	v_dot4_i32_i8 v120, v120, v8, v30
	v_cvt_f32_ubyte3_e32 v30, v32
	v_add_u32_e32 v32, 0x31e0, v95
	ds_read2_b32 v[121:122], v32 offset1:1
	s_waitcnt lgkmcnt(0)
	v_and_b32_e32 v32, 0xf0f0f0f, v121
	v_dot4_i32_i8 v17, v32, v17, 0
	v_and_b32_e32 v32, 0xf0f0f0f, v122
	v_dot4_i32_i8 v32, v32, v18, v17
	v_add_u32_e32 v17, 0x31e8, v95
	ds_read2_b32 v[17:18], v17 offset1:1
	s_waitcnt lgkmcnt(0)
	v_and_b32_e32 v123, 0xf0f0f0f, v17
	v_dot4_i32_i8 v19, v123, v19, v32
	v_and_b32_e32 v32, 0xf0f0f0f, v18
	v_dot4_i32_i8 v32, v32, v20, v19
	v_add_u32_e32 v19, 0x31f0, v95
	ds_read2_b32 v[19:20], v19 offset1:1
	s_waitcnt lgkmcnt(0)
	v_and_b32_e32 v123, 0xf0f0f0f, v19
	v_dot4_i32_i8 v13, v123, v13, v32
	v_and_b32_e32 v32, 0xf0f0f0f, v20
	v_dot4_i32_i8 v32, v32, v14, v13
	v_add_u32_e32 v13, 0x31f8, v95
	ds_read2_b32 v[13:14], v13 offset1:1
	s_waitcnt lgkmcnt(0)
	s_barrier
	v_and_b32_e32 v123, 0xf0f0f0f, v13
	v_dot4_i32_i8 v15, v123, v15, v32
	v_and_b32_e32 v32, 0xf0f0f0f, v14
	v_dot4_i32_i8 v15, v32, v16, v15
	v_lshrrev_b32_e32 v32, 4, v121
	v_and_b32_e32 v32, 0xf0f0f0f, v32
	v_dot4_i32_i8 v9, v32, v9, 0
	v_lshrrev_b32_e32 v32, 4, v122
	;; [unrolled: 3-line block ×8, first 2 shown]
	v_bfe_u32 v7, v27, 16, 8
	v_and_b32_e32 v6, 0xf0f0f0f, v6
	v_mul_lo_u32 v7, v113, v7
	v_dot4_i32_i8 v5, v6, v8, v5
	v_mul_lo_u32 v8, v115, v112
	v_fma_mix_f32 v6, v3, v114, 0 op_sel:[1,0,0] op_sel_hi:[1,0,0]
	v_cvt_f32_i32_e32 v7, v7
	v_fma_mix_f32 v6, v4, v28, v6 op_sel:[1,0,0] op_sel_hi:[1,0,0]
	v_cvt_f32_i32_e32 v8, v8
	v_mul_f32_e32 v6, v6, v101
	v_fma_mix_f32 v7, v3, v7, 0 op_sel_hi:[1,0,0]
	v_cvt_f32_ubyte2_e32 v16, v26
	v_fma_mix_f32 v7, v4, v8, v7 op_sel_hi:[1,0,0]
	v_bfe_u32 v8, v29, 16, 8
	v_mul_lo_u32 v8, v116, v8
	v_fma_mix_f32 v6, v7, v97, -v6 op_sel_hi:[0,1,0]
	v_fma_mix_f32 v7, v3, v117, 0 op_sel:[1,0,0] op_sel_hi:[1,0,0]
	v_fma_mix_f32 v1, v4, v1, v7 op_sel:[1,0,0] op_sel_hi:[1,0,0]
	v_cvt_f32_i32_e32 v8, v8
	v_mul_f32_e32 v1, v1, v102
	v_add_f32_e32 v6, v111, v6
	v_fma_mix_f32 v8, v3, v8, 0 op_sel_hi:[1,0,0]
	v_fma_mix_f32 v2, v4, v2, v8 op_sel_hi:[1,0,0]
	v_fma_mix_f32 v1, v2, v98, -v1 op_sel_hi:[0,1,0]
	v_bfe_u32 v2, v31, 16, 8
	v_mul_lo_u32 v2, v118, v2
	v_mul_lo_u32 v8, v120, v108
	v_add_f32_e32 v7, v109, v1
	v_fma_mix_f32 v1, v3, v119, 0 op_sel:[1,0,0] op_sel_hi:[1,0,0]
	v_cvt_f32_i32_e32 v2, v2
	v_cvt_f32_i32_e32 v8, v8
	v_fma_mix_f32 v1, v4, v30, v1 op_sel:[1,0,0] op_sel_hi:[1,0,0]
	v_mul_f32_e32 v1, v1, v103
	v_fma_mix_f32 v2, v3, v2, 0 op_sel_hi:[1,0,0]
	v_fma_mix_f32 v2, v4, v8, v2 op_sel_hi:[1,0,0]
	v_fma_mix_f32 v1, v2, v99, -v1 op_sel_hi:[0,1,0]
	v_add_f32_e32 v8, v107, v1
	v_bfe_u32 v1, v25, 16, 8
	v_mul_lo_u32 v1, v15, v1
	v_mul_lo_u32 v2, v5, v106
	v_cvt_f32_i32_e32 v1, v1
	v_cvt_f32_i32_e32 v2, v2
	v_fma_mix_f32 v1, v3, v1, 0 op_sel_hi:[1,0,0]
	v_fma_mix_f32 v3, v3, v16, 0 op_sel:[1,0,0] op_sel_hi:[1,0,0]
	v_fma_mix_f32 v1, v4, v2, v1 op_sel_hi:[1,0,0]
	v_cvt_f32_ubyte3_e32 v2, v26
	v_fma_mix_f32 v2, v4, v2, v3 op_sel:[1,0,0] op_sel_hi:[1,0,0]
	v_mul_f32_e32 v2, v2, v104
	v_fma_mix_f32 v1, v1, v100, -v2 op_sel_hi:[0,1,0]
	v_add_f32_e32 v5, v105, v1
.LBB231_5:                              ;   in Loop: Header=BB231_6 Depth=1
	v_add_co_u32_e32 v55, vcc, 0x90, v55
	v_addc_co_u32_e32 v56, vcc, 0, v56, vcc
	v_add_co_u32_e32 v57, vcc, 0x90, v57
	v_addc_co_u32_e32 v58, vcc, 0, v58, vcc
	;; [unrolled: 2-line block ×20, first 2 shown]
	s_add_i32 s23, s23, -1
	s_addk_i32 s12, 0x100
	v_add_co_u32_e32 v93, vcc, 0x90, v93
	v_add_u32_e32 v44, 8, v44
	v_add_u32_e32 v41, 8, v41
	v_add_u32_e32 v96, 8, v96
	s_cmp_eq_u32 s23, 0
	v_addc_co_u32_e32 v94, vcc, 0, v94, vcc
	s_cbranch_scc1 .LBB231_17
.LBB231_6:                              ; =>This Inner Loop Header: Depth=1
	v_mov_b32_e32 v3, s24
	v_add_co_u32_e32 v1, vcc, s18, v55
	v_addc_co_u32_e32 v2, vcc, v56, v3, vcc
	global_load_dword v4, v[1:2], off
	v_add_co_u32_e32 v1, vcc, s18, v57
	v_addc_co_u32_e32 v2, vcc, v58, v3, vcc
	global_load_dword v9, v[1:2], off
	;; [unrolled: 3-line block ×21, first 2 shown]
	v_add_u32_e32 v2, 0x420, v34
	s_waitcnt vmcnt(19)
	ds_write_b32 v2, v9
	v_add_u32_e32 v2, 0x840, v34
	s_waitcnt vmcnt(18)
	ds_write_b32 v2, v10
	;; [unrolled: 3-line block ×6, first 2 shown]
	v_add_u32_e32 v2, 0x1ce0, v34
	ds_write_b32 v34, v4
	s_waitcnt vmcnt(13)
	ds_write_b32 v2, v15
	v_add_u32_e32 v2, 0x2100, v34
	s_add_i32 s4, s12, 0xffffff80
	s_cmp_lt_i32 s4, s19
	s_waitcnt vmcnt(12)
	ds_write_b32 v2, v16
	v_add_u32_e32 v2, 0x2520, v34
	s_waitcnt vmcnt(11)
	ds_write_b32 v2, v17
	v_add_u32_e32 v2, 0x2940, v34
	;; [unrolled: 3-line block ×7, first 2 shown]
	s_waitcnt vmcnt(5)
	ds_write_b32 v2, v27
	s_waitcnt vmcnt(4)
	ds_write_b32 v35, v28
	s_waitcnt vmcnt(3)
	v_ashrrev_i32_e32 v2, v36, v29
	v_and_b32_e32 v2, 0xf0f0f0f, v2
	s_waitcnt vmcnt(2)
	v_ashrrev_i32_e32 v3, v37, v30
	v_and_or_b32 v2, v3, s13, v2
	ds_write_b32 v38, v2
	s_waitcnt vmcnt(1)
	v_ashrrev_i32_e32 v2, v36, v31
	v_and_b32_e32 v2, 0xf0f0f0f, v2
	s_waitcnt vmcnt(0)
	v_ashrrev_i32_e32 v1, v37, v1
	v_and_or_b32 v1, v1, s13, v2
	ds_write_b32 v39, v1
	s_cbranch_scc0 .LBB231_5
; %bb.7:                                ;   in Loop: Header=BB231_6 Depth=1
	v_cmp_gt_i32_e32 vcc, s9, v41
	s_and_b64 s[20:21], s[2:3], vcc
	s_and_saveexec_b64 s[4:5], s[20:21]
	s_cbranch_execz .LBB231_9
; %bb.8:                                ;   in Loop: Header=BB231_6 Depth=1
	v_add_u32_e32 v1, v54, v41
	v_mad_i64_i32 v[1:2], s[20:21], v1, 36, v[21:22]
	global_load_dword v1, v[1:2], off offset:4
	s_waitcnt vmcnt(0)
	ds_write_b32 v52, v1
.LBB231_9:                              ;   in Loop: Header=BB231_6 Depth=1
	s_or_b64 exec, exec, s[4:5]
	v_cmp_gt_i32_e32 vcc, s9, v96
	s_and_b64 s[20:21], s[6:7], vcc
	s_and_saveexec_b64 s[4:5], s[20:21]
	s_cbranch_execz .LBB231_11
; %bb.10:                               ;   in Loop: Header=BB231_6 Depth=1
	v_add_u32_e32 v1, v54, v96
	v_mad_i64_i32 v[1:2], s[20:21], v1, 36, s[14:15]
	global_load_dword v1, v[1:2], off
	v_add_u32_e32 v2, v40, v53
	s_waitcnt vmcnt(0)
	ds_write_b32 v2, v1
.LBB231_11:                             ;   in Loop: Header=BB231_6 Depth=1
	s_or_b64 exec, exec, s[4:5]
	s_waitcnt lgkmcnt(0)
	s_barrier
	ds_read_b128 v[1:4], v51
	ds_read_b128 v[104:107], v51 offset:16
	ds_read_b128 v[108:111], v51 offset:32
	;; [unrolled: 1-line block ×3, first 2 shown]
	ds_read_b32 v97, v43
	ds_read2_b32 v[11:12], v95 offset1:1
	ds_read2_b32 v[13:14], v95 offset0:2 offset1:3
	ds_read2_b32 v[15:16], v95 offset0:4 offset1:5
	ds_read_b32 v98, v46 offset:128
	ds_read2_b32 v[17:18], v95 offset0:6 offset1:7
	ds_read_b32 v99, v48 offset:256
	s_waitcnt lgkmcnt(5)
	v_and_b32_e32 v9, 0xf0f0f0f, v11
	v_lshrrev_b32_e32 v11, 4, v11
	v_and_b32_e32 v10, 0xf0f0f0f, v12
	v_and_b32_e32 v11, 0xf0f0f0f, v11
	v_lshrrev_b32_e32 v12, 4, v12
	v_dot4_i32_i8 v11, v11, v108, 0
	v_and_b32_e32 v12, 0xf0f0f0f, v12
	v_dot4_i32_i8 v11, v12, v109, v11
	s_waitcnt lgkmcnt(4)
	v_lshrrev_b32_e32 v12, 4, v13
	v_and_b32_e32 v12, 0xf0f0f0f, v12
	v_dot4_i32_i8 v9, v9, v1, 0
	v_dot4_i32_i8 v11, v12, v110, v11
	v_lshrrev_b32_e32 v12, 4, v14
	v_dot4_i32_i8 v9, v10, v2, v9
	v_and_b32_e32 v10, 0xf0f0f0f, v13
	v_and_b32_e32 v12, 0xf0f0f0f, v12
	v_dot4_i32_i8 v9, v10, v3, v9
	v_and_b32_e32 v10, 0xf0f0f0f, v14
	v_dot4_i32_i8 v11, v12, v111, v11
	s_waitcnt lgkmcnt(3)
	v_lshrrev_b32_e32 v12, 4, v15
	v_dot4_i32_i8 v9, v10, v4, v9
	v_and_b32_e32 v10, 0xf0f0f0f, v15
	v_and_b32_e32 v12, 0xf0f0f0f, v12
	v_add_u32_e32 v13, 0x1080, v95
	v_dot4_i32_i8 v9, v10, v104, v9
	v_and_b32_e32 v10, 0xf0f0f0f, v16
	v_dot4_i32_i8 v11, v12, v112, v11
	v_lshrrev_b32_e32 v12, 4, v16
	ds_read2_b32 v[15:16], v13 offset1:1
	v_and_b32_e32 v12, 0xf0f0f0f, v12
	v_dot4_i32_i8 v11, v12, v113, v11
	s_waitcnt lgkmcnt(2)
	v_lshrrev_b32_e32 v12, 4, v17
	v_dot4_i32_i8 v9, v10, v105, v9
	s_waitcnt lgkmcnt(0)
	v_and_b32_e32 v13, 0xf0f0f0f, v15
	v_dot4_i32_i8 v13, v13, v1, 0
	v_and_b32_e32 v14, 0xf0f0f0f, v16
	v_and_b32_e32 v10, 0xf0f0f0f, v17
	v_and_b32_e32 v12, 0xf0f0f0f, v12
	v_dot4_i32_i8 v13, v14, v2, v13
	v_add_u32_e32 v14, 0x1088, v95
	v_dot4_i32_i8 v9, v10, v106, v9
	v_and_b32_e32 v10, 0xf0f0f0f, v18
	v_dot4_i32_i8 v11, v12, v114, v11
	v_lshrrev_b32_e32 v12, 4, v18
	ds_read2_b32 v[17:18], v14 offset1:1
	ds_read_b32 v100, v50 offset:384
	v_lshrrev_b32_e32 v15, 4, v15
	v_and_b32_e32 v15, 0xf0f0f0f, v15
	v_lshrrev_b32_e32 v16, 4, v16
	s_waitcnt lgkmcnt(1)
	v_and_b32_e32 v14, 0xf0f0f0f, v17
	v_dot4_i32_i8 v13, v14, v3, v13
	v_and_b32_e32 v14, 0xf0f0f0f, v18
	v_dot4_i32_i8 v13, v14, v4, v13
	v_add_u32_e32 v14, 0x1090, v95
	ds_read2_b32 v[19:20], v14 offset1:1
	v_dot4_i32_i8 v15, v15, v108, 0
	v_and_b32_e32 v16, 0xf0f0f0f, v16
	v_dot4_i32_i8 v15, v16, v109, v15
	v_lshrrev_b32_e32 v16, 4, v17
	v_and_b32_e32 v16, 0xf0f0f0f, v16
	v_dot4_i32_i8 v15, v16, v110, v15
	v_lshrrev_b32_e32 v16, 4, v18
	s_waitcnt lgkmcnt(0)
	v_and_b32_e32 v14, 0xf0f0f0f, v19
	v_and_b32_e32 v16, 0xf0f0f0f, v16
	v_dot4_i32_i8 v13, v14, v104, v13
	v_and_b32_e32 v14, 0xf0f0f0f, v20
	v_dot4_i32_i8 v15, v16, v111, v15
	v_lshrrev_b32_e32 v16, 4, v19
	v_dot4_i32_i8 v13, v14, v105, v13
	v_add_u32_e32 v14, 0x1098, v95
	v_and_b32_e32 v16, 0xf0f0f0f, v16
	v_add_u32_e32 v17, 0x2100, v95
	ds_read2_b32 v[25:26], v14 offset1:1
	v_dot4_i32_i8 v15, v16, v112, v15
	v_lshrrev_b32_e32 v16, 4, v20
	ds_read2_b32 v[19:20], v17 offset1:1
	v_and_b32_e32 v16, 0xf0f0f0f, v16
	v_dot4_i32_i8 v15, v16, v113, v15
	s_waitcnt lgkmcnt(1)
	v_lshrrev_b32_e32 v16, 4, v25
	v_and_b32_e32 v14, 0xf0f0f0f, v25
	s_waitcnt lgkmcnt(0)
	v_and_b32_e32 v17, 0xf0f0f0f, v19
	v_dot4_i32_i8 v17, v17, v1, 0
	v_and_b32_e32 v18, 0xf0f0f0f, v20
	v_and_b32_e32 v16, 0xf0f0f0f, v16
	v_dot4_i32_i8 v17, v18, v2, v17
	v_add_u32_e32 v18, 0x2108, v95
	v_dot4_i32_i8 v13, v14, v106, v13
	v_and_b32_e32 v14, 0xf0f0f0f, v26
	v_dot4_i32_i8 v15, v16, v114, v15
	v_lshrrev_b32_e32 v16, 4, v26
	ds_read2_b32 v[25:26], v18 offset1:1
	v_lshrrev_b32_e32 v19, 4, v19
	v_and_b32_e32 v19, 0xf0f0f0f, v19
	v_lshrrev_b32_e32 v20, 4, v20
	v_dot4_i32_i8 v19, v19, v108, 0
	s_waitcnt lgkmcnt(0)
	v_and_b32_e32 v18, 0xf0f0f0f, v25
	v_dot4_i32_i8 v17, v18, v3, v17
	v_and_b32_e32 v18, 0xf0f0f0f, v26
	v_dot4_i32_i8 v17, v18, v4, v17
	v_add_u32_e32 v18, 0x2110, v95
	ds_read2_b32 v[116:117], v18 offset1:1
	v_and_b32_e32 v20, 0xf0f0f0f, v20
	v_dot4_i32_i8 v19, v20, v109, v19
	v_lshrrev_b32_e32 v20, 4, v25
	v_and_b32_e32 v20, 0xf0f0f0f, v20
	v_dot4_i32_i8 v19, v20, v110, v19
	v_lshrrev_b32_e32 v20, 4, v26
	s_waitcnt lgkmcnt(0)
	v_and_b32_e32 v18, 0xf0f0f0f, v116
	v_and_b32_e32 v20, 0xf0f0f0f, v20
	v_dot4_i32_i8 v17, v18, v104, v17
	v_and_b32_e32 v18, 0xf0f0f0f, v117
	v_dot4_i32_i8 v19, v20, v111, v19
	v_lshrrev_b32_e32 v20, 4, v116
	v_dot4_i32_i8 v17, v18, v105, v17
	v_add_u32_e32 v18, 0x2118, v95
	v_and_b32_e32 v20, 0xf0f0f0f, v20
	v_add_u32_e32 v25, 0x3180, v95
	ds_read2_b32 v[118:119], v18 offset1:1
	v_dot4_i32_i8 v19, v20, v112, v19
	v_lshrrev_b32_e32 v20, 4, v117
	ds_read2_b32 v[116:117], v25 offset1:1
	v_and_b32_e32 v20, 0xf0f0f0f, v20
	v_dot4_i32_i8 v19, v20, v113, v19
	v_dot4_i32_i8 v9, v10, v107, v9
	;; [unrolled: 1-line block ×3, first 2 shown]
	s_waitcnt lgkmcnt(0)
	v_and_b32_e32 v25, 0xf0f0f0f, v116
	v_dot4_i32_i8 v1, v25, v1, 0
	v_and_b32_e32 v25, 0xf0f0f0f, v117
	v_dot4_i32_i8 v25, v25, v2, v1
	v_add_u32_e32 v1, 0x3188, v95
	ds_read2_b32 v[1:2], v1 offset1:1
	v_lshrrev_b32_e32 v20, 4, v118
	v_and_b32_e32 v18, 0xf0f0f0f, v118
	v_and_b32_e32 v20, 0xf0f0f0f, v20
	v_dot4_i32_i8 v17, v18, v106, v17
	s_waitcnt lgkmcnt(0)
	v_and_b32_e32 v26, 0xf0f0f0f, v1
	v_dot4_i32_i8 v3, v26, v3, v25
	v_and_b32_e32 v25, 0xf0f0f0f, v2
	v_dot4_i32_i8 v25, v25, v4, v3
	v_add_u32_e32 v3, 0x3190, v95
	ds_read2_b32 v[3:4], v3 offset1:1
	v_and_b32_e32 v18, 0xf0f0f0f, v119
	v_dot4_i32_i8 v19, v20, v114, v19
	v_lshrrev_b32_e32 v20, 4, v119
	v_dot4_i32_i8 v17, v18, v107, v17
	s_waitcnt lgkmcnt(0)
	v_and_b32_e32 v26, 0xf0f0f0f, v3
	v_dot4_i32_i8 v25, v26, v104, v25
	v_and_b32_e32 v26, 0xf0f0f0f, v4
	v_dot4_i32_i8 v25, v26, v105, v25
	v_add_u32_e32 v26, 0x3198, v95
	ds_read2_b32 v[118:119], v26 offset1:1
	v_lshrrev_b32_e32 v1, 4, v1
	v_and_b32_e32 v1, 0xf0f0f0f, v1
	v_lshrrev_b32_e32 v2, 4, v2
	v_and_b32_e32 v2, 0xf0f0f0f, v2
	s_waitcnt lgkmcnt(0)
	v_and_b32_e32 v26, 0xf0f0f0f, v118
	v_dot4_i32_i8 v25, v26, v106, v25
	v_and_b32_e32 v26, 0xf0f0f0f, v119
	v_lshrrev_b32_e32 v106, 4, v116
	v_dot4_i32_i8 v105, v26, v107, v25
	v_and_b32_e32 v106, 0xf0f0f0f, v106
	v_lshrrev_b32_e32 v107, 4, v117
	v_dot4_i32_i8 v106, v106, v108, 0
	v_and_b32_e32 v107, 0xf0f0f0f, v107
	v_dot4_i32_i8 v106, v107, v109, v106
	v_dot4_i32_i8 v1, v1, v110, v106
	ds_read2_b32 v[27:28], v42 offset1:2
	v_dot4_i32_i8 v1, v2, v111, v1
	v_lshrrev_b32_e32 v2, 4, v3
	v_and_b32_e32 v2, 0xf0f0f0f, v2
	v_dot4_i32_i8 v1, v2, v112, v1
	v_lshrrev_b32_e32 v2, 4, v4
	v_and_b32_e32 v2, 0xf0f0f0f, v2
	;; [unrolled: 3-line block ×3, first 2 shown]
	v_and_b32_e32 v2, 0xf0f0f0f, v2
	s_waitcnt lgkmcnt(0)
	v_and_b32_e32 v106, 0xff, v27
	v_dot4_i32_i8 v12, v12, v115, v11
	v_dot4_i32_i8 v1, v2, v114, v1
	v_lshrrev_b32_e32 v2, 4, v119
	v_bfe_u32 v107, v27, 8, 8
	v_mul_lo_u32 v9, v9, v106
	v_and_b32_e32 v2, 0xf0f0f0f, v2
	v_mul_lo_u32 v12, v12, v107
	v_dot4_i32_i8 v113, v2, v115, v1
	ds_read_b128 v[1:4], v53 offset:20560
	v_cvt_f32_i32_e32 v9, v9
	v_cvt_f32_f16_sdwa v101, v97 dst_sel:DWORD dst_unused:UNUSED_PAD src0_sel:WORD_1
	v_cvt_f32_i32_e32 v12, v12
	v_cvt_f32_ubyte0_e32 v10, v28
	ds_read2_b32 v[29:30], v45 offset1:2
	v_cvt_f32_ubyte1_e32 v11, v28
	s_waitcnt lgkmcnt(1)
	v_fma_mix_f32 v10, v1, v10, 0 op_sel:[1,0,0] op_sel_hi:[1,0,0]
	v_fma_mix_f32 v9, v1, v9, 0 op_sel_hi:[1,0,0]
	v_fma_mix_f32 v10, v2, v11, v10 op_sel:[1,0,0] op_sel_hi:[1,0,0]
	v_fma_mix_f32 v9, v2, v12, v9 op_sel_hi:[1,0,0]
	v_mul_f32_e32 v10, v10, v101
	v_fma_mix_f32 v9, v9, v97, -v10 op_sel_hi:[0,1,0]
	v_and_b32_e32 v16, 0xf0f0f0f, v16
	v_add_f32_e32 v111, v6, v9
	s_waitcnt lgkmcnt(0)
	v_and_b32_e32 v9, 0xff, v29
	v_dot4_i32_i8 v16, v16, v115, v15
	v_bfe_u32 v10, v29, 8, 8
	v_mul_lo_u32 v9, v13, v9
	v_mul_lo_u32 v10, v16, v10
	v_cvt_f32_f16_sdwa v102, v98 dst_sel:DWORD dst_unused:UNUSED_PAD src0_sel:WORD_1
	v_cvt_f32_ubyte0_e32 v14, v30
	v_cvt_f32_i32_e32 v9, v9
	v_cvt_f32_i32_e32 v10, v10
	ds_read2_b32 v[31:32], v47 offset1:2
	v_cvt_f32_ubyte1_e32 v15, v30
	v_fma_mix_f32 v6, v1, v14, 0 op_sel:[1,0,0] op_sel_hi:[1,0,0]
	v_fma_mix_f32 v9, v1, v9, 0 op_sel_hi:[1,0,0]
	v_fma_mix_f32 v6, v2, v15, v6 op_sel:[1,0,0] op_sel_hi:[1,0,0]
	v_fma_mix_f32 v9, v2, v10, v9 op_sel_hi:[1,0,0]
	v_mul_f32_e32 v6, v6, v102
	v_fma_mix_f32 v6, v9, v98, -v6 op_sel_hi:[0,1,0]
	v_and_b32_e32 v20, 0xf0f0f0f, v20
	v_add_f32_e32 v109, v7, v6
	s_waitcnt lgkmcnt(0)
	v_and_b32_e32 v7, 0xff, v31
	v_dot4_i32_i8 v20, v20, v115, v19
	v_bfe_u32 v9, v31, 8, 8
	v_mul_lo_u32 v7, v17, v7
	v_mul_lo_u32 v9, v20, v9
	v_cvt_f32_f16_sdwa v103, v99 dst_sel:DWORD dst_unused:UNUSED_PAD src0_sel:WORD_1
	v_cvt_f32_ubyte0_e32 v18, v32
	v_cvt_f32_i32_e32 v7, v7
	v_cvt_f32_i32_e32 v9, v9
	ds_read2_b32 v[25:26], v49 offset1:2
	v_cvt_f32_ubyte1_e32 v19, v32
	v_fma_mix_f32 v6, v1, v18, 0 op_sel:[1,0,0] op_sel_hi:[1,0,0]
	v_fma_mix_f32 v7, v1, v7, 0 op_sel_hi:[1,0,0]
	v_fma_mix_f32 v6, v2, v19, v6 op_sel:[1,0,0] op_sel_hi:[1,0,0]
	v_fma_mix_f32 v7, v2, v9, v7 op_sel_hi:[1,0,0]
	v_mul_f32_e32 v6, v6, v103
	v_fma_mix_f32 v6, v7, v99, -v6 op_sel_hi:[0,1,0]
	v_add_f32_e32 v107, v8, v6
	s_waitcnt lgkmcnt(0)
	v_and_b32_e32 v6, 0xff, v25
	v_mul_lo_u32 v6, v105, v6
	v_bfe_u32 v7, v25, 8, 8
	v_mul_lo_u32 v7, v113, v7
	v_cvt_f32_ubyte0_e32 v104, v26
	v_cvt_f32_i32_e32 v6, v6
	v_lshrrev_b32_e32 v112, 24, v27
	v_cvt_f32_i32_e32 v7, v7
	v_lshrrev_b32_e32 v110, 24, v29
	v_fma_mix_f32 v6, v1, v6, 0 op_sel_hi:[1,0,0]
	v_fma_mix_f32 v1, v1, v104, 0 op_sel:[1,0,0] op_sel_hi:[1,0,0]
	v_cvt_f32_f16_sdwa v104, v100 dst_sel:DWORD dst_unused:UNUSED_PAD src0_sel:WORD_1
	v_fma_mix_f32 v6, v2, v7, v6 op_sel_hi:[1,0,0]
	v_cvt_f32_ubyte1_e32 v7, v26
	v_fma_mix_f32 v1, v2, v7, v1 op_sel:[1,0,0] op_sel_hi:[1,0,0]
	v_mul_f32_e32 v1, v1, v104
	v_fma_mix_f32 v1, v6, v100, -v1 op_sel_hi:[0,1,0]
	v_add_f32_e32 v105, v5, v1
	ds_read_b128 v[17:20], v51 offset:64
	ds_read_b128 v[13:16], v51 offset:80
	;; [unrolled: 1-line block ×4, first 2 shown]
	ds_read2_b32 v[1:2], v95 offset0:8 offset1:9
	ds_read2_b32 v[115:116], v95 offset0:10 offset1:11
	;; [unrolled: 1-line block ×4, first 2 shown]
	v_lshrrev_b32_e32 v108, 24, v31
	s_waitcnt lgkmcnt(3)
	v_and_b32_e32 v113, 0xf0f0f0f, v1
	v_lshrrev_b32_e32 v1, 4, v1
	v_and_b32_e32 v114, 0xf0f0f0f, v2
	v_and_b32_e32 v1, 0xf0f0f0f, v1
	v_lshrrev_b32_e32 v2, 4, v2
	v_dot4_i32_i8 v1, v1, v9, 0
	v_and_b32_e32 v2, 0xf0f0f0f, v2
	v_dot4_i32_i8 v1, v2, v10, v1
	s_waitcnt lgkmcnt(2)
	v_lshrrev_b32_e32 v2, 4, v115
	v_and_b32_e32 v2, 0xf0f0f0f, v2
	v_dot4_i32_i8 v1, v2, v11, v1
	v_lshrrev_b32_e32 v2, 4, v116
	v_and_b32_e32 v2, 0xf0f0f0f, v2
	v_dot4_i32_i8 v1, v2, v12, v1
	s_waitcnt lgkmcnt(1)
	v_lshrrev_b32_e32 v2, 4, v117
	v_and_b32_e32 v2, 0xf0f0f0f, v2
	v_dot4_i32_i8 v1, v2, v5, v1
	v_lshrrev_b32_e32 v2, 4, v118
	v_and_b32_e32 v2, 0xf0f0f0f, v2
	v_dot4_i32_i8 v1, v2, v6, v1
	s_waitcnt lgkmcnt(0)
	v_lshrrev_b32_e32 v2, 4, v119
	v_and_b32_e32 v2, 0xf0f0f0f, v2
	v_dot4_i32_i8 v1, v2, v7, v1
	v_lshrrev_b32_e32 v2, 4, v120
	v_dot4_i32_i8 v113, v113, v17, 0
	v_and_b32_e32 v2, 0xf0f0f0f, v2
	v_dot4_i32_i8 v113, v114, v18, v113
	v_and_b32_e32 v114, 0xf0f0f0f, v115
	v_dot4_i32_i8 v115, v2, v8, v1
	v_add_u32_e32 v1, 0x10a0, v95
	ds_read2_b32 v[1:2], v1 offset1:1
	v_dot4_i32_i8 v113, v114, v19, v113
	v_and_b32_e32 v114, 0xf0f0f0f, v116
	v_dot4_i32_i8 v113, v114, v20, v113
	v_and_b32_e32 v114, 0xf0f0f0f, v117
	s_waitcnt lgkmcnt(0)
	v_and_b32_e32 v116, 0xf0f0f0f, v1
	v_dot4_i32_i8 v116, v116, v17, 0
	v_and_b32_e32 v117, 0xf0f0f0f, v2
	v_dot4_i32_i8 v113, v114, v13, v113
	;; [unrolled: 2-line block ×3, first 2 shown]
	v_add_u32_e32 v117, 0x10a8, v95
	v_dot4_i32_i8 v113, v114, v14, v113
	v_and_b32_e32 v114, 0xf0f0f0f, v119
	ds_read2_b32 v[118:119], v117 offset1:1
	v_dot4_i32_i8 v113, v114, v15, v113
	v_and_b32_e32 v114, 0xf0f0f0f, v120
	v_lshrrev_b32_e32 v1, 4, v1
	v_and_b32_e32 v1, 0xf0f0f0f, v1
	s_waitcnt lgkmcnt(0)
	v_and_b32_e32 v117, 0xf0f0f0f, v118
	v_dot4_i32_i8 v116, v117, v19, v116
	v_and_b32_e32 v117, 0xf0f0f0f, v119
	v_dot4_i32_i8 v116, v117, v20, v116
	v_add_u32_e32 v117, 0x10b0, v95
	ds_read2_b32 v[120:121], v117 offset1:1
	v_lshrrev_b32_e32 v2, 4, v2
	v_dot4_i32_i8 v1, v1, v9, 0
	v_and_b32_e32 v2, 0xf0f0f0f, v2
	v_dot4_i32_i8 v1, v2, v10, v1
	s_waitcnt lgkmcnt(0)
	v_and_b32_e32 v117, 0xf0f0f0f, v120
	v_lshrrev_b32_e32 v2, 4, v118
	v_dot4_i32_i8 v116, v117, v13, v116
	v_and_b32_e32 v117, 0xf0f0f0f, v121
	v_and_b32_e32 v2, 0xf0f0f0f, v2
	v_dot4_i32_i8 v116, v117, v14, v116
	v_add_u32_e32 v117, 0x10b8, v95
	v_dot4_i32_i8 v1, v2, v11, v1
	v_lshrrev_b32_e32 v2, 4, v119
	ds_read2_b32 v[122:123], v117 offset1:1
	v_and_b32_e32 v2, 0xf0f0f0f, v2
	v_dot4_i32_i8 v1, v2, v12, v1
	v_lshrrev_b32_e32 v2, 4, v120
	v_and_b32_e32 v2, 0xf0f0f0f, v2
	v_dot4_i32_i8 v1, v2, v5, v1
	v_lshrrev_b32_e32 v2, 4, v121
	v_and_b32_e32 v2, 0xf0f0f0f, v2
	v_dot4_i32_i8 v1, v2, v6, v1
	s_waitcnt lgkmcnt(0)
	v_lshrrev_b32_e32 v2, 4, v122
	v_and_b32_e32 v2, 0xf0f0f0f, v2
	v_and_b32_e32 v117, 0xf0f0f0f, v122
	v_dot4_i32_i8 v1, v2, v7, v1
	v_lshrrev_b32_e32 v2, 4, v123
	v_dot4_i32_i8 v116, v117, v15, v116
	v_and_b32_e32 v117, 0xf0f0f0f, v123
	v_and_b32_e32 v2, 0xf0f0f0f, v2
	v_dot4_i32_i8 v116, v117, v16, v116
	v_cvt_f32_ubyte2_e32 v117, v30
	v_dot4_i32_i8 v2, v2, v8, v1
	v_cvt_f32_ubyte3_e32 v1, v30
	v_add_u32_e32 v30, 0x2120, v95
	ds_read2_b32 v[120:121], v30 offset1:1
	v_cvt_f32_ubyte2_e32 v119, v32
	v_dot4_i32_i8 v113, v114, v16, v113
	v_mul_lo_u32 v2, v2, v110
	v_cvt_f32_ubyte2_e32 v114, v28
	s_waitcnt lgkmcnt(0)
	v_and_b32_e32 v30, 0xf0f0f0f, v120
	v_dot4_i32_i8 v30, v30, v17, 0
	v_and_b32_e32 v118, 0xf0f0f0f, v121
	v_dot4_i32_i8 v30, v118, v18, v30
	v_add_u32_e32 v118, 0x2128, v95
	ds_read2_b32 v[122:123], v118 offset1:1
	v_cvt_f32_ubyte3_e32 v28, v28
	v_cvt_f32_i32_e32 v2, v2
	v_lshrrev_b32_e32 v106, 24, v25
	s_cmp_ge_i32 s12, s19
	s_waitcnt lgkmcnt(0)
	v_and_b32_e32 v118, 0xf0f0f0f, v122
	v_dot4_i32_i8 v30, v118, v19, v30
	v_and_b32_e32 v118, 0xf0f0f0f, v123
	v_dot4_i32_i8 v30, v118, v20, v30
	v_add_u32_e32 v118, 0x2130, v95
	ds_read2_b32 v[124:125], v118 offset1:1
	s_waitcnt lgkmcnt(0)
	v_and_b32_e32 v118, 0xf0f0f0f, v124
	v_dot4_i32_i8 v30, v118, v13, v30
	v_and_b32_e32 v118, 0xf0f0f0f, v125
	v_dot4_i32_i8 v30, v118, v14, v30
	v_add_u32_e32 v118, 0x2138, v95
	ds_read2_b32 v[126:127], v118 offset1:1
	s_waitcnt lgkmcnt(0)
	v_and_b32_e32 v118, 0xf0f0f0f, v126
	v_dot4_i32_i8 v30, v118, v15, v30
	v_and_b32_e32 v118, 0xf0f0f0f, v127
	v_dot4_i32_i8 v118, v118, v16, v30
	v_lshrrev_b32_e32 v30, 4, v120
	v_and_b32_e32 v30, 0xf0f0f0f, v30
	v_lshrrev_b32_e32 v120, 4, v121
	v_dot4_i32_i8 v30, v30, v9, 0
	v_and_b32_e32 v120, 0xf0f0f0f, v120
	v_dot4_i32_i8 v30, v120, v10, v30
	v_lshrrev_b32_e32 v120, 4, v122
	v_and_b32_e32 v120, 0xf0f0f0f, v120
	v_dot4_i32_i8 v30, v120, v11, v30
	v_lshrrev_b32_e32 v120, 4, v123
	;; [unrolled: 3-line block ×6, first 2 shown]
	v_and_b32_e32 v120, 0xf0f0f0f, v120
	v_dot4_i32_i8 v120, v120, v8, v30
	v_cvt_f32_ubyte3_e32 v30, v32
	v_add_u32_e32 v32, 0x31a0, v95
	ds_read2_b32 v[121:122], v32 offset1:1
	s_waitcnt lgkmcnt(0)
	v_and_b32_e32 v32, 0xf0f0f0f, v121
	v_dot4_i32_i8 v17, v32, v17, 0
	v_and_b32_e32 v32, 0xf0f0f0f, v122
	v_dot4_i32_i8 v32, v32, v18, v17
	v_add_u32_e32 v17, 0x31a8, v95
	ds_read2_b32 v[17:18], v17 offset1:1
	s_waitcnt lgkmcnt(0)
	v_and_b32_e32 v123, 0xf0f0f0f, v17
	v_dot4_i32_i8 v19, v123, v19, v32
	v_and_b32_e32 v32, 0xf0f0f0f, v18
	v_dot4_i32_i8 v32, v32, v20, v19
	;; [unrolled: 7-line block ×3, first 2 shown]
	v_add_u32_e32 v13, 0x31b8, v95
	ds_read2_b32 v[13:14], v13 offset1:1
	s_waitcnt lgkmcnt(0)
	s_barrier
	v_and_b32_e32 v123, 0xf0f0f0f, v13
	v_dot4_i32_i8 v15, v123, v15, v32
	v_and_b32_e32 v32, 0xf0f0f0f, v14
	v_dot4_i32_i8 v15, v32, v16, v15
	v_lshrrev_b32_e32 v32, 4, v121
	v_and_b32_e32 v32, 0xf0f0f0f, v32
	v_dot4_i32_i8 v9, v32, v9, 0
	v_lshrrev_b32_e32 v32, 4, v122
	v_and_b32_e32 v32, 0xf0f0f0f, v32
	v_dot4_i32_i8 v9, v32, v10, v9
	v_lshrrev_b32_e32 v10, 4, v17
	v_and_b32_e32 v10, 0xf0f0f0f, v10
	v_dot4_i32_i8 v9, v10, v11, v9
	v_lshrrev_b32_e32 v10, 4, v18
	v_and_b32_e32 v10, 0xf0f0f0f, v10
	v_dot4_i32_i8 v9, v10, v12, v9
	v_lshrrev_b32_e32 v10, 4, v19
	v_and_b32_e32 v10, 0xf0f0f0f, v10
	v_dot4_i32_i8 v5, v10, v5, v9
	v_lshrrev_b32_e32 v9, 4, v20
	v_and_b32_e32 v9, 0xf0f0f0f, v9
	v_dot4_i32_i8 v5, v9, v6, v5
	v_lshrrev_b32_e32 v6, 4, v13
	v_and_b32_e32 v6, 0xf0f0f0f, v6
	v_dot4_i32_i8 v5, v6, v7, v5
	v_lshrrev_b32_e32 v6, 4, v14
	v_bfe_u32 v7, v27, 16, 8
	v_and_b32_e32 v6, 0xf0f0f0f, v6
	v_mul_lo_u32 v7, v113, v7
	v_dot4_i32_i8 v5, v6, v8, v5
	v_mul_lo_u32 v8, v115, v112
	v_fma_mix_f32 v6, v3, v114, 0 op_sel:[1,0,0] op_sel_hi:[1,0,0]
	v_cvt_f32_i32_e32 v7, v7
	v_fma_mix_f32 v6, v4, v28, v6 op_sel:[1,0,0] op_sel_hi:[1,0,0]
	v_cvt_f32_i32_e32 v8, v8
	v_mul_f32_e32 v6, v6, v101
	v_fma_mix_f32 v7, v3, v7, 0 op_sel_hi:[1,0,0]
	v_cvt_f32_ubyte2_e32 v16, v26
	v_fma_mix_f32 v7, v4, v8, v7 op_sel_hi:[1,0,0]
	v_bfe_u32 v8, v29, 16, 8
	v_mul_lo_u32 v8, v116, v8
	v_fma_mix_f32 v6, v7, v97, -v6 op_sel_hi:[0,1,0]
	v_fma_mix_f32 v7, v3, v117, 0 op_sel:[1,0,0] op_sel_hi:[1,0,0]
	v_fma_mix_f32 v1, v4, v1, v7 op_sel:[1,0,0] op_sel_hi:[1,0,0]
	v_cvt_f32_i32_e32 v8, v8
	v_mul_f32_e32 v1, v1, v102
	v_add_f32_e32 v6, v111, v6
	v_fma_mix_f32 v8, v3, v8, 0 op_sel_hi:[1,0,0]
	v_fma_mix_f32 v2, v4, v2, v8 op_sel_hi:[1,0,0]
	v_fma_mix_f32 v1, v2, v98, -v1 op_sel_hi:[0,1,0]
	v_bfe_u32 v2, v31, 16, 8
	v_mul_lo_u32 v2, v118, v2
	v_mul_lo_u32 v8, v120, v108
	v_add_f32_e32 v7, v109, v1
	v_fma_mix_f32 v1, v3, v119, 0 op_sel:[1,0,0] op_sel_hi:[1,0,0]
	v_cvt_f32_i32_e32 v2, v2
	v_cvt_f32_i32_e32 v8, v8
	v_fma_mix_f32 v1, v4, v30, v1 op_sel:[1,0,0] op_sel_hi:[1,0,0]
	v_mul_f32_e32 v1, v1, v103
	v_fma_mix_f32 v2, v3, v2, 0 op_sel_hi:[1,0,0]
	v_fma_mix_f32 v2, v4, v8, v2 op_sel_hi:[1,0,0]
	v_fma_mix_f32 v1, v2, v99, -v1 op_sel_hi:[0,1,0]
	v_add_f32_e32 v8, v107, v1
	v_bfe_u32 v1, v25, 16, 8
	v_mul_lo_u32 v1, v15, v1
	v_mul_lo_u32 v2, v5, v106
	v_cvt_f32_i32_e32 v1, v1
	v_cvt_f32_i32_e32 v2, v2
	v_fma_mix_f32 v1, v3, v1, 0 op_sel_hi:[1,0,0]
	v_fma_mix_f32 v3, v3, v16, 0 op_sel:[1,0,0] op_sel_hi:[1,0,0]
	v_fma_mix_f32 v1, v4, v2, v1 op_sel_hi:[1,0,0]
	v_cvt_f32_ubyte3_e32 v2, v26
	v_fma_mix_f32 v2, v4, v2, v3 op_sel:[1,0,0] op_sel_hi:[1,0,0]
	v_mul_f32_e32 v2, v2, v104
	v_fma_mix_f32 v1, v1, v100, -v2 op_sel_hi:[0,1,0]
	v_add_f32_e32 v5, v105, v1
	s_cbranch_scc1 .LBB231_5
; %bb.12:                               ;   in Loop: Header=BB231_6 Depth=1
	v_cmp_gt_i32_e32 vcc, s9, v44
	s_and_b64 s[20:21], s[2:3], vcc
	s_and_saveexec_b64 s[4:5], s[20:21]
	s_cbranch_execz .LBB231_14
; %bb.13:                               ;   in Loop: Header=BB231_6 Depth=1
	v_add_u32_e32 v1, v54, v44
	v_mad_i64_i32 v[1:2], s[20:21], v1, 36, v[21:22]
	global_load_dword v1, v[1:2], off offset:4
	s_waitcnt vmcnt(0)
	ds_write_b32 v52, v1
.LBB231_14:                             ;   in Loop: Header=BB231_6 Depth=1
	s_or_b64 exec, exec, s[4:5]
	s_and_saveexec_b64 s[4:5], s[0:1]
	s_cbranch_execz .LBB231_4
; %bb.15:                               ;   in Loop: Header=BB231_6 Depth=1
	v_add_u32_e32 v1, 4, v96
	v_cmp_gt_i32_e32 vcc, s9, v1
	s_and_b64 s[20:21], s[2:3], vcc
	s_and_b64 exec, exec, s[20:21]
	s_cbranch_execz .LBB231_4
; %bb.16:                               ;   in Loop: Header=BB231_6 Depth=1
	v_ashrrev_i32_e32 v1, 31, v96
	v_ashrrev_i32_e32 v2, 31, v54
	v_add_co_u32_e32 v3, vcc, v54, v96
	v_addc_co_u32_e32 v4, vcc, v2, v1, vcc
	v_mad_u64_u32 v[1:2], s[20:21], v3, 36, s[14:15]
	v_mad_i32_i24 v2, v4, 36, v2
	global_load_dword v1, v[1:2], off offset:144
	v_add_u32_e32 v2, v40, v53
	s_waitcnt vmcnt(0)
	ds_write_b32 v2, v1
	s_branch .LBB231_4
.LBB231_17:
	s_mul_i32 s0, s11, s8
	s_waitcnt vmcnt(0)
	v_cmp_gt_i32_e32 vcc, s0, v33
	s_and_saveexec_b64 s[0:1], vcc
	s_cbranch_execz .LBB231_26
; %bb.18:
	v_mul_lo_u32 v1, v33, s10
	v_add_u32_e32 v0, s22, v0
	v_cmp_gt_u32_e32 vcc, s10, v0
	s_and_saveexec_b64 s[0:1], vcc
	s_cbranch_execz .LBB231_20
; %bb.19:
	v_bfe_u32 v2, v6, 16, 1
	s_movk_i32 s2, 0x7fff
	v_add3_u32 v2, v6, v2, s2
	v_cmp_o_f32_e32 vcc, v6, v6
	v_mov_b32_e32 v3, 0x7fc0
	v_cndmask_b32_sdwa v4, v3, v2, vcc dst_sel:DWORD dst_unused:UNUSED_PAD src0_sel:DWORD src1_sel:WORD_1
	v_add_u32_e32 v2, v1, v0
	v_mov_b32_e32 v3, 0
	v_lshlrev_b64 v[2:3], 1, v[2:3]
	v_mov_b32_e32 v6, s17
	v_add_co_u32_e32 v2, vcc, s16, v2
	v_addc_co_u32_e32 v3, vcc, v6, v3, vcc
	global_store_short v[2:3], v4, off
.LBB231_20:
	s_or_b64 exec, exec, s[0:1]
	v_add_u32_e32 v2, 32, v0
	v_cmp_gt_u32_e32 vcc, s10, v2
	s_and_saveexec_b64 s[0:1], vcc
	s_cbranch_execz .LBB231_22
; %bb.21:
	v_bfe_u32 v3, v7, 16, 1
	s_movk_i32 s2, 0x7fff
	v_add3_u32 v3, v7, v3, s2
	v_cmp_o_f32_e32 vcc, v7, v7
	v_mov_b32_e32 v4, 0x7fc0
	v_cndmask_b32_sdwa v4, v4, v3, vcc dst_sel:DWORD dst_unused:UNUSED_PAD src0_sel:DWORD src1_sel:WORD_1
	v_add_u32_e32 v2, v1, v2
	v_mov_b32_e32 v3, 0
	v_lshlrev_b64 v[2:3], 1, v[2:3]
	v_mov_b32_e32 v6, s17
	v_add_co_u32_e32 v2, vcc, s16, v2
	v_addc_co_u32_e32 v3, vcc, v6, v3, vcc
	global_store_short v[2:3], v4, off
.LBB231_22:
	s_or_b64 exec, exec, s[0:1]
	;; [unrolled: 20-line block ×3, first 2 shown]
	v_add_u32_e32 v0, 0x60, v0
	v_cmp_gt_u32_e32 vcc, s10, v0
	s_and_b64 exec, exec, vcc
	s_cbranch_execz .LBB231_26
; %bb.25:
	v_add_u32_e32 v0, v1, v0
	v_mov_b32_e32 v1, 0
	v_bfe_u32 v2, v5, 16, 1
	s_movk_i32 s0, 0x7fff
	v_lshlrev_b64 v[0:1], 1, v[0:1]
	v_add3_u32 v2, v5, v2, s0
	v_cmp_o_f32_e32 vcc, v5, v5
	v_mov_b32_e32 v3, 0x7fc0
	v_cndmask_b32_sdwa v2, v3, v2, vcc dst_sel:DWORD dst_unused:UNUSED_PAD src0_sel:DWORD src1_sel:WORD_1
	v_mov_b32_e32 v3, s17
	v_add_co_u32_e32 v0, vcc, s16, v0
	v_addc_co_u32_e32 v1, vcc, v3, v1, vcc
	global_store_short v[0:1], v2, off
.LBB231_26:
	s_endpgm
	.section	.rodata,"a",@progbits
	.p2align	6, 0x0
	.amdhsa_kernel _ZL8moe_q4_KIN3c108BFloat16ELb0EEvPKvS3_PT_PKiS7_S7_iiiiiii
		.amdhsa_group_segment_fixed_size 20688
		.amdhsa_private_segment_fixed_size 0
		.amdhsa_kernarg_size 76
		.amdhsa_user_sgpr_count 6
		.amdhsa_user_sgpr_private_segment_buffer 1
		.amdhsa_user_sgpr_dispatch_ptr 0
		.amdhsa_user_sgpr_queue_ptr 0
		.amdhsa_user_sgpr_kernarg_segment_ptr 1
		.amdhsa_user_sgpr_dispatch_id 0
		.amdhsa_user_sgpr_flat_scratch_init 0
		.amdhsa_user_sgpr_private_segment_size 0
		.amdhsa_uses_dynamic_stack 0
		.amdhsa_system_sgpr_private_segment_wavefront_offset 0
		.amdhsa_system_sgpr_workgroup_id_x 1
		.amdhsa_system_sgpr_workgroup_id_y 1
		.amdhsa_system_sgpr_workgroup_id_z 0
		.amdhsa_system_sgpr_workgroup_info 0
		.amdhsa_system_vgpr_workitem_id 1
		.amdhsa_next_free_vgpr 128
		.amdhsa_next_free_sgpr 98
		.amdhsa_reserve_vcc 1
		.amdhsa_reserve_flat_scratch 0
		.amdhsa_float_round_mode_32 0
		.amdhsa_float_round_mode_16_64 0
		.amdhsa_float_denorm_mode_32 3
		.amdhsa_float_denorm_mode_16_64 3
		.amdhsa_dx10_clamp 1
		.amdhsa_ieee_mode 1
		.amdhsa_fp16_overflow 0
		.amdhsa_exception_fp_ieee_invalid_op 0
		.amdhsa_exception_fp_denorm_src 0
		.amdhsa_exception_fp_ieee_div_zero 0
		.amdhsa_exception_fp_ieee_overflow 0
		.amdhsa_exception_fp_ieee_underflow 0
		.amdhsa_exception_fp_ieee_inexact 0
		.amdhsa_exception_int_div_zero 0
	.end_amdhsa_kernel
	.section	.text._ZL8moe_q4_KIN3c108BFloat16ELb0EEvPKvS3_PT_PKiS7_S7_iiiiiii,"axG",@progbits,_ZL8moe_q4_KIN3c108BFloat16ELb0EEvPKvS3_PT_PKiS7_S7_iiiiiii,comdat
.Lfunc_end231:
	.size	_ZL8moe_q4_KIN3c108BFloat16ELb0EEvPKvS3_PT_PKiS7_S7_iiiiiii, .Lfunc_end231-_ZL8moe_q4_KIN3c108BFloat16ELb0EEvPKvS3_PT_PKiS7_S7_iiiiiii
                                        ; -- End function
	.set _ZL8moe_q4_KIN3c108BFloat16ELb0EEvPKvS3_PT_PKiS7_S7_iiiiiii.num_vgpr, 128
	.set _ZL8moe_q4_KIN3c108BFloat16ELb0EEvPKvS3_PT_PKiS7_S7_iiiiiii.num_agpr, 0
	.set _ZL8moe_q4_KIN3c108BFloat16ELb0EEvPKvS3_PT_PKiS7_S7_iiiiiii.numbered_sgpr, 26
	.set _ZL8moe_q4_KIN3c108BFloat16ELb0EEvPKvS3_PT_PKiS7_S7_iiiiiii.num_named_barrier, 0
	.set _ZL8moe_q4_KIN3c108BFloat16ELb0EEvPKvS3_PT_PKiS7_S7_iiiiiii.private_seg_size, 0
	.set _ZL8moe_q4_KIN3c108BFloat16ELb0EEvPKvS3_PT_PKiS7_S7_iiiiiii.uses_vcc, 1
	.set _ZL8moe_q4_KIN3c108BFloat16ELb0EEvPKvS3_PT_PKiS7_S7_iiiiiii.uses_flat_scratch, 0
	.set _ZL8moe_q4_KIN3c108BFloat16ELb0EEvPKvS3_PT_PKiS7_S7_iiiiiii.has_dyn_sized_stack, 0
	.set _ZL8moe_q4_KIN3c108BFloat16ELb0EEvPKvS3_PT_PKiS7_S7_iiiiiii.has_recursion, 0
	.set _ZL8moe_q4_KIN3c108BFloat16ELb0EEvPKvS3_PT_PKiS7_S7_iiiiiii.has_indirect_call, 0
	.section	.AMDGPU.csdata,"",@progbits
; Kernel info:
; codeLenInByte = 11364
; TotalNumSgprs: 30
; NumVgprs: 128
; ScratchSize: 0
; MemoryBound: 0
; FloatMode: 240
; IeeeMode: 1
; LDSByteSize: 20688 bytes/workgroup (compile time only)
; SGPRBlocks: 12
; VGPRBlocks: 31
; NumSGPRsForWavesPerEU: 102
; NumVGPRsForWavesPerEU: 128
; Occupancy: 2
; WaveLimiterHint : 1
; COMPUTE_PGM_RSRC2:SCRATCH_EN: 0
; COMPUTE_PGM_RSRC2:USER_SGPR: 6
; COMPUTE_PGM_RSRC2:TRAP_HANDLER: 0
; COMPUTE_PGM_RSRC2:TGID_X_EN: 1
; COMPUTE_PGM_RSRC2:TGID_Y_EN: 1
; COMPUTE_PGM_RSRC2:TGID_Z_EN: 0
; COMPUTE_PGM_RSRC2:TIDIG_COMP_CNT: 1
	.section	.text._ZL8moe_q4_KIN3c108BFloat16ELb1EEvPKvS3_PT_PKiS7_S7_iiiiiii,"axG",@progbits,_ZL8moe_q4_KIN3c108BFloat16ELb1EEvPKvS3_PT_PKiS7_S7_iiiiiii,comdat
	.globl	_ZL8moe_q4_KIN3c108BFloat16ELb1EEvPKvS3_PT_PKiS7_S7_iiiiiii ; -- Begin function _ZL8moe_q4_KIN3c108BFloat16ELb1EEvPKvS3_PT_PKiS7_S7_iiiiiii
	.p2align	8
	.type	_ZL8moe_q4_KIN3c108BFloat16ELb1EEvPKvS3_PT_PKiS7_S7_iiiiiii,@function
_ZL8moe_q4_KIN3c108BFloat16ELb1EEvPKvS3_PT_PKiS7_S7_iiiiiii: ; @_ZL8moe_q4_KIN3c108BFloat16ELb1EEvPKvS3_PT_PKiS7_S7_iiiiiii
; %bb.0:
	s_mov_b64 s[30:31], s[2:3]
	s_mov_b64 s[28:29], s[0:1]
	s_load_dwordx4 s[0:3], s[4:5], 0x18
	s_add_u32 s28, s28, s8
	s_mov_b32 s8, s7
	s_mov_b32 s9, 0
	s_addc_u32 s29, s29, 0
	s_lshl_b64 s[10:11], s[8:9], 2
	s_waitcnt lgkmcnt(0)
	s_add_u32 s2, s2, s10
	s_addc_u32 s3, s3, s11
	s_load_dword s2, s[2:3], 0x0
	s_waitcnt lgkmcnt(0)
	s_cmpk_gt_u32 s2, 0xff
	s_cbranch_scc1 .LBB232_27
; %bb.1:
	s_load_dwordx2 s[10:11], s[4:5], 0x28
	s_lshl_b32 s3, s8, 3
	s_waitcnt lgkmcnt(0)
	s_load_dword s7, s[10:11], 0x0
	s_waitcnt lgkmcnt(0)
	s_cmp_gt_u32 s3, s7
	s_cbranch_scc1 .LBB232_27
; %bb.2:
	v_add_u32_e32 v4, s3, v1
	v_mov_b32_e32 v5, 0
	v_lshlrev_b64 v[2:3], 2, v[4:5]
	v_mov_b32_e32 v111, v0
	v_mov_b32_e32 v0, s1
	v_add_co_u32_e32 v2, vcc, s0, v2
	v_addc_co_u32_e32 v3, vcc, v0, v3, vcc
	global_load_dword v45, v[2:3], off
	s_load_dwordx8 s[8:15], s[4:5], 0x30
	s_load_dwordx2 s[16:17], s[4:5], 0x10
	s_waitcnt lgkmcnt(0)
	s_lshl_b32 s15, s6, 7
	v_mov_b32_e32 v8, v5
	v_mov_b32_e32 v7, v5
	s_cmpk_lt_i32 s9, 0x100
	v_mov_b32_e32 v6, v5
	s_cbranch_scc1 .LBB232_18
; %bb.3:
	s_ashr_i32 s0, s9, 31
	s_lshr_b32 s0, s0, 24
	s_add_i32 s0, s9, s0
	s_ashr_i32 s22, s0, 8
	s_not_b32 s0, s15
	s_add_i32 s10, s10, s0
	v_lshlrev_b32_e32 v2, 2, v111
	v_min_i32_e32 v0, s10, v1
	s_movk_i32 s0, 0x84
	v_mad_u64_u32 v[3:4], s[18:19], v0, s0, v[2:3]
	buffer_store_dword v3, off, s[28:31], 0 ; 4-byte Folded Spill
	s_nop 0
	buffer_store_dword v4, off, s[28:31], 0 offset:4 ; 4-byte Folded Spill
	v_mul_lo_u32 v22, v0, s22
	v_add_u32_e32 v0, 8, v1
	v_min_i32_e32 v0, s10, v0
	s_movk_i32 s1, 0x4e40
	v_mul_lo_u32 v40, v0, s22
	v_and_b32_e32 v15, 3, v111
	v_lshlrev_b32_e32 v12, 2, v15
	v_lshrrev_b32_e32 v51, 3, v111
	v_mov_b32_e32 v41, 0x4200
	v_lshrrev_b32_e32 v21, 5, v111
	v_add_u32_e32 v35, 64, v111
	v_lshrrev_b32_e32 v33, 3, v35
	v_lshl_add_u32 v35, v35, 2, v33
	v_lshl_add_u32 v35, v35, 2, v41
	s_mul_i32 s3, s22, s15
	s_mul_i32 s20, s3, 0x90
	s_mul_hi_i32 s21, s3, 0x90
	s_movk_i32 s23, 0x90
	s_load_dwordx4 s[4:7], s[4:5], 0x0
	v_and_b32_e32 v44, 28, v2
	v_and_b32_e32 v5, 0x7c, v2
	s_mul_i32 s8, s2, s8
	v_lshlrev_b32_e32 v68, 4, v1
	v_mul_u32_u24_e32 v110, 0x84, v111
	v_mad_u64_u32 v[3:4], s[18:19], v0, s0, v[2:3]
	buffer_store_dword v3, off, s[28:31], 0 offset:8 ; 4-byte Folded Spill
	s_nop 0
	buffer_store_dword v4, off, s[28:31], 0 offset:12 ; 4-byte Folded Spill
	v_add_u32_e32 v3, 24, v1
	v_min_i32_e32 v8, s10, v3
	v_add_u32_e32 v3, 32, v1
	v_min_i32_e32 v10, s10, v3
	;; [unrolled: 2-line block ×13, first 2 shown]
	v_lshl_add_u32 v3, v1, 5, v111
	v_and_b32_e32 v3, 0x7f, v3
	v_min_i32_e32 v19, s10, v3
	v_ashrrev_i32_e32 v3, 31, v19
	v_lshrrev_b32_e32 v3, 27, v3
	v_add_u32_e32 v3, v19, v3
	v_ashrrev_i32_e32 v3, 5, v3
	v_lshlrev_b32_e32 v3, 2, v3
	v_lshlrev_b32_e32 v4, 2, v19
	v_add3_u32 v50, v3, v4, s1
	v_lshrrev_b32_e32 v3, 2, v111
	v_lshl_add_u32 v3, v1, 3, v3
	v_and_b32_e32 v3, 0x7f, v3
	v_min_i32_e32 v6, s10, v3
	v_ashrrev_i32_e32 v4, 31, v6
	v_lshrrev_b32_e32 v4, 29, v4
	v_add_u32_e32 v4, v6, v4
	v_add_u32_e32 v0, 16, v1
	v_ashrrev_i32_e32 v4, 3, v4
	v_xor_b32_e32 v3, 64, v3
	v_min_i32_e32 v0, s10, v0
	v_lshlrev_b32_e32 v4, 2, v4
	s_movk_i32 s18, 0x4200
	v_min_i32_e32 v9, s10, v3
	s_abs_i32 s10, s14
	v_add3_u32 v7, v4, v12, s18
	v_ashrrev_i32_e32 v3, 31, v9
	v_cvt_f32_u32_e32 v4, s10
	v_lshrrev_b32_e32 v3, 29, v3
	v_add_u32_e32 v3, v9, v3
	v_ashrrev_i32_e32 v3, 3, v3
	v_lshlrev_b32_e32 v3, 2, v3
	v_rcp_iflag_f32_e32 v4, v4
	v_add3_u32 v12, v3, v12, s18
	v_add_u32_e32 v3, v51, v2
	v_lshl_add_u32 v3, v3, 2, v41
	buffer_store_dword v3, off, s[28:31], 0 offset:16 ; 4-byte Folded Spill
	v_lshlrev_b32_e32 v3, 2, v21
	v_add3_u32 v3, v2, v3, s1
	v_mul_f32_e32 v4, 0x4f7ffffe, v4
	buffer_store_dword v3, off, s[28:31], 0 offset:20 ; 4-byte Folded Spill
	v_add_u32_e32 v3, 32, v111
	v_cvt_u32_f32_e32 v4, v4
	v_lshrrev_b32_e32 v54, 3, v3
	v_lshl_add_u32 v3, v3, 2, v54
	v_lshl_add_u32 v3, v3, 2, v41
	s_sub_i32 s18, 0, s10
	buffer_store_dword v3, off, s[28:31], 0 offset:24 ; 4-byte Folded Spill
	v_mul_lo_u32 v3, s18, v4
	buffer_store_dword v35, off, s[28:31], 0 offset:28 ; 4-byte Folded Spill
	s_waitcnt vmcnt(8)
	v_sub_u32_e32 v35, 0, v45
	v_max_i32_e32 v42, v45, v35
	v_mul_hi_u32 v3, v4, v3
	v_mul_lo_u32 v46, v0, s22
	v_mul_lo_u32 v48, v8, s22
	;; [unrolled: 1-line block ×3, first 2 shown]
	v_add_u32_e32 v3, v4, v3
	v_mul_hi_u32 v3, v42, v3
	v_add_u32_e32 v4, 0x60, v111
	v_lshrrev_b32_e32 v35, 3, v4
	v_lshl_add_u32 v4, v4, 2, v35
	v_mul_lo_u32 v43, v3, s10
	v_lshl_add_u32 v4, v4, 2, v41
	buffer_store_dword v4, off, s[28:31], 0 offset:32 ; 4-byte Folded Spill
	buffer_store_dword v45, off, s[28:31], 0 offset:68 ; 4-byte Folded Spill
	v_xor_b32_e32 v4, s14, v45
	v_ashrrev_i32_e32 v41, 31, v4
	v_sub_u32_e32 v4, v42, v43
	v_add_u32_e32 v42, 1, v3
	v_cmp_le_u32_e32 vcc, s10, v4
	v_cndmask_b32_e32 v3, v3, v42, vcc
	v_subrev_u32_e32 v42, s10, v4
	v_cndmask_b32_e32 v4, v4, v42, vcc
	v_add_u32_e32 v42, 1, v3
	v_cmp_le_u32_e32 vcc, s10, v4
	v_cndmask_b32_e32 v3, v3, v42, vcc
	v_xor_b32_e32 v42, v3, v41
	v_mov_b32_e32 v3, s20
	v_mov_b32_e32 v4, s21
	v_mad_u64_u32 v[3:4], s[18:19], v21, s23, v[3:4]
	v_sub_u32_e32 v41, v42, v41
	s_waitcnt lgkmcnt(0)
	v_mov_b32_e32 v21, s7
	v_mad_i64_i32 v[42:43], s[18:19], v22, s23, v[3:4]
	v_add_co_u32_e32 v44, vcc, s6, v44
	v_addc_co_u32_e32 v45, vcc, 0, v21, vcc
	buffer_store_dword v44, off, s[28:31], 0 offset:48 ; 4-byte Folded Spill
	s_nop 0
	buffer_store_dword v45, off, s[28:31], 0 offset:52 ; 4-byte Folded Spill
	v_add_co_u32_e32 v21, vcc, v42, v5
	v_mad_i64_i32 v[44:45], s[18:19], v40, s23, v[3:4]
	v_addc_co_u32_e32 v22, vcc, 0, v43, vcc
	v_mov_b32_e32 v43, s5
	v_add_co_u32_e32 v42, vcc, s4, v21
	v_addc_co_u32_e32 v43, vcc, v43, v22, vcc
	v_add_co_u32_e32 v21, vcc, v44, v5
	v_mad_i64_i32 v[46:47], s[18:19], v46, s23, v[3:4]
	v_addc_co_u32_e32 v22, vcc, 0, v45, vcc
	v_mov_b32_e32 v40, s5
	v_add_co_u32_e32 v44, vcc, s4, v21
	v_addc_co_u32_e32 v45, vcc, v40, v22, vcc
	v_add_co_u32_e32 v21, vcc, v46, v5
	v_mad_i64_i32 v[48:49], s[18:19], v48, s23, v[3:4]
	v_addc_co_u32_e32 v22, vcc, 0, v47, vcc
	v_add_co_u32_e32 v46, vcc, s4, v21
	v_addc_co_u32_e32 v47, vcc, v40, v22, vcc
	v_mul_lo_u32 v55, v11, s22
	v_add_co_u32_e32 v21, vcc, v48, v5
	v_mad_i64_i32 v[52:53], s[18:19], v52, s23, v[3:4]
	v_addc_co_u32_e32 v22, vcc, 0, v49, vcc
	v_add_co_u32_e32 v48, vcc, s4, v21
	v_addc_co_u32_e32 v49, vcc, v40, v22, vcc
	v_add_co_u32_e32 v21, vcc, v52, v5
	v_mad_i64_i32 v[55:56], s[18:19], v55, s23, v[3:4]
	v_mul_lo_u32 v37, v13, s22
	v_addc_co_u32_e32 v22, vcc, 0, v53, vcc
	v_add_co_u32_e32 v52, vcc, s4, v21
	v_addc_co_u32_e32 v53, vcc, v40, v22, vcc
	v_add_co_u32_e32 v21, vcc, v55, v5
	v_mul_lo_u32 v36, v14, s22
	v_addc_co_u32_e32 v22, vcc, 0, v56, vcc
	v_mad_i64_i32 v[55:56], s[18:19], v37, s23, v[3:4]
	v_add_co_u32_e32 v61, vcc, s4, v21
	v_addc_co_u32_e32 v67, vcc, v40, v22, vcc
	v_add_co_u32_e32 v21, vcc, v55, v5
	v_mad_i64_i32 v[36:37], s[18:19], v36, s23, v[3:4]
	v_mul_lo_u32 v34, v16, s22
	v_addc_co_u32_e32 v22, vcc, 0, v56, vcc
	v_add_co_u32_e32 v82, vcc, s4, v21
	v_addc_co_u32_e32 v83, vcc, v40, v22, vcc
	v_add_co_u32_e32 v21, vcc, v36, v5
	v_addc_co_u32_e32 v22, vcc, 0, v37, vcc
	v_mad_i64_i32 v[36:37], s[18:19], v34, s23, v[3:4]
	v_mul_lo_u32 v32, v17, s22
	v_add_co_u32_e32 v21, vcc, s4, v21
	v_addc_co_u32_e32 v22, vcc, v40, v22, vcc
	v_add_co_u32_e32 v34, vcc, v36, v5
	v_mul_lo_u32 v31, v18, s22
	v_addc_co_u32_e32 v40, vcc, 0, v37, vcc
	v_mad_i64_i32 v[36:37], s[18:19], v32, s23, v[3:4]
	v_mov_b32_e32 v55, s5
	v_add_co_u32_e32 v56, vcc, s4, v34
	v_addc_co_u32_e32 v55, vcc, v55, v40, vcc
	v_mul_lo_u32 v30, v20, s22
	v_add_co_u32_e32 v34, vcc, v36, v5
	v_mad_i64_i32 v[31:32], s[18:19], v31, s23, v[3:4]
	v_addc_co_u32_e32 v36, vcc, 0, v37, vcc
	v_mov_b32_e32 v37, s5
	v_add_co_u32_e32 v57, vcc, s4, v34
	v_addc_co_u32_e32 v58, vcc, v37, v36, vcc
	v_mul_lo_u32 v29, v23, s22
	v_add_co_u32_e32 v34, vcc, v31, v5
	v_mad_i64_i32 v[30:31], s[18:19], v30, s23, v[3:4]
	v_addc_co_u32_e32 v32, vcc, 0, v32, vcc
	;; [unrolled: 7-line block ×4, first 2 shown]
	v_mul_lo_u32 v26, v9, s22
	v_mov_b32_e32 v32, s5
	v_add_co_u32_e32 v94, vcc, s4, v31
	v_addc_co_u32_e32 v95, vcc, v32, v30, vcc
	v_add_co_u32_e32 v31, vcc, v28, v5
	v_mad_i64_i32 v[27:28], s[18:19], v27, s23, 0
	v_addc_co_u32_e32 v32, vcc, 0, v29, vcc
	v_mad_i64_i32 v[29:30], s[18:19], v26, s23, 0
	v_mul_lo_u32 v25, v38, s22
	v_mov_b32_e32 v34, s21
	v_add_co_u32_e32 v63, vcc, s20, v27
	v_addc_co_u32_e32 v64, vcc, v34, v28, vcc
	v_mov_b32_e32 v26, s21
	v_add_co_u32_e32 v65, vcc, s20, v29
	v_addc_co_u32_e32 v66, vcc, v26, v30, vcc
	v_mad_i64_i32 v[25:26], s[18:19], v25, s23, v[3:4]
	v_mov_b32_e32 v27, s5
	v_add_co_u32_e32 v96, vcc, s4, v31
	v_addc_co_u32_e32 v97, vcc, v27, v32, vcc
	v_add_co_u32_e32 v40, vcc, v25, v5
	v_and_b32_e32 v25, 60, v54
	v_add3_u32 v25, v2, v25, s1
	buffer_store_dword v25, off, s[28:31], 0 offset:36 ; 4-byte Folded Spill
	v_and_b32_e32 v25, 60, v33
	v_add3_u32 v25, v2, v25, s1
	buffer_store_dword v25, off, s[28:31], 0 offset:40 ; 4-byte Folded Spill
	v_and_b32_e32 v25, 60, v35
	v_add3_u32 v25, v2, v25, s1
	v_addc_co_u32_e32 v62, vcc, 0, v26, vcc
	buffer_store_dword v25, off, s[28:31], 0 offset:44 ; 4-byte Folded Spill
	v_mad_u64_u32 v[25:26], s[18:19], v0, s0, v[2:3]
	v_mad_u64_u32 v[26:27], s[18:19], v8, s0, v[2:3]
	;; [unrolled: 1-line block ×9, first 2 shown]
	v_add_u32_e32 v8, 0x5050, v2
	v_mad_u64_u32 v[34:35], s[18:19], v20, s0, v[2:3]
	buffer_store_dword v8, off, s[28:31], 0 offset:60 ; 4-byte Folded Spill
	v_mul_lo_u32 v8, v39, s22
	v_mad_u64_u32 v[35:36], s[18:19], v23, s0, v[2:3]
	v_mad_u64_u32 v[36:37], s[18:19], v24, s0, v[2:3]
	;; [unrolled: 1-line block ×3, first 2 shown]
	v_and_b32_e32 v0, 4, v2
	v_mad_u64_u32 v[38:39], s[0:1], v39, s0, v[2:3]
	v_mad_i64_i32 v[2:3], s[0:1], v8, s23, v[3:4]
	s_ashr_i32 s0, s12, 31
	v_mov_b32_e32 v4, s5
	v_add_co_u32_e32 v8, vcc, s4, v40
	s_lshr_b32 s0, s0, 27
	v_addc_co_u32_e32 v4, vcc, v4, v62, vcc
	s_add_i32 s0, s12, s0
	v_add_co_u32_e32 v2, vcc, v2, v5
	s_ashr_i32 s10, s0, 5
	v_cmp_gt_u32_e64 s[0:1], 4, v111
	v_cmp_gt_i32_e64 s[2:3], s11, v41
	v_addc_co_u32_e32 v3, vcc, 0, v3, vcc
	s_ashr_i32 s12, s8, 31
	v_mul_lo_u32 v11, v19, s22
	s_and_b64 s[18:19], s[0:1], s[2:3]
	v_mov_b32_e32 v5, s5
	v_add_co_u32_e32 v10, vcc, s4, v2
	s_add_u32 s20, s4, s20
	v_addc_co_u32_e32 v5, vcc, v5, v3, vcc
	s_addc_u32 s21, s5, s21
	v_mov_b32_e32 v2, s20
	v_mov_b32_e32 v3, s21
	v_mad_i64_i32 v[39:40], s[20:21], v11, s23, v[2:3]
	v_add_u32_e32 v2, 0xfe, v15
	v_and_b32_e32 v2, 0xff, v2
	v_cmp_gt_u32_e32 vcc, 2, v15
	v_cndmask_b32_e32 v2, v2, v15, vcc
	v_cmp_lt_u32_e32 vcc, 1, v15
	v_cndmask_b32_e32 v62, 0, v0, vcc
	v_cndmask_b32_e64 v0, 0, 1, vcc
	v_lshlrev_b32_e32 v0, 2, v0
	v_or_b32_e32 v3, v63, v0
	v_mov_b32_e32 v11, s5
	v_add_co_u32_e32 v3, vcc, s4, v3
	v_addc_co_u32_e32 v11, vcc, v11, v64, vcc
	v_cmp_ne_u32_e32 vcc, 0, v15
	v_addc_co_u32_e32 v13, vcc, 0, v2, vcc
	v_lshlrev_b32_e32 v13, 2, v13
	v_add_co_u32_e32 v14, vcc, v63, v13
	v_addc_co_u32_e32 v15, vcc, 0, v64, vcc
	v_mov_b32_e32 v16, s5
	v_add_co_u32_e32 v14, vcc, s4, v14
	v_addc_co_u32_e32 v15, vcc, v16, v15, vcc
	v_or_b32_e32 v0, v65, v0
	v_add_co_u32_e32 v0, vcc, s4, v0
	v_addc_co_u32_e32 v16, vcc, v16, v66, vcc
	v_add_co_u32_e32 v13, vcc, v65, v13
	v_addc_co_u32_e32 v17, vcc, 0, v66, vcc
	v_mov_b32_e32 v18, s5
	v_add_co_u32_e32 v13, vcc, s4, v13
	v_addc_co_u32_e32 v17, vcc, v18, v17, vcc
	v_add_co_u32_e32 v70, vcc, 16, v42
	v_addc_co_u32_e32 v71, vcc, 0, v43, vcc
	v_add_co_u32_e32 v72, vcc, 16, v44
	v_addc_co_u32_e32 v73, vcc, 0, v45, vcc
	v_add_co_u32_e32 v74, vcc, 16, v46
	v_addc_co_u32_e32 v75, vcc, 0, v47, vcc
	v_add_co_u32_e32 v76, vcc, 16, v48
	v_addc_co_u32_e32 v77, vcc, 0, v49, vcc
	v_add_co_u32_e32 v78, vcc, 16, v52
	v_addc_co_u32_e32 v79, vcc, 0, v53, vcc
	v_add_co_u32_e32 v80, vcc, 16, v61
	v_addc_co_u32_e32 v81, vcc, 0, v67, vcc
	v_add_co_u32_e32 v82, vcc, 16, v82
	v_addc_co_u32_e32 v83, vcc, 0, v83, vcc
	v_add_co_u32_e32 v84, vcc, 16, v21
	v_addc_co_u32_e32 v85, vcc, 0, v22, vcc
	v_add_co_u32_e32 v86, vcc, 16, v56
	v_addc_co_u32_e32 v87, vcc, 0, v55, vcc
	v_add_co_u32_e32 v88, vcc, 16, v57
	v_addc_co_u32_e32 v89, vcc, 0, v58, vcc
	v_add_co_u32_e32 v90, vcc, 16, v59
	v_addc_co_u32_e32 v91, vcc, 0, v60, vcc
	v_add_co_u32_e32 v92, vcc, 16, v92
	v_addc_co_u32_e32 v93, vcc, 0, v93, vcc
	v_add_co_u32_e32 v94, vcc, 16, v94
	v_addc_co_u32_e32 v95, vcc, 0, v95, vcc
	v_add_co_u32_e32 v96, vcc, 16, v96
	v_addc_co_u32_e32 v97, vcc, 0, v97, vcc
	v_add_co_u32_e32 v98, vcc, 16, v8
	v_addc_co_u32_e32 v99, vcc, 0, v4, vcc
	v_add_co_u32_e32 v100, vcc, 16, v10
	v_addc_co_u32_e32 v101, vcc, 0, v5, vcc
	v_add_co_u32_e32 v102, vcc, 4, v3
	v_addc_co_u32_e32 v103, vcc, 0, v11, vcc
	v_add_co_u32_e32 v104, vcc, 4, v14
	v_addc_co_u32_e32 v105, vcc, 0, v15, vcc
	v_mul_lo_u32 v69, v41, s10
	v_add_co_u32_e32 v106, vcc, 4, v0
	v_lshlrev_b32_e32 v6, 4, v6
	v_lshlrev_b32_e32 v65, 1, v2
	v_mov_b32_e32 v2, 0x4a40
	v_addc_co_u32_e32 v107, vcc, 0, v16, vcc
	v_add_u32_e32 v63, v7, v6
	v_lshlrev_b32_e32 v6, 4, v9
	v_lshl_add_u32 v66, v1, 7, v2
	v_and_b32_e32 v2, 31, v111
	v_add_co_u32_e32 v108, vcc, 4, v13
	v_add_u32_e32 v64, v12, v6
	v_lshl_add_u32 v2, v2, 2, v66
	v_addc_co_u32_e32 v109, vcc, 0, v17, vcc
	s_movk_i32 s20, 0x80
	s_mov_b32 s21, 0x30303030
	v_mov_b32_e32 v6, 0
	v_mov_b32_e32 v7, 0
	;; [unrolled: 1-line block ×4, first 2 shown]
	buffer_store_dword v2, off, s[28:31], 0 offset:56 ; 4-byte Folded Spill
	buffer_store_dword v111, off, s[28:31], 0 offset:64 ; 4-byte Folded Spill
	s_branch .LBB232_6
.LBB232_4:                              ;   in Loop: Header=BB232_6 Depth=1
	s_or_b64 exec, exec, s[4:5]
	s_waitcnt lgkmcnt(0)
	s_barrier
	ds_read_b128 v[0:3], v66
	ds_read_b128 v[55:58], v66 offset:16
	ds_read_b128 v[119:122], v66 offset:32
	;; [unrolled: 1-line block ×3, first 2 shown]
	buffer_load_dword v4, off, s[28:31], 0 offset:20 ; 4-byte Folded Reload
	s_waitcnt vmcnt(0)
	ds_read_b32 v112, v4
	ds_read2_b32 v[11:12], v110 offset0:16 offset1:17
	ds_read2_b32 v[13:14], v110 offset0:18 offset1:19
	;; [unrolled: 1-line block ×4, first 2 shown]
	s_waitcnt lgkmcnt(4)
	v_cvt_f32_f16_sdwa v116, v112 dst_sel:DWORD dst_unused:UNUSED_PAD src0_sel:WORD_1
	s_waitcnt lgkmcnt(3)
	v_and_b32_e32 v4, 0xf0f0f0f, v11
	v_dot4_i32_i8 v4, v4, v0, 0
	v_and_b32_e32 v9, 0xf0f0f0f, v12
	v_dot4_i32_i8 v4, v9, v1, v4
	s_waitcnt lgkmcnt(2)
	v_and_b32_e32 v9, 0xf0f0f0f, v13
	v_dot4_i32_i8 v4, v9, v2, v4
	v_and_b32_e32 v9, 0xf0f0f0f, v14
	v_dot4_i32_i8 v4, v9, v3, v4
	;; [unrolled: 5-line block ×4, first 2 shown]
	buffer_load_dword v4, off, s[28:31], 0 offset:16 ; 4-byte Folded Reload
	s_waitcnt vmcnt(0)
	ds_read2_b32 v[43:44], v4 offset0:1 offset1:3
	v_lshrrev_b32_e32 v4, 4, v11
	v_and_b32_e32 v4, 0xf0f0f0f, v4
	v_lshrrev_b32_e32 v11, 4, v12
	v_dot4_i32_i8 v4, v4, v119, 0
	v_and_b32_e32 v11, 0xf0f0f0f, v11
	v_dot4_i32_i8 v4, v11, v120, v4
	v_lshrrev_b32_e32 v11, 4, v13
	v_and_b32_e32 v11, 0xf0f0f0f, v11
	v_dot4_i32_i8 v4, v11, v121, v4
	v_lshrrev_b32_e32 v11, 4, v14
	;; [unrolled: 3-line block ×6, first 2 shown]
	v_and_b32_e32 v11, 0xf0f0f0f, v11
	v_dot4_i32_i8 v12, v11, v126, v4
	buffer_load_dword v4, off, s[28:31], 0 offset:36 ; 4-byte Folded Reload
	s_waitcnt lgkmcnt(0)
	v_cvt_f32_ubyte0_e32 v10, v44
	v_cvt_f32_ubyte1_e32 v11, v44
	v_lshrrev_b32_e32 v127, 24, v43
	s_waitcnt vmcnt(0)
	ds_read_b32 v113, v4 offset:128
	v_add_u32_e32 v4, 0x10c0, v110
	ds_read2_b32 v[15:16], v4 offset1:1
	s_waitcnt lgkmcnt(1)
	v_cvt_f32_f16_sdwa v117, v113 dst_sel:DWORD dst_unused:UNUSED_PAD src0_sel:WORD_1
	s_waitcnt lgkmcnt(0)
	v_and_b32_e32 v4, 0xf0f0f0f, v15
	v_dot4_i32_i8 v4, v4, v0, 0
	v_and_b32_e32 v13, 0xf0f0f0f, v16
	v_dot4_i32_i8 v4, v13, v1, v4
	v_add_u32_e32 v13, 0x10c8, v110
	ds_read2_b32 v[17:18], v13 offset1:1
	s_waitcnt lgkmcnt(0)
	v_and_b32_e32 v13, 0xf0f0f0f, v17
	v_dot4_i32_i8 v4, v13, v2, v4
	v_and_b32_e32 v13, 0xf0f0f0f, v18
	v_dot4_i32_i8 v4, v13, v3, v4
	v_add_u32_e32 v13, 0x10d0, v110
	ds_read2_b32 v[19:20], v13 offset1:1
	;; [unrolled: 7-line block ×3, first 2 shown]
	s_waitcnt lgkmcnt(0)
	v_and_b32_e32 v13, 0xf0f0f0f, v21
	v_dot4_i32_i8 v4, v13, v57, v4
	v_and_b32_e32 v13, 0xf0f0f0f, v22
	v_dot4_i32_i8 v13, v13, v58, v4
	buffer_load_dword v4, off, s[28:31], 0 offset:24 ; 4-byte Folded Reload
	s_waitcnt vmcnt(0)
	ds_read2_b32 v[45:46], v4 offset0:1 offset1:3
	v_lshrrev_b32_e32 v4, 4, v15
	v_and_b32_e32 v4, 0xf0f0f0f, v4
	v_lshrrev_b32_e32 v15, 4, v16
	v_dot4_i32_i8 v4, v4, v119, 0
	v_and_b32_e32 v15, 0xf0f0f0f, v15
	v_dot4_i32_i8 v4, v15, v120, v4
	v_lshrrev_b32_e32 v15, 4, v17
	v_and_b32_e32 v15, 0xf0f0f0f, v15
	v_dot4_i32_i8 v4, v15, v121, v4
	v_lshrrev_b32_e32 v15, 4, v18
	;; [unrolled: 3-line block ×6, first 2 shown]
	v_and_b32_e32 v15, 0xf0f0f0f, v15
	v_dot4_i32_i8 v16, v15, v126, v4
	buffer_load_dword v4, off, s[28:31], 0 offset:40 ; 4-byte Folded Reload
	s_waitcnt lgkmcnt(0)
	v_cvt_f32_ubyte0_e32 v14, v46
	v_cvt_f32_ubyte1_e32 v15, v46
	s_waitcnt vmcnt(0)
	ds_read_b32 v114, v4 offset:256
	v_add_u32_e32 v4, 0x2140, v110
	ds_read2_b32 v[19:20], v4 offset1:1
	s_waitcnt lgkmcnt(1)
	v_cvt_f32_f16_sdwa v118, v114 dst_sel:DWORD dst_unused:UNUSED_PAD src0_sel:WORD_1
	s_waitcnt lgkmcnt(0)
	v_and_b32_e32 v4, 0xf0f0f0f, v19
	v_dot4_i32_i8 v4, v4, v0, 0
	v_and_b32_e32 v17, 0xf0f0f0f, v20
	v_dot4_i32_i8 v4, v17, v1, v4
	v_add_u32_e32 v17, 0x2148, v110
	ds_read2_b32 v[21:22], v17 offset1:1
	s_waitcnt lgkmcnt(0)
	v_and_b32_e32 v17, 0xf0f0f0f, v21
	v_dot4_i32_i8 v4, v17, v2, v4
	v_and_b32_e32 v17, 0xf0f0f0f, v22
	v_dot4_i32_i8 v4, v17, v3, v4
	v_add_u32_e32 v17, 0x2150, v110
	ds_read2_b32 v[23:24], v17 offset1:1
	;; [unrolled: 7-line block ×3, first 2 shown]
	s_waitcnt lgkmcnt(0)
	v_and_b32_e32 v17, 0xf0f0f0f, v41
	v_dot4_i32_i8 v4, v17, v57, v4
	v_and_b32_e32 v17, 0xf0f0f0f, v42
	v_dot4_i32_i8 v17, v17, v58, v4
	buffer_load_dword v4, off, s[28:31], 0 offset:28 ; 4-byte Folded Reload
	s_waitcnt vmcnt(0)
	ds_read2_b32 v[47:48], v4 offset0:1 offset1:3
	v_lshrrev_b32_e32 v4, 4, v19
	v_and_b32_e32 v4, 0xf0f0f0f, v4
	v_lshrrev_b32_e32 v19, 4, v20
	v_dot4_i32_i8 v4, v4, v119, 0
	v_and_b32_e32 v19, 0xf0f0f0f, v19
	v_dot4_i32_i8 v4, v19, v120, v4
	v_lshrrev_b32_e32 v19, 4, v21
	v_and_b32_e32 v19, 0xf0f0f0f, v19
	v_dot4_i32_i8 v4, v19, v121, v4
	v_lshrrev_b32_e32 v19, 4, v22
	;; [unrolled: 3-line block ×6, first 2 shown]
	v_and_b32_e32 v19, 0xf0f0f0f, v19
	v_dot4_i32_i8 v20, v19, v126, v4
	buffer_load_dword v4, off, s[28:31], 0 offset:44 ; 4-byte Folded Reload
	s_waitcnt lgkmcnt(0)
	v_cvt_f32_ubyte0_e32 v18, v48
	v_cvt_f32_ubyte1_e32 v19, v48
	s_waitcnt vmcnt(0)
	ds_read_b32 v115, v4 offset:384
	v_add_u32_e32 v4, 0x31c0, v110
	ds_read2_b32 v[21:22], v4 offset1:1
	s_waitcnt lgkmcnt(0)
	v_and_b32_e32 v4, 0xf0f0f0f, v21
	v_dot4_i32_i8 v0, v4, v0, 0
	v_and_b32_e32 v4, 0xf0f0f0f, v22
	v_dot4_i32_i8 v4, v4, v1, v0
	v_add_u32_e32 v0, 0x31c8, v110
	ds_read2_b32 v[0:1], v0 offset1:1
	s_waitcnt lgkmcnt(0)
	v_and_b32_e32 v23, 0xf0f0f0f, v0
	v_dot4_i32_i8 v2, v23, v2, v4
	v_and_b32_e32 v4, 0xf0f0f0f, v1
	v_dot4_i32_i8 v4, v4, v3, v2
	v_add_u32_e32 v2, 0x31d0, v110
	ds_read2_b32 v[2:3], v2 offset1:1
	v_lshrrev_b32_e32 v0, 4, v0
	v_and_b32_e32 v0, 0xf0f0f0f, v0
	v_lshrrev_b32_e32 v1, 4, v1
	v_and_b32_e32 v1, 0xf0f0f0f, v1
	s_waitcnt lgkmcnt(0)
	v_and_b32_e32 v23, 0xf0f0f0f, v2
	v_dot4_i32_i8 v4, v23, v55, v4
	v_and_b32_e32 v23, 0xf0f0f0f, v3
	v_dot4_i32_i8 v4, v23, v56, v4
	v_add_u32_e32 v23, 0x31d8, v110
	ds_read2_b32 v[23:24], v23 offset1:1
	s_waitcnt lgkmcnt(0)
	v_and_b32_e32 v41, 0xf0f0f0f, v23
	v_dot4_i32_i8 v4, v41, v57, v4
	v_and_b32_e32 v41, 0xf0f0f0f, v24
	v_dot4_i32_i8 v61, v41, v58, v4
	buffer_load_dword v4, off, s[28:31], 0 offset:32 ; 4-byte Folded Reload
	s_waitcnt vmcnt(0)
	ds_read2_b32 v[41:42], v4 offset0:1 offset1:3
	v_lshrrev_b32_e32 v4, 4, v21
	v_and_b32_e32 v4, 0xf0f0f0f, v4
	v_lshrrev_b32_e32 v21, 4, v22
	v_dot4_i32_i8 v4, v4, v119, 0
	v_and_b32_e32 v21, 0xf0f0f0f, v21
	v_dot4_i32_i8 v4, v21, v120, v4
	v_dot4_i32_i8 v0, v0, v121, v4
	;; [unrolled: 1-line block ×3, first 2 shown]
	v_lshrrev_b32_e32 v1, 4, v2
	v_and_b32_e32 v1, 0xf0f0f0f, v1
	v_dot4_i32_i8 v0, v1, v123, v0
	v_lshrrev_b32_e32 v1, 4, v3
	v_and_b32_e32 v1, 0xf0f0f0f, v1
	v_dot4_i32_i8 v0, v1, v124, v0
	;; [unrolled: 3-line block ×4, first 2 shown]
	ds_read_b128 v[1:4], v68 offset:20560
	v_bfe_u32 v21, v43, 8, 8
	v_cvt_f32_f16_sdwa v119, v115 dst_sel:DWORD dst_unused:UNUSED_PAD src0_sel:WORD_1
	s_waitcnt lgkmcnt(1)
	v_cvt_f32_ubyte0_e32 v49, v42
	v_lshrrev_b32_e32 v125, 24, v45
	s_waitcnt lgkmcnt(0)
	v_fma_mix_f32 v0, v1, v10, 0 op_sel:[1,0,0] op_sel_hi:[1,0,0]
	v_and_b32_e32 v10, 0xff, v43
	v_mul_lo_u32 v9, v9, v10
	v_mul_lo_u32 v10, v12, v21
	v_fma_mix_f32 v0, v2, v11, v0 op_sel:[1,0,0] op_sel_hi:[1,0,0]
	v_mul_f32_e32 v0, v0, v116
	v_cvt_f32_i32_e32 v9, v9
	v_cvt_f32_i32_e32 v10, v10
	v_lshrrev_b32_e32 v123, 24, v47
	v_lshrrev_b32_e32 v121, 24, v41
	v_fma_mix_f32 v9, v1, v9, 0 op_sel_hi:[1,0,0]
	v_fma_mix_f32 v9, v2, v10, v9 op_sel_hi:[1,0,0]
	v_fma_mix_f32 v0, v9, v112, -v0 op_sel_hi:[0,1,0]
	v_add_f32_e32 v126, v6, v0
	v_and_b32_e32 v6, 0xff, v45
	v_bfe_u32 v9, v45, 8, 8
	v_mul_lo_u32 v6, v13, v6
	v_mul_lo_u32 v9, v16, v9
	v_fma_mix_f32 v0, v1, v14, 0 op_sel:[1,0,0] op_sel_hi:[1,0,0]
	v_fma_mix_f32 v0, v2, v15, v0 op_sel:[1,0,0] op_sel_hi:[1,0,0]
	v_cvt_f32_i32_e32 v6, v6
	v_cvt_f32_i32_e32 v9, v9
	v_mul_f32_e32 v0, v0, v117
	v_fma_mix_f32 v6, v1, v6, 0 op_sel_hi:[1,0,0]
	v_fma_mix_f32 v6, v2, v9, v6 op_sel_hi:[1,0,0]
	v_fma_mix_f32 v0, v6, v113, -v0 op_sel_hi:[0,1,0]
	v_and_b32_e32 v6, 0xff, v47
	v_add_f32_e32 v124, v7, v0
	v_bfe_u32 v7, v47, 8, 8
	v_mul_lo_u32 v6, v17, v6
	v_mul_lo_u32 v7, v20, v7
	v_fma_mix_f32 v0, v1, v18, 0 op_sel:[1,0,0] op_sel_hi:[1,0,0]
	v_fma_mix_f32 v0, v2, v19, v0 op_sel:[1,0,0] op_sel_hi:[1,0,0]
	v_cvt_f32_i32_e32 v6, v6
	v_cvt_f32_i32_e32 v7, v7
	v_mul_f32_e32 v0, v0, v118
	v_fma_mix_f32 v6, v1, v6, 0 op_sel_hi:[1,0,0]
	v_fma_mix_f32 v6, v2, v7, v6 op_sel_hi:[1,0,0]
	v_fma_mix_f32 v0, v6, v114, -v0 op_sel_hi:[0,1,0]
	v_add_f32_e32 v122, v8, v0
	v_and_b32_e32 v0, 0xff, v41
	v_bfe_u32 v6, v41, 8, 8
	v_mul_lo_u32 v0, v61, v0
	v_mul_lo_u32 v6, v67, v6
	v_cvt_f32_ubyte2_e32 v61, v44
	v_cvt_f32_ubyte3_e32 v44, v44
	v_cvt_f32_i32_e32 v0, v0
	v_cvt_f32_i32_e32 v6, v6
	v_fma_mix_f32 v0, v1, v0, 0 op_sel_hi:[1,0,0]
	v_fma_mix_f32 v1, v1, v49, 0 op_sel:[1,0,0] op_sel_hi:[1,0,0]
	v_fma_mix_f32 v0, v2, v6, v0 op_sel_hi:[1,0,0]
	v_cvt_f32_ubyte1_e32 v6, v42
	v_fma_mix_f32 v1, v2, v6, v1 op_sel:[1,0,0] op_sel_hi:[1,0,0]
	v_mul_f32_e32 v1, v1, v119
	v_fma_mix_f32 v0, v0, v115, -v1 op_sel_hi:[0,1,0]
	v_add_f32_e32 v120, v5, v0
	ds_read_b128 v[17:20], v66 offset:64
	ds_read_b128 v[13:16], v66 offset:80
	;; [unrolled: 1-line block ×4, first 2 shown]
	ds_read2_b32 v[0:1], v110 offset0:24 offset1:25
	ds_read2_b32 v[52:53], v110 offset0:30 offset1:31
	s_waitcnt lgkmcnt(1)
	v_and_b32_e32 v2, 0xf0f0f0f, v0
	v_dot4_i32_i8 v2, v2, v17, 0
	v_and_b32_e32 v21, 0xf0f0f0f, v1
	v_dot4_i32_i8 v2, v21, v18, v2
	ds_read2_b32 v[21:22], v110 offset0:26 offset1:27
	v_lshrrev_b32_e32 v0, 4, v0
	v_and_b32_e32 v0, 0xf0f0f0f, v0
	v_lshrrev_b32_e32 v1, 4, v1
	v_dot4_i32_i8 v0, v0, v9, 0
	s_waitcnt lgkmcnt(0)
	v_and_b32_e32 v23, 0xf0f0f0f, v21
	v_dot4_i32_i8 v2, v23, v19, v2
	v_and_b32_e32 v23, 0xf0f0f0f, v22
	v_dot4_i32_i8 v2, v23, v20, v2
	ds_read2_b32 v[23:24], v110 offset0:28 offset1:29
	v_and_b32_e32 v1, 0xf0f0f0f, v1
	v_dot4_i32_i8 v0, v1, v10, v0
	v_lshrrev_b32_e32 v1, 4, v21
	v_and_b32_e32 v1, 0xf0f0f0f, v1
	v_dot4_i32_i8 v0, v1, v11, v0
	v_lshrrev_b32_e32 v1, 4, v22
	v_and_b32_e32 v1, 0xf0f0f0f, v1
	v_dot4_i32_i8 v0, v1, v12, v0
	s_waitcnt lgkmcnt(0)
	v_lshrrev_b32_e32 v1, 4, v23
	v_and_b32_e32 v1, 0xf0f0f0f, v1
	v_dot4_i32_i8 v0, v1, v5, v0
	v_lshrrev_b32_e32 v1, 4, v24
	v_and_b32_e32 v1, 0xf0f0f0f, v1
	v_dot4_i32_i8 v0, v1, v6, v0
	v_lshrrev_b32_e32 v1, 4, v52
	v_and_b32_e32 v49, 0xf0f0f0f, v23
	v_and_b32_e32 v1, 0xf0f0f0f, v1
	v_dot4_i32_i8 v2, v49, v13, v2
	v_and_b32_e32 v49, 0xf0f0f0f, v24
	v_dot4_i32_i8 v0, v1, v7, v0
	v_lshrrev_b32_e32 v1, 4, v53
	v_dot4_i32_i8 v2, v49, v14, v2
	v_and_b32_e32 v49, 0xf0f0f0f, v52
	v_and_b32_e32 v1, 0xf0f0f0f, v1
	v_dot4_i32_i8 v2, v49, v15, v2
	v_and_b32_e32 v49, 0xf0f0f0f, v53
	v_dot4_i32_i8 v67, v1, v8, v0
	v_add_u32_e32 v0, 0x10e0, v110
	v_dot4_i32_i8 v49, v49, v16, v2
	ds_read2_b32 v[1:2], v0 offset1:1
	v_cvt_f32_ubyte2_e32 v24, v46
	s_waitcnt lgkmcnt(0)
	v_and_b32_e32 v0, 0xf0f0f0f, v1
	v_dot4_i32_i8 v0, v0, v17, 0
	v_and_b32_e32 v21, 0xf0f0f0f, v2
	v_dot4_i32_i8 v0, v21, v18, v0
	v_add_u32_e32 v21, 0x10e8, v110
	ds_read2_b32 v[21:22], v21 offset1:1
	s_waitcnt lgkmcnt(0)
	v_and_b32_e32 v23, 0xf0f0f0f, v21
	v_dot4_i32_i8 v0, v23, v19, v0
	v_and_b32_e32 v23, 0xf0f0f0f, v22
	v_dot4_i32_i8 v0, v23, v20, v0
	v_add_u32_e32 v23, 0x10f0, v110
	ds_read2_b32 v[52:53], v23 offset1:1
	;; [unrolled: 7-line block ×3, first 2 shown]
	s_waitcnt lgkmcnt(0)
	v_and_b32_e32 v23, 0xf0f0f0f, v55
	v_dot4_i32_i8 v0, v23, v15, v0
	v_and_b32_e32 v23, 0xf0f0f0f, v56
	v_dot4_i32_i8 v23, v23, v16, v0
	v_lshrrev_b32_e32 v0, 4, v1
	v_and_b32_e32 v0, 0xf0f0f0f, v0
	v_lshrrev_b32_e32 v1, 4, v2
	v_dot4_i32_i8 v0, v0, v9, 0
	v_and_b32_e32 v1, 0xf0f0f0f, v1
	v_dot4_i32_i8 v0, v1, v10, v0
	v_lshrrev_b32_e32 v1, 4, v21
	v_and_b32_e32 v1, 0xf0f0f0f, v1
	v_dot4_i32_i8 v0, v1, v11, v0
	v_lshrrev_b32_e32 v1, 4, v22
	;; [unrolled: 3-line block ×6, first 2 shown]
	v_and_b32_e32 v1, 0xf0f0f0f, v1
	v_dot4_i32_i8 v2, v1, v8, v0
	v_add_u32_e32 v0, 0x2160, v110
	ds_read2_b32 v[21:22], v0 offset1:1
	v_cvt_f32_ubyte3_e32 v1, v46
	v_mul_lo_u32 v2, v2, v125
	s_waitcnt lgkmcnt(0)
	v_and_b32_e32 v0, 0xf0f0f0f, v21
	v_dot4_i32_i8 v0, v0, v17, 0
	v_and_b32_e32 v46, 0xf0f0f0f, v22
	v_dot4_i32_i8 v0, v46, v18, v0
	v_add_u32_e32 v46, 0x2168, v110
	ds_read2_b32 v[55:56], v46 offset1:1
	v_lshrrev_b32_e32 v21, 4, v21
	v_and_b32_e32 v21, 0xf0f0f0f, v21
	v_lshrrev_b32_e32 v22, 4, v22
	v_dot4_i32_i8 v21, v21, v9, 0
	s_waitcnt lgkmcnt(0)
	v_and_b32_e32 v46, 0xf0f0f0f, v55
	v_dot4_i32_i8 v0, v46, v19, v0
	v_and_b32_e32 v46, 0xf0f0f0f, v56
	v_dot4_i32_i8 v0, v46, v20, v0
	v_add_u32_e32 v46, 0x2170, v110
	ds_read2_b32 v[57:58], v46 offset1:1
	v_and_b32_e32 v22, 0xf0f0f0f, v22
	v_dot4_i32_i8 v21, v22, v10, v21
	v_lshrrev_b32_e32 v22, 4, v55
	v_and_b32_e32 v22, 0xf0f0f0f, v22
	s_waitcnt lgkmcnt(0)
	v_and_b32_e32 v46, 0xf0f0f0f, v57
	v_dot4_i32_i8 v0, v46, v13, v0
	v_and_b32_e32 v46, 0xf0f0f0f, v58
	v_dot4_i32_i8 v0, v46, v14, v0
	v_add_u32_e32 v46, 0x2178, v110
	v_dot4_i32_i8 v21, v22, v11, v21
	v_lshrrev_b32_e32 v22, 4, v56
	ds_read2_b32 v[59:60], v46 offset1:1
	v_and_b32_e32 v22, 0xf0f0f0f, v22
	v_dot4_i32_i8 v21, v22, v12, v21
	v_lshrrev_b32_e32 v22, 4, v57
	v_and_b32_e32 v22, 0xf0f0f0f, v22
	v_dot4_i32_i8 v21, v22, v5, v21
	v_lshrrev_b32_e32 v22, 4, v58
	v_and_b32_e32 v22, 0xf0f0f0f, v22
	v_dot4_i32_i8 v21, v22, v6, v21
	s_waitcnt lgkmcnt(0)
	v_lshrrev_b32_e32 v22, 4, v59
	v_and_b32_e32 v22, 0xf0f0f0f, v22
	v_dot4_i32_i8 v21, v22, v7, v21
	v_lshrrev_b32_e32 v22, 4, v60
	v_and_b32_e32 v22, 0xf0f0f0f, v22
	v_dot4_i32_i8 v53, v22, v8, v21
	v_add_u32_e32 v21, 0x31e0, v110
	ds_read2_b32 v[21:22], v21 offset1:1
	v_and_b32_e32 v46, 0xf0f0f0f, v59
	v_dot4_i32_i8 v0, v46, v15, v0
	v_and_b32_e32 v46, 0xf0f0f0f, v60
	v_dot4_i32_i8 v52, v46, v16, v0
	v_cvt_f32_ubyte2_e32 v0, v48
	v_cvt_f32_ubyte3_e32 v46, v48
	s_waitcnt lgkmcnt(0)
	v_and_b32_e32 v48, 0xf0f0f0f, v21
	v_dot4_i32_i8 v17, v48, v17, 0
	v_and_b32_e32 v48, 0xf0f0f0f, v22
	v_dot4_i32_i8 v48, v48, v18, v17
	v_add_u32_e32 v17, 0x31e8, v110
	ds_read2_b32 v[17:18], v17 offset1:1
	v_lshrrev_b32_e32 v21, 4, v21
	v_and_b32_e32 v21, 0xf0f0f0f, v21
	v_dot4_i32_i8 v9, v21, v9, 0
	v_lshrrev_b32_e32 v21, 4, v22
	s_waitcnt lgkmcnt(0)
	v_and_b32_e32 v55, 0xf0f0f0f, v17
	v_dot4_i32_i8 v19, v55, v19, v48
	v_and_b32_e32 v48, 0xf0f0f0f, v18
	v_dot4_i32_i8 v48, v48, v20, v19
	v_add_u32_e32 v19, 0x31f0, v110
	ds_read2_b32 v[19:20], v19 offset1:1
	v_and_b32_e32 v21, 0xf0f0f0f, v21
	v_dot4_i32_i8 v9, v21, v10, v9
	v_lshrrev_b32_e32 v10, 4, v17
	v_and_b32_e32 v10, 0xf0f0f0f, v10
	s_waitcnt lgkmcnt(0)
	v_and_b32_e32 v55, 0xf0f0f0f, v19
	v_dot4_i32_i8 v13, v55, v13, v48
	v_and_b32_e32 v48, 0xf0f0f0f, v20
	v_dot4_i32_i8 v48, v48, v14, v13
	v_add_u32_e32 v13, 0x31f8, v110
	v_dot4_i32_i8 v9, v10, v11, v9
	v_lshrrev_b32_e32 v10, 4, v18
	ds_read2_b32 v[13:14], v13 offset1:1
	v_and_b32_e32 v10, 0xf0f0f0f, v10
	v_dot4_i32_i8 v9, v10, v12, v9
	v_lshrrev_b32_e32 v10, 4, v19
	v_and_b32_e32 v10, 0xf0f0f0f, v10
	v_dot4_i32_i8 v5, v10, v5, v9
	v_lshrrev_b32_e32 v9, 4, v20
	v_and_b32_e32 v9, 0xf0f0f0f, v9
	v_dot4_i32_i8 v5, v9, v6, v5
	s_waitcnt lgkmcnt(0)
	v_lshrrev_b32_e32 v6, 4, v13
	v_and_b32_e32 v6, 0xf0f0f0f, v6
	v_dot4_i32_i8 v5, v6, v7, v5
	v_lshrrev_b32_e32 v6, 4, v14
	v_bfe_u32 v7, v43, 16, 8
	v_and_b32_e32 v6, 0xf0f0f0f, v6
	v_mul_lo_u32 v7, v49, v7
	v_dot4_i32_i8 v5, v6, v8, v5
	v_mul_lo_u32 v8, v67, v127
	v_fma_mix_f32 v6, v3, v61, 0 op_sel:[1,0,0] op_sel_hi:[1,0,0]
	v_cvt_f32_i32_e32 v7, v7
	v_fma_mix_f32 v6, v4, v44, v6 op_sel:[1,0,0] op_sel_hi:[1,0,0]
	v_cvt_f32_i32_e32 v8, v8
	v_cvt_f32_i32_e32 v2, v2
	v_fma_mix_f32 v7, v3, v7, 0 op_sel_hi:[1,0,0]
	v_mul_f32_e32 v6, v6, v116
	v_fma_mix_f32 v7, v4, v8, v7 op_sel_hi:[1,0,0]
	v_bfe_u32 v8, v45, 16, 8
	v_mul_lo_u32 v8, v23, v8
	v_fma_mix_f32 v6, v7, v112, -v6 op_sel_hi:[0,1,0]
	v_fma_mix_f32 v7, v3, v24, 0 op_sel:[1,0,0] op_sel_hi:[1,0,0]
	v_fma_mix_f32 v1, v4, v1, v7 op_sel:[1,0,0] op_sel_hi:[1,0,0]
	v_cvt_f32_i32_e32 v8, v8
	v_mul_f32_e32 v1, v1, v117
	v_fma_mix_f32 v0, v3, v0, 0 op_sel:[1,0,0] op_sel_hi:[1,0,0]
	v_fma_mix_f32 v0, v4, v46, v0 op_sel:[1,0,0] op_sel_hi:[1,0,0]
	v_fma_mix_f32 v8, v3, v8, 0 op_sel_hi:[1,0,0]
	v_fma_mix_f32 v2, v4, v2, v8 op_sel_hi:[1,0,0]
	v_fma_mix_f32 v1, v2, v113, -v1 op_sel_hi:[0,1,0]
	v_add_f32_e32 v7, v124, v1
	v_bfe_u32 v1, v47, 16, 8
	v_mul_lo_u32 v1, v52, v1
	v_mul_lo_u32 v2, v53, v123
	v_and_b32_e32 v55, 0xf0f0f0f, v13
	v_mul_f32_e32 v0, v0, v118
	v_cvt_f32_i32_e32 v1, v1
	v_cvt_f32_i32_e32 v2, v2
	v_dot4_i32_i8 v15, v55, v15, v48
	v_and_b32_e32 v48, 0xf0f0f0f, v14
	v_fma_mix_f32 v1, v3, v1, 0 op_sel_hi:[1,0,0]
	v_fma_mix_f32 v1, v4, v2, v1 op_sel_hi:[1,0,0]
	v_fma_mix_f32 v0, v1, v114, -v0 op_sel_hi:[0,1,0]
	v_dot4_i32_i8 v15, v48, v16, v15
	v_add_f32_e32 v8, v122, v0
	v_bfe_u32 v0, v41, 16, 8
	v_mul_lo_u32 v0, v15, v0
	v_mul_lo_u32 v1, v5, v121
	v_cvt_f32_ubyte2_e32 v16, v42
	v_fma_mix_f32 v2, v3, v16, 0 op_sel:[1,0,0] op_sel_hi:[1,0,0]
	v_cvt_f32_i32_e32 v0, v0
	v_cvt_f32_i32_e32 v1, v1
	v_add_f32_e32 v6, v126, v6
	v_fma_mix_f32 v0, v3, v0, 0 op_sel_hi:[1,0,0]
	v_fma_mix_f32 v0, v4, v1, v0 op_sel_hi:[1,0,0]
	v_cvt_f32_ubyte3_e32 v1, v42
	v_fma_mix_f32 v1, v4, v1, v2 op_sel:[1,0,0] op_sel_hi:[1,0,0]
	v_mul_f32_e32 v1, v1, v119
	v_fma_mix_f32 v0, v0, v115, -v1 op_sel_hi:[0,1,0]
	v_add_f32_e32 v5, v120, v0
	s_barrier
.LBB232_5:                              ;   in Loop: Header=BB232_6 Depth=1
	v_add_co_u32_e32 v70, vcc, 0x90, v70
	v_addc_co_u32_e32 v71, vcc, 0, v71, vcc
	v_add_co_u32_e32 v72, vcc, 0x90, v72
	v_addc_co_u32_e32 v73, vcc, 0, v73, vcc
	;; [unrolled: 2-line block ×20, first 2 shown]
	s_add_i32 s22, s22, -1
	s_addk_i32 s20, 0x100
	v_add_co_u32_e32 v108, vcc, 0x90, v108
	v_add_u32_e32 v54, 8, v54
	v_add_u32_e32 v51, 8, v51
	;; [unrolled: 1-line block ×3, first 2 shown]
	s_cmp_eq_u32 s22, 0
	v_addc_co_u32_e32 v109, vcc, 0, v109, vcc
	s_cbranch_scc1 .LBB232_17
.LBB232_6:                              ; =>This Inner Loop Header: Depth=1
	v_mov_b32_e32 v2, s12
	v_add_co_u32_e32 v0, vcc, s8, v70
	v_addc_co_u32_e32 v1, vcc, v71, v2, vcc
	global_load_dword v3, v[0:1], off
	v_add_co_u32_e32 v0, vcc, s8, v72
	v_addc_co_u32_e32 v1, vcc, v73, v2, vcc
	global_load_dword v4, v[0:1], off
	;; [unrolled: 3-line block ×21, first 2 shown]
	s_nop 0
	buffer_load_dword v1, off, s[28:31], 0  ; 4-byte Folded Reload
	buffer_load_dword v2, off, s[28:31], 0 offset:4 ; 4-byte Folded Reload
	s_add_i32 s4, s20, 0xffffff80
	s_cmp_lt_i32 s4, s9
	s_waitcnt vmcnt(1)
	ds_write_b32 v1, v3
	buffer_load_dword v1, off, s[28:31], 0 offset:8 ; 4-byte Folded Reload
	buffer_load_dword v2, off, s[28:31], 0 offset:12 ; 4-byte Folded Reload
	s_waitcnt vmcnt(0)
	v_ashrrev_i32_e32 v2, v65, v41
	v_ashrrev_i32_e32 v0, v65, v0
	ds_write_b32 v1, v4
	ds_write_b32 v25, v9
	;; [unrolled: 1-line block ×16, first 2 shown]
	v_ashrrev_i32_e32 v1, v62, v24
	v_and_b32_e32 v1, 0xf0f0f0f, v1
	v_and_or_b32 v1, v2, s21, v1
	ds_write_b32 v63, v1
	v_ashrrev_i32_e32 v1, v62, v42
	v_and_b32_e32 v1, 0xf0f0f0f, v1
	v_and_or_b32 v0, v0, s21, v1
	ds_write_b32 v64, v0
	s_cbranch_scc0 .LBB232_5
; %bb.7:                                ;   in Loop: Header=BB232_6 Depth=1
	v_cmp_gt_i32_e32 vcc, s10, v51
	s_and_b64 s[24:25], s[2:3], vcc
	s_and_saveexec_b64 s[4:5], s[24:25]
	s_cbranch_execz .LBB232_9
; %bb.8:                                ;   in Loop: Header=BB232_6 Depth=1
	buffer_load_dword v1, off, s[28:31], 0 offset:48 ; 4-byte Folded Reload
	buffer_load_dword v2, off, s[28:31], 0 offset:52 ; 4-byte Folded Reload
	v_add_u32_e32 v0, v69, v51
	s_waitcnt vmcnt(0)
	v_mad_i64_i32 v[0:1], s[24:25], v0, 36, v[1:2]
	global_load_dword v0, v[0:1], off offset:4
	s_nop 0
	buffer_load_dword v1, off, s[28:31], 0 offset:56 ; 4-byte Folded Reload
	s_waitcnt vmcnt(0)
	ds_write_b32 v1, v0
.LBB232_9:                              ;   in Loop: Header=BB232_6 Depth=1
	s_or_b64 exec, exec, s[4:5]
	v_cmp_gt_i32_e32 vcc, s10, v111
	s_and_b64 s[24:25], s[18:19], vcc
	s_and_saveexec_b64 s[4:5], s[24:25]
	s_cbranch_execz .LBB232_11
; %bb.10:                               ;   in Loop: Header=BB232_6 Depth=1
	v_add_u32_e32 v0, v69, v111
	v_mad_i64_i32 v[0:1], s[24:25], v0, 36, s[6:7]
	global_load_dword v0, v[0:1], off
	s_nop 0
	buffer_load_dword v1, off, s[28:31], 0 offset:60 ; 4-byte Folded Reload
	s_waitcnt vmcnt(0)
	v_add_u32_e32 v1, v1, v68
	ds_write_b32 v1, v0
.LBB232_11:                             ;   in Loop: Header=BB232_6 Depth=1
	s_or_b64 exec, exec, s[4:5]
	s_waitcnt lgkmcnt(0)
	s_barrier
	ds_read_b128 v[0:3], v66
	ds_read_b128 v[119:122], v66 offset:16
	ds_read_b128 v[123:126], v66 offset:32
	;; [unrolled: 1-line block ×3, first 2 shown]
	buffer_load_dword v4, off, s[28:31], 0 offset:20 ; 4-byte Folded Reload
	s_cmp_ge_i32 s20, s9
	s_waitcnt vmcnt(0)
	ds_read_b32 v112, v4
	ds_read2_b32 v[11:12], v110 offset1:1
	ds_read2_b32 v[13:14], v110 offset0:2 offset1:3
	ds_read2_b32 v[15:16], v110 offset0:4 offset1:5
	;; [unrolled: 1-line block ×3, first 2 shown]
	s_waitcnt lgkmcnt(4)
	v_cvt_f32_f16_sdwa v116, v112 dst_sel:DWORD dst_unused:UNUSED_PAD src0_sel:WORD_1
	s_waitcnt lgkmcnt(3)
	v_and_b32_e32 v4, 0xf0f0f0f, v11
	v_dot4_i32_i8 v4, v4, v0, 0
	v_and_b32_e32 v9, 0xf0f0f0f, v12
	v_dot4_i32_i8 v4, v9, v1, v4
	s_waitcnt lgkmcnt(2)
	v_and_b32_e32 v9, 0xf0f0f0f, v13
	v_dot4_i32_i8 v4, v9, v2, v4
	v_and_b32_e32 v9, 0xf0f0f0f, v14
	v_dot4_i32_i8 v4, v9, v3, v4
	;; [unrolled: 5-line block ×4, first 2 shown]
	buffer_load_dword v4, off, s[28:31], 0 offset:16 ; 4-byte Folded Reload
	s_waitcnt vmcnt(0)
	ds_read2_b32 v[43:44], v4 offset1:2
	v_lshrrev_b32_e32 v4, 4, v11
	v_and_b32_e32 v4, 0xf0f0f0f, v4
	v_lshrrev_b32_e32 v11, 4, v12
	v_dot4_i32_i8 v4, v4, v123, 0
	v_and_b32_e32 v11, 0xf0f0f0f, v11
	v_dot4_i32_i8 v4, v11, v124, v4
	v_lshrrev_b32_e32 v11, 4, v13
	v_and_b32_e32 v11, 0xf0f0f0f, v11
	v_dot4_i32_i8 v4, v11, v125, v4
	v_lshrrev_b32_e32 v11, 4, v14
	;; [unrolled: 3-line block ×6, first 2 shown]
	v_and_b32_e32 v11, 0xf0f0f0f, v11
	v_dot4_i32_i8 v12, v11, v58, v4
	buffer_load_dword v4, off, s[28:31], 0 offset:36 ; 4-byte Folded Reload
	s_waitcnt lgkmcnt(0)
	v_cvt_f32_ubyte0_e32 v10, v44
	v_cvt_f32_ubyte1_e32 v11, v44
	v_lshrrev_b32_e32 v127, 24, v43
	s_waitcnt vmcnt(0)
	ds_read_b32 v113, v4 offset:128
	v_add_u32_e32 v4, 0x1080, v110
	ds_read2_b32 v[15:16], v4 offset1:1
	s_waitcnt lgkmcnt(1)
	v_cvt_f32_f16_sdwa v117, v113 dst_sel:DWORD dst_unused:UNUSED_PAD src0_sel:WORD_1
	s_waitcnt lgkmcnt(0)
	v_and_b32_e32 v4, 0xf0f0f0f, v15
	v_dot4_i32_i8 v4, v4, v0, 0
	v_and_b32_e32 v13, 0xf0f0f0f, v16
	v_dot4_i32_i8 v4, v13, v1, v4
	v_add_u32_e32 v13, 0x1088, v110
	ds_read2_b32 v[17:18], v13 offset1:1
	s_waitcnt lgkmcnt(0)
	v_and_b32_e32 v13, 0xf0f0f0f, v17
	v_dot4_i32_i8 v4, v13, v2, v4
	v_and_b32_e32 v13, 0xf0f0f0f, v18
	v_dot4_i32_i8 v4, v13, v3, v4
	v_add_u32_e32 v13, 0x1090, v110
	ds_read2_b32 v[19:20], v13 offset1:1
	;; [unrolled: 7-line block ×3, first 2 shown]
	s_waitcnt lgkmcnt(0)
	v_and_b32_e32 v13, 0xf0f0f0f, v23
	v_dot4_i32_i8 v4, v13, v121, v4
	v_and_b32_e32 v13, 0xf0f0f0f, v24
	v_dot4_i32_i8 v13, v13, v122, v4
	buffer_load_dword v4, off, s[28:31], 0 offset:24 ; 4-byte Folded Reload
	s_waitcnt vmcnt(0)
	ds_read2_b32 v[45:46], v4 offset1:2
	v_lshrrev_b32_e32 v4, 4, v15
	v_and_b32_e32 v4, 0xf0f0f0f, v4
	v_lshrrev_b32_e32 v15, 4, v16
	v_dot4_i32_i8 v4, v4, v123, 0
	v_and_b32_e32 v15, 0xf0f0f0f, v15
	v_dot4_i32_i8 v4, v15, v124, v4
	v_lshrrev_b32_e32 v15, 4, v17
	v_and_b32_e32 v15, 0xf0f0f0f, v15
	v_dot4_i32_i8 v4, v15, v125, v4
	v_lshrrev_b32_e32 v15, 4, v18
	;; [unrolled: 3-line block ×6, first 2 shown]
	v_and_b32_e32 v15, 0xf0f0f0f, v15
	v_dot4_i32_i8 v16, v15, v58, v4
	buffer_load_dword v4, off, s[28:31], 0 offset:40 ; 4-byte Folded Reload
	s_waitcnt lgkmcnt(0)
	v_cvt_f32_ubyte0_e32 v14, v46
	v_cvt_f32_ubyte1_e32 v15, v46
	s_waitcnt vmcnt(0)
	ds_read_b32 v114, v4 offset:256
	v_add_u32_e32 v4, 0x2100, v110
	ds_read2_b32 v[19:20], v4 offset1:1
	s_waitcnt lgkmcnt(1)
	v_cvt_f32_f16_sdwa v118, v114 dst_sel:DWORD dst_unused:UNUSED_PAD src0_sel:WORD_1
	s_waitcnt lgkmcnt(0)
	v_and_b32_e32 v4, 0xf0f0f0f, v19
	v_dot4_i32_i8 v4, v4, v0, 0
	v_and_b32_e32 v17, 0xf0f0f0f, v20
	v_dot4_i32_i8 v4, v17, v1, v4
	v_add_u32_e32 v17, 0x2108, v110
	ds_read2_b32 v[23:24], v17 offset1:1
	s_waitcnt lgkmcnt(0)
	v_and_b32_e32 v17, 0xf0f0f0f, v23
	v_dot4_i32_i8 v4, v17, v2, v4
	v_and_b32_e32 v17, 0xf0f0f0f, v24
	v_dot4_i32_i8 v4, v17, v3, v4
	v_add_u32_e32 v17, 0x2110, v110
	ds_read2_b32 v[41:42], v17 offset1:1
	;; [unrolled: 7-line block ×3, first 2 shown]
	s_waitcnt lgkmcnt(0)
	v_and_b32_e32 v17, 0xf0f0f0f, v52
	v_dot4_i32_i8 v4, v17, v121, v4
	v_and_b32_e32 v17, 0xf0f0f0f, v53
	v_dot4_i32_i8 v17, v17, v122, v4
	buffer_load_dword v4, off, s[28:31], 0 offset:28 ; 4-byte Folded Reload
	s_waitcnt vmcnt(0)
	ds_read2_b32 v[47:48], v4 offset1:2
	v_lshrrev_b32_e32 v4, 4, v19
	v_and_b32_e32 v4, 0xf0f0f0f, v4
	v_lshrrev_b32_e32 v19, 4, v20
	v_dot4_i32_i8 v4, v4, v123, 0
	v_and_b32_e32 v19, 0xf0f0f0f, v19
	v_dot4_i32_i8 v4, v19, v124, v4
	v_lshrrev_b32_e32 v19, 4, v23
	v_and_b32_e32 v19, 0xf0f0f0f, v19
	v_dot4_i32_i8 v4, v19, v125, v4
	v_lshrrev_b32_e32 v19, 4, v24
	;; [unrolled: 3-line block ×6, first 2 shown]
	v_and_b32_e32 v19, 0xf0f0f0f, v19
	v_dot4_i32_i8 v20, v19, v58, v4
	buffer_load_dword v4, off, s[28:31], 0 offset:44 ; 4-byte Folded Reload
	s_waitcnt lgkmcnt(0)
	v_cvt_f32_ubyte0_e32 v18, v48
	v_cvt_f32_ubyte1_e32 v19, v48
	s_waitcnt vmcnt(0)
	ds_read_b32 v115, v4 offset:384
	v_add_u32_e32 v4, 0x3180, v110
	ds_read2_b32 v[23:24], v4 offset1:1
	s_waitcnt lgkmcnt(0)
	v_and_b32_e32 v4, 0xf0f0f0f, v23
	v_dot4_i32_i8 v0, v4, v0, 0
	v_and_b32_e32 v4, 0xf0f0f0f, v24
	v_dot4_i32_i8 v4, v4, v1, v0
	v_add_u32_e32 v0, 0x3188, v110
	ds_read2_b32 v[0:1], v0 offset1:1
	s_waitcnt lgkmcnt(0)
	v_and_b32_e32 v21, 0xf0f0f0f, v0
	v_dot4_i32_i8 v2, v21, v2, v4
	v_and_b32_e32 v4, 0xf0f0f0f, v1
	v_dot4_i32_i8 v4, v4, v3, v2
	v_add_u32_e32 v2, 0x3190, v110
	ds_read2_b32 v[2:3], v2 offset1:1
	v_lshrrev_b32_e32 v0, 4, v0
	v_and_b32_e32 v0, 0xf0f0f0f, v0
	v_lshrrev_b32_e32 v1, 4, v1
	v_and_b32_e32 v1, 0xf0f0f0f, v1
	s_waitcnt lgkmcnt(0)
	v_and_b32_e32 v21, 0xf0f0f0f, v2
	v_dot4_i32_i8 v4, v21, v119, v4
	v_and_b32_e32 v21, 0xf0f0f0f, v3
	v_dot4_i32_i8 v4, v21, v120, v4
	v_add_u32_e32 v21, 0x3198, v110
	ds_read2_b32 v[52:53], v21 offset1:1
	v_cvt_f32_f16_sdwa v119, v115 dst_sel:DWORD dst_unused:UNUSED_PAD src0_sel:WORD_1
	s_waitcnt lgkmcnt(0)
	v_and_b32_e32 v21, 0xf0f0f0f, v52
	v_dot4_i32_i8 v4, v21, v121, v4
	v_and_b32_e32 v21, 0xf0f0f0f, v53
	v_dot4_i32_i8 v61, v21, v122, v4
	buffer_load_dword v4, off, s[28:31], 0 offset:32 ; 4-byte Folded Reload
	v_lshrrev_b32_e32 v21, 4, v24
	v_and_b32_e32 v21, 0xf0f0f0f, v21
	s_waitcnt vmcnt(0)
	ds_read2_b32 v[41:42], v4 offset1:2
	v_lshrrev_b32_e32 v4, 4, v23
	v_and_b32_e32 v4, 0xf0f0f0f, v4
	v_dot4_i32_i8 v4, v4, v123, 0
	v_dot4_i32_i8 v4, v21, v124, v4
	v_dot4_i32_i8 v0, v0, v125, v4
	v_dot4_i32_i8 v0, v1, v126, v0
	v_lshrrev_b32_e32 v1, 4, v2
	v_and_b32_e32 v1, 0xf0f0f0f, v1
	v_dot4_i32_i8 v0, v1, v55, v0
	v_lshrrev_b32_e32 v1, 4, v3
	v_and_b32_e32 v1, 0xf0f0f0f, v1
	v_dot4_i32_i8 v0, v1, v56, v0
	;; [unrolled: 3-line block ×4, first 2 shown]
	ds_read_b128 v[1:4], v68 offset:20560
	v_bfe_u32 v21, v43, 8, 8
	s_waitcnt lgkmcnt(1)
	v_cvt_f32_ubyte0_e32 v49, v42
	v_lshrrev_b32_e32 v125, 24, v45
	v_lshrrev_b32_e32 v123, 24, v47
	s_waitcnt lgkmcnt(0)
	v_fma_mix_f32 v0, v1, v10, 0 op_sel:[1,0,0] op_sel_hi:[1,0,0]
	v_and_b32_e32 v10, 0xff, v43
	v_mul_lo_u32 v9, v9, v10
	v_mul_lo_u32 v10, v12, v21
	v_fma_mix_f32 v0, v2, v11, v0 op_sel:[1,0,0] op_sel_hi:[1,0,0]
	v_mul_f32_e32 v0, v0, v116
	v_cvt_f32_i32_e32 v9, v9
	v_cvt_f32_i32_e32 v10, v10
	v_lshrrev_b32_e32 v121, 24, v41
	v_fma_mix_f32 v9, v1, v9, 0 op_sel_hi:[1,0,0]
	v_fma_mix_f32 v9, v2, v10, v9 op_sel_hi:[1,0,0]
	v_fma_mix_f32 v0, v9, v112, -v0 op_sel_hi:[0,1,0]
	v_add_f32_e32 v126, v6, v0
	v_and_b32_e32 v6, 0xff, v45
	v_bfe_u32 v9, v45, 8, 8
	v_mul_lo_u32 v6, v13, v6
	v_mul_lo_u32 v9, v16, v9
	v_fma_mix_f32 v0, v1, v14, 0 op_sel:[1,0,0] op_sel_hi:[1,0,0]
	v_fma_mix_f32 v0, v2, v15, v0 op_sel:[1,0,0] op_sel_hi:[1,0,0]
	v_cvt_f32_i32_e32 v6, v6
	v_cvt_f32_i32_e32 v9, v9
	v_mul_f32_e32 v0, v0, v117
	v_fma_mix_f32 v6, v1, v6, 0 op_sel_hi:[1,0,0]
	v_fma_mix_f32 v6, v2, v9, v6 op_sel_hi:[1,0,0]
	v_fma_mix_f32 v0, v6, v113, -v0 op_sel_hi:[0,1,0]
	v_and_b32_e32 v6, 0xff, v47
	v_add_f32_e32 v124, v7, v0
	v_bfe_u32 v7, v47, 8, 8
	v_mul_lo_u32 v6, v17, v6
	v_mul_lo_u32 v7, v20, v7
	v_fma_mix_f32 v0, v1, v18, 0 op_sel:[1,0,0] op_sel_hi:[1,0,0]
	v_fma_mix_f32 v0, v2, v19, v0 op_sel:[1,0,0] op_sel_hi:[1,0,0]
	v_cvt_f32_i32_e32 v6, v6
	v_cvt_f32_i32_e32 v7, v7
	v_mul_f32_e32 v0, v0, v118
	v_fma_mix_f32 v6, v1, v6, 0 op_sel_hi:[1,0,0]
	v_fma_mix_f32 v6, v2, v7, v6 op_sel_hi:[1,0,0]
	v_fma_mix_f32 v0, v6, v114, -v0 op_sel_hi:[0,1,0]
	v_add_f32_e32 v122, v8, v0
	v_and_b32_e32 v0, 0xff, v41
	v_bfe_u32 v6, v41, 8, 8
	v_mul_lo_u32 v0, v61, v0
	v_mul_lo_u32 v6, v67, v6
	v_cvt_f32_ubyte2_e32 v61, v44
	v_cvt_f32_ubyte3_e32 v44, v44
	v_cvt_f32_i32_e32 v0, v0
	v_cvt_f32_i32_e32 v6, v6
	v_fma_mix_f32 v0, v1, v0, 0 op_sel_hi:[1,0,0]
	v_fma_mix_f32 v1, v1, v49, 0 op_sel:[1,0,0] op_sel_hi:[1,0,0]
	v_fma_mix_f32 v0, v2, v6, v0 op_sel_hi:[1,0,0]
	v_cvt_f32_ubyte1_e32 v6, v42
	v_fma_mix_f32 v1, v2, v6, v1 op_sel:[1,0,0] op_sel_hi:[1,0,0]
	v_mul_f32_e32 v1, v1, v119
	v_fma_mix_f32 v0, v0, v115, -v1 op_sel_hi:[0,1,0]
	v_add_f32_e32 v120, v5, v0
	ds_read_b128 v[17:20], v66 offset:64
	ds_read_b128 v[13:16], v66 offset:80
	;; [unrolled: 1-line block ×4, first 2 shown]
	ds_read2_b32 v[0:1], v110 offset0:8 offset1:9
	ds_read2_b32 v[23:24], v110 offset0:10 offset1:11
	;; [unrolled: 1-line block ×4, first 2 shown]
	s_waitcnt lgkmcnt(3)
	v_and_b32_e32 v2, 0xf0f0f0f, v0
	v_lshrrev_b32_e32 v0, 4, v0
	v_and_b32_e32 v21, 0xf0f0f0f, v1
	v_and_b32_e32 v0, 0xf0f0f0f, v0
	v_lshrrev_b32_e32 v1, 4, v1
	v_dot4_i32_i8 v0, v0, v9, 0
	v_and_b32_e32 v1, 0xf0f0f0f, v1
	v_dot4_i32_i8 v0, v1, v10, v0
	s_waitcnt lgkmcnt(2)
	v_lshrrev_b32_e32 v1, 4, v23
	v_and_b32_e32 v1, 0xf0f0f0f, v1
	v_dot4_i32_i8 v0, v1, v11, v0
	v_lshrrev_b32_e32 v1, 4, v24
	v_and_b32_e32 v1, 0xf0f0f0f, v1
	v_dot4_i32_i8 v0, v1, v12, v0
	s_waitcnt lgkmcnt(1)
	v_lshrrev_b32_e32 v1, 4, v52
	v_and_b32_e32 v1, 0xf0f0f0f, v1
	v_dot4_i32_i8 v2, v2, v17, 0
	v_dot4_i32_i8 v0, v1, v5, v0
	v_lshrrev_b32_e32 v1, 4, v53
	v_dot4_i32_i8 v2, v21, v18, v2
	v_and_b32_e32 v21, 0xf0f0f0f, v23
	v_and_b32_e32 v1, 0xf0f0f0f, v1
	v_dot4_i32_i8 v2, v21, v19, v2
	v_and_b32_e32 v21, 0xf0f0f0f, v24
	v_dot4_i32_i8 v0, v1, v6, v0
	s_waitcnt lgkmcnt(0)
	v_lshrrev_b32_e32 v1, 4, v55
	v_dot4_i32_i8 v2, v21, v20, v2
	v_and_b32_e32 v21, 0xf0f0f0f, v52
	v_and_b32_e32 v1, 0xf0f0f0f, v1
	v_dot4_i32_i8 v2, v21, v13, v2
	v_and_b32_e32 v21, 0xf0f0f0f, v53
	v_dot4_i32_i8 v0, v1, v7, v0
	v_lshrrev_b32_e32 v1, 4, v56
	v_dot4_i32_i8 v2, v21, v14, v2
	v_and_b32_e32 v21, 0xf0f0f0f, v55
	v_and_b32_e32 v1, 0xf0f0f0f, v1
	v_dot4_i32_i8 v2, v21, v15, v2
	v_and_b32_e32 v21, 0xf0f0f0f, v56
	v_dot4_i32_i8 v67, v1, v8, v0
	v_add_u32_e32 v0, 0x10a0, v110
	v_dot4_i32_i8 v49, v21, v16, v2
	ds_read2_b32 v[1:2], v0 offset1:1
	v_cvt_f32_ubyte2_e32 v24, v46
	s_waitcnt lgkmcnt(0)
	v_and_b32_e32 v0, 0xf0f0f0f, v1
	v_dot4_i32_i8 v0, v0, v17, 0
	v_and_b32_e32 v21, 0xf0f0f0f, v2
	v_dot4_i32_i8 v0, v21, v18, v0
	v_add_u32_e32 v21, 0x10a8, v110
	ds_read2_b32 v[52:53], v21 offset1:1
	s_waitcnt lgkmcnt(0)
	v_and_b32_e32 v21, 0xf0f0f0f, v52
	v_dot4_i32_i8 v0, v21, v19, v0
	v_and_b32_e32 v21, 0xf0f0f0f, v53
	v_dot4_i32_i8 v0, v21, v20, v0
	v_add_u32_e32 v21, 0x10b0, v110
	ds_read2_b32 v[55:56], v21 offset1:1
	;; [unrolled: 7-line block ×3, first 2 shown]
	s_waitcnt lgkmcnt(0)
	v_and_b32_e32 v21, 0xf0f0f0f, v57
	v_dot4_i32_i8 v0, v21, v15, v0
	v_and_b32_e32 v21, 0xf0f0f0f, v58
	v_dot4_i32_i8 v23, v21, v16, v0
	v_lshrrev_b32_e32 v0, 4, v1
	v_and_b32_e32 v0, 0xf0f0f0f, v0
	v_lshrrev_b32_e32 v1, 4, v2
	v_dot4_i32_i8 v0, v0, v9, 0
	v_and_b32_e32 v1, 0xf0f0f0f, v1
	v_dot4_i32_i8 v0, v1, v10, v0
	v_lshrrev_b32_e32 v1, 4, v52
	v_and_b32_e32 v1, 0xf0f0f0f, v1
	v_dot4_i32_i8 v0, v1, v11, v0
	v_lshrrev_b32_e32 v1, 4, v53
	;; [unrolled: 3-line block ×6, first 2 shown]
	v_and_b32_e32 v1, 0xf0f0f0f, v1
	v_dot4_i32_i8 v2, v1, v8, v0
	v_add_u32_e32 v0, 0x2120, v110
	ds_read2_b32 v[55:56], v0 offset1:1
	v_cvt_f32_ubyte3_e32 v1, v46
	v_mul_lo_u32 v2, v2, v125
	s_waitcnt lgkmcnt(0)
	v_and_b32_e32 v0, 0xf0f0f0f, v55
	v_dot4_i32_i8 v0, v0, v17, 0
	v_and_b32_e32 v21, 0xf0f0f0f, v56
	v_dot4_i32_i8 v0, v21, v18, v0
	v_add_u32_e32 v21, 0x2128, v110
	ds_read2_b32 v[57:58], v21 offset1:1
	v_lshrrev_b32_e32 v53, 4, v56
	v_and_b32_e32 v53, 0xf0f0f0f, v53
	v_cvt_f32_i32_e32 v2, v2
	s_waitcnt lgkmcnt(0)
	v_and_b32_e32 v21, 0xf0f0f0f, v57
	v_dot4_i32_i8 v0, v21, v19, v0
	v_and_b32_e32 v21, 0xf0f0f0f, v58
	v_dot4_i32_i8 v0, v21, v20, v0
	v_add_u32_e32 v21, 0x2130, v110
	ds_read2_b32 v[59:60], v21 offset1:1
	s_waitcnt lgkmcnt(0)
	v_and_b32_e32 v21, 0xf0f0f0f, v59
	v_dot4_i32_i8 v0, v21, v13, v0
	v_and_b32_e32 v21, 0xf0f0f0f, v60
	v_dot4_i32_i8 v0, v21, v14, v0
	v_add_u32_e32 v21, 0x2138, v110
	ds_read2_b32 v[21:22], v21 offset1:1
	s_waitcnt lgkmcnt(0)
	v_and_b32_e32 v46, 0xf0f0f0f, v21
	v_dot4_i32_i8 v0, v46, v15, v0
	v_and_b32_e32 v46, 0xf0f0f0f, v22
	v_dot4_i32_i8 v52, v46, v16, v0
	v_lshrrev_b32_e32 v46, 4, v55
	v_and_b32_e32 v46, 0xf0f0f0f, v46
	v_dot4_i32_i8 v46, v46, v9, 0
	v_dot4_i32_i8 v46, v53, v10, v46
	v_lshrrev_b32_e32 v53, 4, v57
	v_and_b32_e32 v53, 0xf0f0f0f, v53
	v_dot4_i32_i8 v46, v53, v11, v46
	v_lshrrev_b32_e32 v53, 4, v58
	v_and_b32_e32 v53, 0xf0f0f0f, v53
	;; [unrolled: 3-line block ×4, first 2 shown]
	v_lshrrev_b32_e32 v21, 4, v21
	v_dot4_i32_i8 v46, v53, v6, v46
	v_and_b32_e32 v21, 0xf0f0f0f, v21
	v_lshrrev_b32_e32 v22, 4, v22
	v_dot4_i32_i8 v21, v21, v7, v46
	v_and_b32_e32 v22, 0xf0f0f0f, v22
	v_dot4_i32_i8 v53, v22, v8, v21
	v_add_u32_e32 v21, 0x31a0, v110
	ds_read2_b32 v[21:22], v21 offset1:1
	v_cvt_f32_ubyte2_e32 v0, v48
	v_cvt_f32_ubyte3_e32 v46, v48
	v_fma_mix_f32 v0, v3, v0, 0 op_sel:[1,0,0] op_sel_hi:[1,0,0]
	v_fma_mix_f32 v0, v4, v46, v0 op_sel:[1,0,0] op_sel_hi:[1,0,0]
	s_waitcnt lgkmcnt(0)
	v_and_b32_e32 v48, 0xf0f0f0f, v21
	v_dot4_i32_i8 v17, v48, v17, 0
	v_and_b32_e32 v48, 0xf0f0f0f, v22
	v_dot4_i32_i8 v48, v48, v18, v17
	v_add_u32_e32 v17, 0x31a8, v110
	ds_read2_b32 v[17:18], v17 offset1:1
	v_lshrrev_b32_e32 v21, 4, v21
	v_and_b32_e32 v21, 0xf0f0f0f, v21
	v_dot4_i32_i8 v9, v21, v9, 0
	v_lshrrev_b32_e32 v21, 4, v22
	s_waitcnt lgkmcnt(0)
	v_and_b32_e32 v55, 0xf0f0f0f, v17
	v_dot4_i32_i8 v19, v55, v19, v48
	v_and_b32_e32 v48, 0xf0f0f0f, v18
	v_dot4_i32_i8 v48, v48, v20, v19
	v_add_u32_e32 v19, 0x31b0, v110
	ds_read2_b32 v[19:20], v19 offset1:1
	v_and_b32_e32 v21, 0xf0f0f0f, v21
	v_dot4_i32_i8 v9, v21, v10, v9
	v_lshrrev_b32_e32 v10, 4, v17
	v_and_b32_e32 v10, 0xf0f0f0f, v10
	s_waitcnt lgkmcnt(0)
	v_and_b32_e32 v55, 0xf0f0f0f, v19
	v_dot4_i32_i8 v13, v55, v13, v48
	v_and_b32_e32 v48, 0xf0f0f0f, v20
	v_dot4_i32_i8 v48, v48, v14, v13
	v_add_u32_e32 v13, 0x31b8, v110
	v_dot4_i32_i8 v9, v10, v11, v9
	v_lshrrev_b32_e32 v10, 4, v18
	ds_read2_b32 v[13:14], v13 offset1:1
	v_and_b32_e32 v10, 0xf0f0f0f, v10
	v_dot4_i32_i8 v9, v10, v12, v9
	v_lshrrev_b32_e32 v10, 4, v19
	v_and_b32_e32 v10, 0xf0f0f0f, v10
	v_dot4_i32_i8 v5, v10, v5, v9
	v_lshrrev_b32_e32 v9, 4, v20
	v_and_b32_e32 v9, 0xf0f0f0f, v9
	v_dot4_i32_i8 v5, v9, v6, v5
	s_waitcnt lgkmcnt(0)
	v_lshrrev_b32_e32 v6, 4, v13
	v_and_b32_e32 v6, 0xf0f0f0f, v6
	v_dot4_i32_i8 v5, v6, v7, v5
	v_lshrrev_b32_e32 v6, 4, v14
	v_bfe_u32 v7, v43, 16, 8
	v_and_b32_e32 v6, 0xf0f0f0f, v6
	v_mul_lo_u32 v7, v49, v7
	v_dot4_i32_i8 v5, v6, v8, v5
	v_mul_lo_u32 v8, v67, v127
	v_fma_mix_f32 v6, v3, v61, 0 op_sel:[1,0,0] op_sel_hi:[1,0,0]
	v_cvt_f32_i32_e32 v7, v7
	v_fma_mix_f32 v6, v4, v44, v6 op_sel:[1,0,0] op_sel_hi:[1,0,0]
	v_cvt_f32_i32_e32 v8, v8
	v_mul_f32_e32 v6, v6, v116
	v_fma_mix_f32 v7, v3, v7, 0 op_sel_hi:[1,0,0]
	v_and_b32_e32 v55, 0xf0f0f0f, v13
	v_fma_mix_f32 v7, v4, v8, v7 op_sel_hi:[1,0,0]
	v_bfe_u32 v8, v45, 16, 8
	v_mul_lo_u32 v8, v23, v8
	v_fma_mix_f32 v6, v7, v112, -v6 op_sel_hi:[0,1,0]
	v_fma_mix_f32 v7, v3, v24, 0 op_sel:[1,0,0] op_sel_hi:[1,0,0]
	v_fma_mix_f32 v1, v4, v1, v7 op_sel:[1,0,0] op_sel_hi:[1,0,0]
	v_cvt_f32_i32_e32 v8, v8
	v_mul_f32_e32 v1, v1, v117
	v_mul_f32_e32 v0, v0, v118
	v_dot4_i32_i8 v15, v55, v15, v48
	v_fma_mix_f32 v8, v3, v8, 0 op_sel_hi:[1,0,0]
	v_fma_mix_f32 v2, v4, v2, v8 op_sel_hi:[1,0,0]
	v_fma_mix_f32 v1, v2, v113, -v1 op_sel_hi:[0,1,0]
	v_add_f32_e32 v7, v124, v1
	v_bfe_u32 v1, v47, 16, 8
	v_mul_lo_u32 v1, v52, v1
	v_mul_lo_u32 v2, v53, v123
	v_and_b32_e32 v48, 0xf0f0f0f, v14
	v_dot4_i32_i8 v15, v48, v16, v15
	v_cvt_f32_i32_e32 v1, v1
	v_cvt_f32_i32_e32 v2, v2
	v_cvt_f32_ubyte2_e32 v16, v42
	v_add_f32_e32 v6, v126, v6
	v_fma_mix_f32 v1, v3, v1, 0 op_sel_hi:[1,0,0]
	v_fma_mix_f32 v1, v4, v2, v1 op_sel_hi:[1,0,0]
	v_fma_mix_f32 v0, v1, v114, -v0 op_sel_hi:[0,1,0]
	v_add_f32_e32 v8, v122, v0
	v_bfe_u32 v0, v41, 16, 8
	v_mul_lo_u32 v0, v15, v0
	v_mul_lo_u32 v1, v5, v121
	v_fma_mix_f32 v2, v3, v16, 0 op_sel:[1,0,0] op_sel_hi:[1,0,0]
	v_cvt_f32_i32_e32 v0, v0
	v_cvt_f32_i32_e32 v1, v1
	s_barrier
	v_fma_mix_f32 v0, v3, v0, 0 op_sel_hi:[1,0,0]
	v_fma_mix_f32 v0, v4, v1, v0 op_sel_hi:[1,0,0]
	v_cvt_f32_ubyte3_e32 v1, v42
	v_fma_mix_f32 v1, v4, v1, v2 op_sel:[1,0,0] op_sel_hi:[1,0,0]
	v_mul_f32_e32 v1, v1, v119
	v_fma_mix_f32 v0, v0, v115, -v1 op_sel_hi:[0,1,0]
	v_add_f32_e32 v5, v120, v0
	s_cbranch_scc1 .LBB232_5
; %bb.12:                               ;   in Loop: Header=BB232_6 Depth=1
	v_cmp_gt_i32_e32 vcc, s10, v54
	s_and_b64 s[24:25], s[2:3], vcc
	s_and_saveexec_b64 s[4:5], s[24:25]
	s_cbranch_execz .LBB232_14
; %bb.13:                               ;   in Loop: Header=BB232_6 Depth=1
	buffer_load_dword v1, off, s[28:31], 0 offset:48 ; 4-byte Folded Reload
	buffer_load_dword v2, off, s[28:31], 0 offset:52 ; 4-byte Folded Reload
	v_add_u32_e32 v0, v69, v54
	s_waitcnt vmcnt(0)
	v_mad_i64_i32 v[0:1], s[24:25], v0, 36, v[1:2]
	global_load_dword v0, v[0:1], off offset:4
	s_nop 0
	buffer_load_dword v1, off, s[28:31], 0 offset:56 ; 4-byte Folded Reload
	s_waitcnt vmcnt(0)
	ds_write_b32 v1, v0
.LBB232_14:                             ;   in Loop: Header=BB232_6 Depth=1
	s_or_b64 exec, exec, s[4:5]
	s_and_saveexec_b64 s[4:5], s[0:1]
	s_cbranch_execz .LBB232_4
; %bb.15:                               ;   in Loop: Header=BB232_6 Depth=1
	v_add_u32_e32 v0, 4, v111
	v_cmp_gt_i32_e32 vcc, s10, v0
	s_and_b64 s[24:25], s[2:3], vcc
	s_and_b64 exec, exec, s[24:25]
	s_cbranch_execz .LBB232_4
; %bb.16:                               ;   in Loop: Header=BB232_6 Depth=1
	v_ashrrev_i32_e32 v0, 31, v111
	v_ashrrev_i32_e32 v1, 31, v69
	v_add_co_u32_e32 v2, vcc, v69, v111
	v_addc_co_u32_e32 v3, vcc, v1, v0, vcc
	v_mad_u64_u32 v[0:1], s[24:25], v2, 36, s[6:7]
	v_mad_i32_i24 v1, v3, 36, v1
	global_load_dword v0, v[0:1], off offset:144
	s_nop 0
	buffer_load_dword v1, off, s[28:31], 0 offset:60 ; 4-byte Folded Reload
	s_waitcnt vmcnt(0)
	v_add_u32_e32 v1, v1, v68
	ds_write_b32 v1, v0
	s_branch .LBB232_4
.LBB232_17:
	buffer_load_dword v111, off, s[28:31], 0 offset:64 ; 4-byte Folded Reload
	buffer_load_dword v45, off, s[28:31], 0 offset:68 ; 4-byte Folded Reload
.LBB232_18:
	s_mul_i32 s0, s14, s11
	s_waitcnt vmcnt(0)
	v_cmp_gt_i32_e32 vcc, s0, v45
	s_and_saveexec_b64 s[0:1], vcc
	s_cbranch_execz .LBB232_27
; %bb.19:
	v_mul_lo_u32 v0, v45, s13
	v_add_u32_e32 v1, s15, v111
	v_cmp_gt_u32_e32 vcc, s13, v1
	s_and_saveexec_b64 s[0:1], vcc
	s_cbranch_execz .LBB232_21
; %bb.20:
	v_bfe_u32 v2, v6, 16, 1
	s_movk_i32 s2, 0x7fff
	v_add3_u32 v2, v6, v2, s2
	v_cmp_o_f32_e32 vcc, v6, v6
	v_mov_b32_e32 v3, 0x7fc0
	v_cndmask_b32_sdwa v4, v3, v2, vcc dst_sel:DWORD dst_unused:UNUSED_PAD src0_sel:DWORD src1_sel:WORD_1
	v_add_u32_e32 v2, v0, v1
	v_mov_b32_e32 v3, 0
	v_lshlrev_b64 v[2:3], 1, v[2:3]
	v_mov_b32_e32 v6, s17
	v_add_co_u32_e32 v2, vcc, s16, v2
	v_addc_co_u32_e32 v3, vcc, v6, v3, vcc
	global_store_short v[2:3], v4, off
.LBB232_21:
	s_or_b64 exec, exec, s[0:1]
	v_add_u32_e32 v2, 32, v1
	v_cmp_gt_u32_e32 vcc, s13, v2
	s_and_saveexec_b64 s[0:1], vcc
	s_cbranch_execz .LBB232_23
; %bb.22:
	v_bfe_u32 v3, v7, 16, 1
	s_movk_i32 s2, 0x7fff
	v_add3_u32 v3, v7, v3, s2
	v_cmp_o_f32_e32 vcc, v7, v7
	v_mov_b32_e32 v4, 0x7fc0
	v_cndmask_b32_sdwa v4, v4, v3, vcc dst_sel:DWORD dst_unused:UNUSED_PAD src0_sel:DWORD src1_sel:WORD_1
	v_add_u32_e32 v2, v0, v2
	v_mov_b32_e32 v3, 0
	v_lshlrev_b64 v[2:3], 1, v[2:3]
	v_mov_b32_e32 v6, s17
	v_add_co_u32_e32 v2, vcc, s16, v2
	v_addc_co_u32_e32 v3, vcc, v6, v3, vcc
	global_store_short v[2:3], v4, off
.LBB232_23:
	s_or_b64 exec, exec, s[0:1]
	;; [unrolled: 20-line block ×3, first 2 shown]
	v_add_u32_e32 v1, 0x60, v1
	v_cmp_gt_u32_e32 vcc, s13, v1
	s_and_b64 exec, exec, vcc
	s_cbranch_execz .LBB232_27
; %bb.26:
	v_add_u32_e32 v0, v0, v1
	v_mov_b32_e32 v1, 0
	v_bfe_u32 v2, v5, 16, 1
	s_movk_i32 s0, 0x7fff
	v_lshlrev_b64 v[0:1], 1, v[0:1]
	v_add3_u32 v2, v5, v2, s0
	v_cmp_o_f32_e32 vcc, v5, v5
	v_mov_b32_e32 v3, 0x7fc0
	v_cndmask_b32_sdwa v2, v3, v2, vcc dst_sel:DWORD dst_unused:UNUSED_PAD src0_sel:DWORD src1_sel:WORD_1
	v_mov_b32_e32 v3, s17
	v_add_co_u32_e32 v0, vcc, s16, v0
	v_addc_co_u32_e32 v1, vcc, v3, v1, vcc
	global_store_short v[0:1], v2, off
.LBB232_27:
	s_endpgm
	.section	.rodata,"a",@progbits
	.p2align	6, 0x0
	.amdhsa_kernel _ZL8moe_q4_KIN3c108BFloat16ELb1EEvPKvS3_PT_PKiS7_S7_iiiiiii
		.amdhsa_group_segment_fixed_size 20688
		.amdhsa_private_segment_fixed_size 76
		.amdhsa_kernarg_size 76
		.amdhsa_user_sgpr_count 6
		.amdhsa_user_sgpr_private_segment_buffer 1
		.amdhsa_user_sgpr_dispatch_ptr 0
		.amdhsa_user_sgpr_queue_ptr 0
		.amdhsa_user_sgpr_kernarg_segment_ptr 1
		.amdhsa_user_sgpr_dispatch_id 0
		.amdhsa_user_sgpr_flat_scratch_init 0
		.amdhsa_user_sgpr_private_segment_size 0
		.amdhsa_uses_dynamic_stack 0
		.amdhsa_system_sgpr_private_segment_wavefront_offset 1
		.amdhsa_system_sgpr_workgroup_id_x 1
		.amdhsa_system_sgpr_workgroup_id_y 1
		.amdhsa_system_sgpr_workgroup_id_z 0
		.amdhsa_system_sgpr_workgroup_info 0
		.amdhsa_system_vgpr_workitem_id 1
		.amdhsa_next_free_vgpr 128
		.amdhsa_next_free_sgpr 98
		.amdhsa_reserve_vcc 1
		.amdhsa_reserve_flat_scratch 0
		.amdhsa_float_round_mode_32 0
		.amdhsa_float_round_mode_16_64 0
		.amdhsa_float_denorm_mode_32 3
		.amdhsa_float_denorm_mode_16_64 3
		.amdhsa_dx10_clamp 1
		.amdhsa_ieee_mode 1
		.amdhsa_fp16_overflow 0
		.amdhsa_exception_fp_ieee_invalid_op 0
		.amdhsa_exception_fp_denorm_src 0
		.amdhsa_exception_fp_ieee_div_zero 0
		.amdhsa_exception_fp_ieee_overflow 0
		.amdhsa_exception_fp_ieee_underflow 0
		.amdhsa_exception_fp_ieee_inexact 0
		.amdhsa_exception_int_div_zero 0
	.end_amdhsa_kernel
	.section	.text._ZL8moe_q4_KIN3c108BFloat16ELb1EEvPKvS3_PT_PKiS7_S7_iiiiiii,"axG",@progbits,_ZL8moe_q4_KIN3c108BFloat16ELb1EEvPKvS3_PT_PKiS7_S7_iiiiiii,comdat
.Lfunc_end232:
	.size	_ZL8moe_q4_KIN3c108BFloat16ELb1EEvPKvS3_PT_PKiS7_S7_iiiiiii, .Lfunc_end232-_ZL8moe_q4_KIN3c108BFloat16ELb1EEvPKvS3_PT_PKiS7_S7_iiiiiii
                                        ; -- End function
	.set _ZL8moe_q4_KIN3c108BFloat16ELb1EEvPKvS3_PT_PKiS7_S7_iiiiiii.num_vgpr, 128
	.set _ZL8moe_q4_KIN3c108BFloat16ELb1EEvPKvS3_PT_PKiS7_S7_iiiiiii.num_agpr, 0
	.set _ZL8moe_q4_KIN3c108BFloat16ELb1EEvPKvS3_PT_PKiS7_S7_iiiiiii.numbered_sgpr, 32
	.set _ZL8moe_q4_KIN3c108BFloat16ELb1EEvPKvS3_PT_PKiS7_S7_iiiiiii.num_named_barrier, 0
	.set _ZL8moe_q4_KIN3c108BFloat16ELb1EEvPKvS3_PT_PKiS7_S7_iiiiiii.private_seg_size, 76
	.set _ZL8moe_q4_KIN3c108BFloat16ELb1EEvPKvS3_PT_PKiS7_S7_iiiiiii.uses_vcc, 1
	.set _ZL8moe_q4_KIN3c108BFloat16ELb1EEvPKvS3_PT_PKiS7_S7_iiiiiii.uses_flat_scratch, 0
	.set _ZL8moe_q4_KIN3c108BFloat16ELb1EEvPKvS3_PT_PKiS7_S7_iiiiiii.has_dyn_sized_stack, 0
	.set _ZL8moe_q4_KIN3c108BFloat16ELb1EEvPKvS3_PT_PKiS7_S7_iiiiiii.has_recursion, 0
	.set _ZL8moe_q4_KIN3c108BFloat16ELb1EEvPKvS3_PT_PKiS7_S7_iiiiiii.has_indirect_call, 0
	.section	.AMDGPU.csdata,"",@progbits
; Kernel info:
; codeLenInByte = 11784
; TotalNumSgprs: 36
; NumVgprs: 128
; ScratchSize: 76
; MemoryBound: 0
; FloatMode: 240
; IeeeMode: 1
; LDSByteSize: 20688 bytes/workgroup (compile time only)
; SGPRBlocks: 12
; VGPRBlocks: 31
; NumSGPRsForWavesPerEU: 102
; NumVGPRsForWavesPerEU: 128
; Occupancy: 2
; WaveLimiterHint : 1
; COMPUTE_PGM_RSRC2:SCRATCH_EN: 1
; COMPUTE_PGM_RSRC2:USER_SGPR: 6
; COMPUTE_PGM_RSRC2:TRAP_HANDLER: 0
; COMPUTE_PGM_RSRC2:TGID_X_EN: 1
; COMPUTE_PGM_RSRC2:TGID_Y_EN: 1
; COMPUTE_PGM_RSRC2:TGID_Z_EN: 0
; COMPUTE_PGM_RSRC2:TIDIG_COMP_CNT: 1
	.section	.text._ZL8moe_q5_KIN3c108BFloat16ELb0EEvPKvS3_PT_PKiS7_S7_iiiiiii,"axG",@progbits,_ZL8moe_q5_KIN3c108BFloat16ELb0EEvPKvS3_PT_PKiS7_S7_iiiiiii,comdat
	.globl	_ZL8moe_q5_KIN3c108BFloat16ELb0EEvPKvS3_PT_PKiS7_S7_iiiiiii ; -- Begin function _ZL8moe_q5_KIN3c108BFloat16ELb0EEvPKvS3_PT_PKiS7_S7_iiiiiii
	.p2align	8
	.type	_ZL8moe_q5_KIN3c108BFloat16ELb0EEvPKvS3_PT_PKiS7_S7_iiiiiii,@function
_ZL8moe_q5_KIN3c108BFloat16ELb0EEvPKvS3_PT_PKiS7_S7_iiiiiii: ; @_ZL8moe_q5_KIN3c108BFloat16ELb0EEvPKvS3_PT_PKiS7_S7_iiiiiii
; %bb.0:
	s_load_dwordx4 s[0:3], s[4:5], 0x18
	s_mov_b32 s8, s7
	s_mov_b32 s9, 0
	s_lshl_b64 s[10:11], s[8:9], 2
	s_waitcnt lgkmcnt(0)
	s_add_u32 s2, s2, s10
	s_addc_u32 s3, s3, s11
	s_load_dword s2, s[2:3], 0x0
	s_waitcnt lgkmcnt(0)
	s_cmpk_gt_u32 s2, 0xff
	s_cbranch_scc1 .LBB233_26
; %bb.1:
	s_load_dwordx2 s[10:11], s[4:5], 0x28
	s_lshl_b32 s3, s8, 3
	s_waitcnt lgkmcnt(0)
	s_load_dword s7, s[10:11], 0x0
	s_waitcnt lgkmcnt(0)
	s_cmp_gt_u32 s3, s7
	s_cbranch_scc1 .LBB233_26
; %bb.2:
	v_add_u32_e32 v8, s3, v1
	v_mov_b32_e32 v9, 0
	v_lshlrev_b64 v[2:3], 2, v[8:9]
	v_mov_b32_e32 v4, s1
	v_add_co_u32_e32 v2, vcc, s0, v2
	v_addc_co_u32_e32 v3, vcc, v4, v3, vcc
	global_load_dword v10, v[2:3], off
	s_load_dwordx2 s[18:19], s[4:5], 0x30
	s_load_dwordx2 s[16:17], s[4:5], 0x10
	s_load_dwordx4 s[8:11], s[4:5], 0x3c
	s_lshl_b32 s22, s6, 7
	v_mov_b32_e32 v126, v9
	s_waitcnt lgkmcnt(0)
	s_cmpk_lt_i32 s19, 0x100
	v_mov_b32_e32 v127, v9
	v_mov_b32_e32 v82, v9
	s_cbranch_scc1 .LBB233_17
; %bb.3:
	s_ashr_i32 s0, s19, 31
	s_lshr_b32 s0, s0, 24
	s_add_i32 s0, s19, s0
	s_ashr_i32 s23, s0, 8
	s_ashr_i32 s0, s9, 31
	s_lshr_b32 s0, s0, 27
	s_add_i32 s0, s9, s0
	v_and_b32_e32 v4, 7, v0
	s_ashr_i32 s9, s0, 5
	v_lshlrev_b32_e32 v9, 3, v0
	v_lshlrev_b32_e32 v4, 2, v4
	s_movk_i32 s0, 0xc0
	v_mul_u32_u24_e32 v7, 0x41, v1
	v_and_or_b32 v4, v9, s0, v4
	s_lshl_b32 s0, s23, 3
	v_lshl_add_u32 v13, v7, 2, v4
	v_mov_b32_e32 v4, s0
	v_mad_i32_i24 v40, s23, v1, v4
	v_add_u32_e32 v44, s0, v40
	v_add_u32_e32 v48, s0, v44
	v_add_u32_e32 v52, s0, v48
	v_add_u32_e32 v56, s0, v52
	v_add_u32_e32 v60, s0, v56
	v_lshl_add_u32 v4, v1, 5, v0
	v_add_u32_e32 v64, s0, v60
	v_and_b32_e32 v9, 0x7f, v4
	v_lshrrev_b32_e32 v4, 3, v4
	s_mul_i32 s18, s2, s18
	v_add_u32_e32 v68, s0, v64
	v_mul_i32_i24_e32 v7, s23, v9
	v_and_b32_e32 v4, 12, v4
	v_lshlrev_b32_e32 v9, 2, v9
	s_mov_b32 s2, 0x8e40
	v_and_b32_e32 v18, 3, v0
	v_add_u32_e32 v72, s0, v68
	v_add3_u32 v14, v9, v4, s2
	v_add_u32_e32 v4, 0xfe, v18
	v_add_u32_e32 v76, s0, v72
	v_and_b32_e32 v4, 0xff, v4
	v_cmp_gt_u32_e32 vcc, 2, v18
	v_lshrrev_b32_e32 v6, 2, v0
	v_add_u32_e32 v80, s0, v76
	v_lshlrev_b32_e32 v9, 3, v1
	v_cndmask_b32_e32 v16, v4, v18, vcc
	v_cmp_ne_u32_e32 vcc, 0, v18
	v_and_b32_e32 v11, 6, v6
	v_add_u32_e32 v85, s0, v80
	v_add_u32_e32 v17, v6, v9
	v_addc_co_u32_e32 v4, vcc, 0, v16, vcc
	v_add_u16_e32 v6, v6, v9
	v_add_u32_e32 v89, s0, v85
	v_cmp_lt_u32_e32 vcc, 1, v18
	v_and_b32_e32 v19, 0x7f, v17
	v_lshlrev_b32_e32 v18, 2, v18
	v_lshrrev_b16_e32 v6, 1, v6
	v_add_u32_e32 v93, s0, v89
	v_lshl_or_b32 v17, v19, 4, v18
	v_and_b32_e32 v6, 60, v6
	s_mov_b32 s0, 0x8200
	s_load_dwordx4 s[12:15], s[4:5], 0x0
	v_add3_u32 v17, v17, v6, s0
	v_xor_b32_e32 v6, 64, v19
	s_abs_i32 s5, s11
	v_mul_i32_i24_e32 v103, s23, v6
	v_lshl_or_b32 v9, v6, 4, v18
	v_lshrrev_b32_e32 v6, 1, v6
	v_cvt_f32_u32_e32 v29, s5
	v_and_b32_e32 v6, 60, v6
	v_add3_u32 v18, v9, v6, s0
	v_mov_b32_e32 v9, 0x8a40
	v_lshlrev_b32_e32 v5, 2, v0
	v_and_b32_e32 v6, 31, v0
	v_lshl_add_u32 v20, v1, 7, v9
	v_lshrrev_b32_e32 v23, 3, v0
	v_lshrrev_b32_e32 v8, 5, v0
	v_lshl_add_u32 v21, v6, 2, v20
	v_add_u32_e32 v6, v23, v5
	v_mov_b32_e32 v9, 0x8200
	v_rcp_iflag_f32_e32 v30, v29
	v_lshl_add_u32 v24, v6, 2, v9
	v_lshlrev_b32_e32 v6, 2, v8
	v_add3_u32 v26, v5, v6, s2
	v_add_u32_e32 v6, 32, v0
	v_lshrrev_b32_e32 v27, 3, v6
	v_lshl_add_u32 v6, v6, 2, v27
	v_mul_f32_e32 v30, 0x4f7ffffe, v30
	v_lshl_add_u32 v28, v6, 2, v9
	v_and_b32_e32 v6, 60, v27
	v_cvt_u32_f32_e32 v32, v30
	v_add3_u32 v29, v5, v6, s2
	v_add_u32_e32 v6, 64, v0
	v_lshrrev_b32_e32 v31, 3, v6
	v_lshl_add_u32 v6, v6, 2, v31
	s_sub_i32 s3, 0, s5
	v_lshl_add_u32 v30, v6, 2, v9
	v_mul_lo_u32 v6, s3, v32
	s_waitcnt vmcnt(0)
	v_sub_u32_e32 v36, 0, v10
	v_max_i32_e32 v36, v10, v36
	v_add_u32_e32 v33, 0x60, v0
	v_mul_hi_u32 v6, v32, v6
	v_lshrrev_b32_e32 v34, 3, v33
	v_and_b32_e32 v31, 60, v31
	v_add3_u32 v31, v5, v31, s2
	v_add_u32_e32 v6, v32, v6
	v_mul_hi_u32 v6, v36, v6
	v_lshl_add_u32 v32, v33, 2, v34
	v_lshl_add_u32 v32, v32, 2, v9
	v_and_b32_e32 v9, 60, v34
	v_mul_lo_u32 v34, v6, s5
	v_add3_u32 v33, v5, v9, s2
	v_and_b32_e32 v2, 0x7c, v5
	v_and_b32_e32 v3, 28, v5
	v_sub_u32_e32 v9, v36, v34
	v_add_u32_e32 v34, 1, v6
	v_cmp_le_u32_e64 s[2:3], s5, v9
	v_cndmask_b32_e64 v6, v6, v34, s[2:3]
	v_subrev_u32_e32 v34, s5, v9
	v_cndmask_b32_e64 v9, v9, v34, s[2:3]
	v_and_b32_e32 v15, 4, v5
	v_mul_i32_i24_e32 v101, s23, v19
	v_add_u32_e32 v19, 0x9050, v5
	v_xor_b32_e32 v5, s11, v10
	v_add_u32_e32 v34, 1, v6
	v_cmp_le_u32_e64 s[2:3], s5, v9
	s_mul_i32 s4, s23, s22
	v_ashrrev_i32_e32 v5, 31, v5
	v_cndmask_b32_e64 v6, v6, v34, s[2:3]
	v_xor_b32_e32 v6, v6, v5
	s_mul_i32 s20, s4, 0xb0
	v_sub_u32_e32 v34, v6, v5
	s_mul_hi_i32 s21, s4, 0xb0
	v_mov_b32_e32 v5, s20
	s_movk_i32 s25, 0xb0
	v_mov_b32_e32 v6, s21
	v_mad_u64_u32 v[8:9], s[4:5], v8, s25, v[5:6]
	v_mul_i32_i24_e32 v35, s23, v1
	s_waitcnt lgkmcnt(0)
	v_mov_b32_e32 v36, s15
	v_add_co_u32_e64 v5, s[4:5], s14, v3
	v_addc_co_u32_e64 v6, s[4:5], 0, v36, s[4:5]
	v_mad_u64_u32 v[38:39], s[4:5], v35, s25, v[8:9]
	v_mov_b32_e32 v41, s13
	v_mov_b32_e32 v45, s13
	v_add_co_u32_e64 v36, s[4:5], v38, v3
	v_addc_co_u32_e64 v37, s[4:5], 0, v39, s[4:5]
	v_add_co_u32_e64 v36, s[4:5], s12, v36
	v_addc_co_u32_e64 v37, s[4:5], v41, v37, s[4:5]
	;; [unrolled: 2-line block ×5, first 2 shown]
	v_mad_u64_u32 v[42:43], s[4:5], v40, s25, v[8:9]
	v_add_co_u32_e64 v38, s[4:5], 48, v38
	v_addc_co_u32_e64 v39, s[4:5], 0, v39, s[4:5]
	v_add_co_u32_e64 v40, s[4:5], v42, v3
	v_addc_co_u32_e64 v41, s[4:5], 0, v43, s[4:5]
	;; [unrolled: 2-line block ×6, first 2 shown]
	v_mad_u64_u32 v[46:47], s[4:5], v44, s25, v[8:9]
	v_add_co_u32_e64 v42, s[4:5], 48, v42
	v_addc_co_u32_e64 v43, s[4:5], 0, v43, s[4:5]
	v_add_co_u32_e64 v44, s[4:5], v46, v3
	v_addc_co_u32_e64 v45, s[4:5], 0, v47, s[4:5]
	v_mov_b32_e32 v49, s13
	v_add_co_u32_e64 v44, s[4:5], s12, v44
	v_addc_co_u32_e64 v45, s[4:5], v49, v45, s[4:5]
	v_add_co_u32_e64 v44, s[4:5], 16, v44
	v_addc_co_u32_e64 v45, s[4:5], 0, v45, s[4:5]
	v_add_co_u32_e64 v46, s[4:5], v46, v2
	v_addc_co_u32_e64 v47, s[4:5], 0, v47, s[4:5]
	v_add_co_u32_e64 v46, s[4:5], s12, v46
	v_addc_co_u32_e64 v47, s[4:5], v49, v47, s[4:5]
	v_mad_u64_u32 v[50:51], s[4:5], v48, s25, v[8:9]
	v_add_co_u32_e64 v46, s[4:5], 48, v46
	v_addc_co_u32_e64 v47, s[4:5], 0, v47, s[4:5]
	v_add_co_u32_e64 v48, s[4:5], v50, v3
	v_addc_co_u32_e64 v49, s[4:5], 0, v51, s[4:5]
	v_mov_b32_e32 v53, s13
	v_add_co_u32_e64 v48, s[4:5], s12, v48
	v_addc_co_u32_e64 v49, s[4:5], v53, v49, s[4:5]
	v_add_co_u32_e64 v48, s[4:5], 16, v48
	v_addc_co_u32_e64 v49, s[4:5], 0, v49, s[4:5]
	v_add_co_u32_e64 v50, s[4:5], v50, v2
	v_addc_co_u32_e64 v51, s[4:5], 0, v51, s[4:5]
	v_add_co_u32_e64 v50, s[4:5], s12, v50
	v_addc_co_u32_e64 v51, s[4:5], v53, v51, s[4:5]
	;; [unrolled: 14-line block ×13, first 2 shown]
	s_mul_i32 s4, s23, 0x78
	v_mov_b32_e32 v97, s4
	v_lshlrev_b32_e32 v22, 4, v1
	v_mad_i32_i24 v1, s23, v1, v97
	v_mad_u64_u32 v[8:9], s[4:5], v1, s25, v[8:9]
	v_add_co_u32_e64 v95, s[4:5], 48, v95
	v_addc_co_u32_e64 v96, s[4:5], 0, v96, s[4:5]
	v_add_co_u32_e64 v1, s[4:5], v8, v3
	v_addc_co_u32_e64 v3, s[4:5], 0, v9, s[4:5]
	v_mov_b32_e32 v97, s13
	v_add_co_u32_e64 v1, s[4:5], s12, v1
	v_addc_co_u32_e64 v3, s[4:5], v97, v3, s[4:5]
	v_add_co_u32_e64 v97, s[4:5], 16, v1
	v_addc_co_u32_e64 v98, s[4:5], 0, v3, s[4:5]
	;; [unrolled: 2-line block ×3, first 2 shown]
	v_mov_b32_e32 v3, s13
	v_add_co_u32_e64 v1, s[4:5], s12, v1
	v_addc_co_u32_e64 v2, s[4:5], v3, v2, s[4:5]
	v_cmp_gt_u32_e64 s[0:1], 4, v0
	v_cmp_gt_i32_e64 s[2:3], s8, v34
	v_add_co_u32_e64 v99, s[4:5], 48, v1
	s_ashr_i32 s24, s18, 31
	s_and_b64 s[6:7], s[0:1], s[2:3]
	v_addc_co_u32_e64 v100, s[4:5], 0, v2, s[4:5]
	s_add_u32 s4, s12, s20
	s_addc_u32 s5, s13, s21
	v_mov_b32_e32 v1, s4
	v_mov_b32_e32 v2, s5
	v_mad_u64_u32 v[101:102], s[4:5], v101, s25, 0
	v_mad_u64_u32 v[7:8], s[4:5], v7, s25, v[1:2]
	v_cndmask_b32_e64 v3, 0, 1, vcc
	v_add_co_u32_e64 v2, s[4:5], s20, v101
	v_lshlrev_b32_e32 v3, 2, v3
	v_mov_b32_e32 v1, s21
	v_or_b32_e32 v9, v2, v3
	v_cndmask_b32_e32 v15, 0, v15, vcc
	v_addc_co_u32_e64 v1, s[4:5], v1, v102, s[4:5]
	v_mov_b32_e32 v101, s13
	v_add_co_u32_e32 v9, vcc, s12, v9
	v_addc_co_u32_e32 v102, vcc, v101, v1, vcc
	v_add_co_u32_e32 v101, vcc, 4, v9
	v_addc_co_u32_e32 v102, vcc, 0, v102, vcc
	v_lshlrev_b32_e32 v4, 2, v4
	v_add_co_u32_e32 v2, vcc, v2, v4
	v_addc_co_u32_e32 v1, vcc, 0, v1, vcc
	v_mov_b32_e32 v9, s13
	v_add_co_u32_e32 v104, vcc, s12, v2
	v_addc_co_u32_e32 v9, vcc, v9, v1, vcc
	v_mad_u64_u32 v[1:2], s[4:5], v103, s25, 0
	v_add_co_u32_e32 v103, vcc, 4, v104
	v_addc_co_u32_e32 v104, vcc, 0, v9, vcc
	v_mov_b32_e32 v9, s21
	v_add_co_u32_e32 v1, vcc, s20, v1
	v_addc_co_u32_e32 v2, vcc, v9, v2, vcc
	v_or_b32_e32 v3, v1, v3
	v_mov_b32_e32 v9, s13
	v_add_co_u32_e32 v3, vcc, s12, v3
	v_addc_co_u32_e32 v9, vcc, v9, v2, vcc
	v_add_co_u32_e32 v105, vcc, 4, v3
	v_addc_co_u32_e32 v106, vcc, 0, v9, vcc
	v_add_co_u32_e32 v1, vcc, v1, v4
	v_mul_lo_u32 v34, v34, s9
	v_addc_co_u32_e32 v2, vcc, 0, v2, vcc
	v_mov_b32_e32 v3, s13
	v_add_co_u32_e32 v1, vcc, s12, v1
	v_addc_co_u32_e32 v2, vcc, v3, v2, vcc
	v_add_co_u32_e32 v107, vcc, 4, v1
	v_mov_b32_e32 v82, 0
	v_or_b32_e32 v12, 1, v11
	v_lshlrev_b32_e32 v16, 1, v16
	v_mul_u32_u24_e32 v25, 0x104, v0
	v_ashrrev_i32_e32 v35, 31, v34
	v_addc_co_u32_e32 v108, vcc, 0, v2, vcc
	s_movk_i32 s12, 0x80
	s_mov_b32 s13, 0x10101010
	s_mov_b32 s20, 0x30303030
	v_mov_b32_e32 v109, s24
	v_add_u32_e32 v110, 0x800, v13
	v_add_u32_e32 v111, 0x1000, v13
	;; [unrolled: 1-line block ×15, first 2 shown]
	v_mov_b32_e32 v125, v0
	v_mov_b32_e32 v127, 0
	;; [unrolled: 1-line block ×4, first 2 shown]
	s_branch .LBB233_6
.LBB233_4:                              ;   in Loop: Header=BB233_6 Depth=1
	s_or_b64 exec, exec, s[4:5]
	s_waitcnt lgkmcnt(0)
	s_barrier
	ds_read_b128 v[129:132], v20
	ds_read_b128 v[133:136], v20 offset:16
	ds_read2_b32 v[145:146], v25 offset0:32 offset1:33
	ds_read_b128 v[137:140], v20 offset:32
	ds_read_b128 v[141:144], v20 offset:48
	ds_read_b32 v128, v26
	ds_read_b128 v[1:4], v22 offset:36944
	ds_read2_b32 v[147:148], v25 offset0:34 offset1:35
	s_waitcnt lgkmcnt(5)
	v_dot4_i32_i8 v145, v145, v129, 0
	v_dot4_i32_i8 v153, v146, v130, v145
	ds_read2_b32 v[145:146], v25 offset0:36 offset1:37
	ds_read2_b32 v[149:150], v25 offset0:38 offset1:39
	;; [unrolled: 1-line block ×3, first 2 shown]
	v_add_u32_e32 v157, 0x2110, v25
	s_waitcnt lgkmcnt(3)
	v_dot4_i32_i8 v147, v147, v131, v153
	v_dot4_i32_i8 v153, v148, v132, v147
	s_waitcnt lgkmcnt(2)
	v_dot4_i32_i8 v145, v145, v133, v153
	v_dot4_i32_i8 v145, v146, v134, v145
	;; [unrolled: 3-line block ×3, first 2 shown]
	ds_read2_b32 v[145:146], v25 offset0:42 offset1:43
	s_waitcnt lgkmcnt(1)
	v_dot4_i32_i8 v149, v151, v137, 0
	ds_read2_b32 v[147:148], v24 offset0:1 offset1:3
	v_dot4_i32_i8 v155, v152, v138, v149
	ds_read2_b32 v[149:150], v25 offset0:44 offset1:45
	ds_read2_b32 v[151:152], v25 offset0:46 offset1:47
	;; [unrolled: 1-line block ×3, first 2 shown]
	s_waitcnt lgkmcnt(4)
	v_dot4_i32_i8 v145, v145, v139, v155
	v_dot4_i32_i8 v145, v146, v140, v145
	s_waitcnt lgkmcnt(2)
	v_dot4_i32_i8 v145, v149, v141, v145
	v_dot4_i32_i8 v145, v150, v142, v145
	;; [unrolled: 3-line block ×3, first 2 shown]
	v_add_u32_e32 v145, 0x2100, v25
	ds_read2_b32 v[145:146], v145 offset1:1
	ds_read2_b32 v[149:150], v25 offset0:58 offset1:59
	ds_read2_b32 v[151:152], v25 offset0:60 offset1:61
	;; [unrolled: 1-line block ×3, first 2 shown]
	ds_read_b32 v172, v29 offset:128
	ds_read_b32 v173, v31 offset:256
	;; [unrolled: 1-line block ×3, first 2 shown]
	s_waitcnt lgkmcnt(6)
	v_dot4_i32_i8 v145, v145, v129, 0
	v_dot4_i32_i8 v163, v146, v130, v145
	v_add_u32_e32 v145, 0x2108, v25
	ds_read2_b32 v[145:146], v145 offset1:1
	v_add_u32_e32 v159, 0x2118, v25
	v_add_u32_e32 v161, 0x2120, v25
	ds_read2_b32 v[157:158], v157 offset1:1
	ds_read2_b32 v[159:160], v159 offset1:1
	;; [unrolled: 1-line block ×3, first 2 shown]
	v_cvt_f32_ubyte0_e32 v168, v148
	s_waitcnt lgkmcnt(3)
	v_dot4_i32_i8 v145, v145, v131, v163
	v_dot4_i32_i8 v163, v146, v132, v145
	s_waitcnt lgkmcnt(2)
	v_dot4_i32_i8 v157, v157, v133, v163
	v_dot4_i32_i8 v157, v158, v134, v157
	;; [unrolled: 3-line block ×4, first 2 shown]
	v_add_u32_e32 v157, 0x2128, v25
	ds_read2_b32 v[157:158], v157 offset1:1
	v_add_u32_e32 v159, 0x2130, v25
	v_add_u32_e32 v161, 0x2138, v25
	;; [unrolled: 1-line block ×3, first 2 shown]
	ds_read2_b32 v[145:146], v28 offset0:1 offset1:3
	ds_read2_b32 v[159:160], v159 offset1:1
	ds_read2_b32 v[161:162], v161 offset1:1
	ds_read2_b32 v[163:164], v163 offset1:1
	s_waitcnt lgkmcnt(4)
	v_dot4_i32_i8 v157, v157, v139, v165
	v_dot4_i32_i8 v157, v158, v140, v157
	s_waitcnt lgkmcnt(2)
	v_dot4_i32_i8 v157, v159, v141, v157
	v_dot4_i32_i8 v157, v160, v142, v157
	;; [unrolled: 3-line block ×4, first 2 shown]
	v_add_u32_e32 v157, 0x4188, v25
	ds_read2_b32 v[157:158], v157 offset1:1
	v_add_u32_e32 v159, 0x4190, v25
	v_add_u32_e32 v161, 0x4198, v25
	;; [unrolled: 1-line block ×3, first 2 shown]
	ds_read2_b32 v[159:160], v159 offset1:1
	ds_read2_b32 v[161:162], v161 offset1:1
	ds_read2_b32 v[163:164], v163 offset1:1
	s_waitcnt lgkmcnt(3)
	v_dot4_i32_i8 v157, v157, v131, v165
	v_dot4_i32_i8 v165, v158, v132, v157
	s_waitcnt lgkmcnt(2)
	v_dot4_i32_i8 v159, v159, v133, v165
	v_dot4_i32_i8 v159, v160, v134, v159
	s_waitcnt lgkmcnt(1)
	v_dot4_i32_i8 v159, v161, v135, v159
	v_dot4_i32_i8 v180, v162, v136, v159
	s_waitcnt lgkmcnt(0)
	v_dot4_i32_i8 v159, v163, v137, 0
	v_dot4_i32_i8 v182, v164, v138, v159
	v_add_u32_e32 v159, 0x41a8, v25
	v_add_u32_e32 v161, 0x41b0, v25
	;; [unrolled: 1-line block ×4, first 2 shown]
	ds_read2_b32 v[157:158], v30 offset0:1 offset1:3
	ds_read2_b32 v[159:160], v159 offset1:1
	ds_read2_b32 v[161:162], v161 offset1:1
	;; [unrolled: 1-line block ×4, first 2 shown]
	v_cvt_f32_ubyte1_e32 v170, v148
	v_cvt_f32_f16_sdwa v171, v128 dst_sel:DWORD dst_unused:UNUSED_PAD src0_sel:WORD_1
	v_cvt_f32_ubyte0_e32 v176, v146
	s_waitcnt lgkmcnt(3)
	v_dot4_i32_i8 v159, v159, v139, v182
	s_waitcnt lgkmcnt(0)
	v_dot4_i32_i8 v129, v165, v129, 0
	v_dot4_i32_i8 v159, v160, v140, v159
	;; [unrolled: 1-line block ×3, first 2 shown]
	v_add_u32_e32 v129, 0x6208, v25
	v_dot4_i32_i8 v159, v161, v141, v159
	ds_read2_b32 v[129:130], v129 offset1:1
	v_dot4_i32_i8 v159, v162, v142, v159
	v_dot4_i32_i8 v159, v163, v143, v159
	;; [unrolled: 1-line block ×3, first 2 shown]
	v_add_u32_e32 v159, 0x6210, v25
	v_add_u32_e32 v161, 0x6218, v25
	;; [unrolled: 1-line block ×3, first 2 shown]
	ds_read2_b32 v[159:160], v159 offset1:1
	ds_read2_b32 v[161:162], v161 offset1:1
	;; [unrolled: 1-line block ×3, first 2 shown]
	s_waitcnt lgkmcnt(3)
	v_dot4_i32_i8 v129, v129, v131, v165
	v_dot4_i32_i8 v129, v130, v132, v129
	s_waitcnt lgkmcnt(2)
	v_dot4_i32_i8 v129, v159, v133, v129
	v_dot4_i32_i8 v129, v160, v134, v129
	;; [unrolled: 3-line block ×4, first 2 shown]
	v_add_u32_e32 v129, 0x6228, v25
	ds_read2_b32 v[129:130], v129 offset1:1
	v_add_u32_e32 v131, 0x6230, v25
	v_add_u32_e32 v133, 0x6238, v25
	ds_read2_b32 v[165:166], v32 offset0:1 offset1:3
	v_add_u32_e32 v138, 0x2140, v25
	ds_read2_b32 v[131:132], v131 offset1:1
	ds_read2_b32 v[133:134], v133 offset1:1
	;; [unrolled: 1-line block ×3, first 2 shown]
	s_waitcnt lgkmcnt(4)
	v_dot4_i32_i8 v129, v129, v139, v137
	v_dot4_i32_i8 v129, v130, v140, v129
	v_and_b32_e32 v130, 0xff, v147
	s_waitcnt lgkmcnt(2)
	v_dot4_i32_i8 v129, v131, v141, v129
	v_bfe_u32 v131, v147, 8, 8
	v_mul_lo_u32 v130, v167, v130
	v_mul_lo_u32 v131, v169, v131
	v_dot4_i32_i8 v129, v132, v142, v129
	v_fma_mix_f32 v132, v1, v168, 0 op_sel:[1,0,0] op_sel_hi:[1,0,0]
	v_cvt_f32_i32_e32 v130, v130
	v_cvt_f32_i32_e32 v131, v131
	s_waitcnt lgkmcnt(1)
	v_dot4_i32_i8 v129, v133, v143, v129
	v_bfe_u32 v133, v145, 8, 8
	v_fma_mix_f32 v130, v1, v130, 0 op_sel_hi:[1,0,0]
	v_fma_mix_f32 v130, v2, v131, v130 op_sel_hi:[1,0,0]
	v_fma_mix_f32 v131, v2, v170, v132 op_sel:[1,0,0] op_sel_hi:[1,0,0]
	v_and_b32_e32 v132, 0xff, v145
	v_mul_lo_u32 v132, v175, v132
	v_mul_lo_u32 v133, v177, v133
	v_mul_f32_e32 v131, v131, v171
	v_fma_mix_f32 v130, v130, v128, -v131 op_sel_hi:[0,1,0]
	v_add_f32_e32 v82, v82, v130
	v_cvt_f32_i32_e32 v130, v132
	v_cvt_f32_i32_e32 v131, v133
	v_cvt_f32_ubyte1_e32 v178, v146
	v_cvt_f32_f16_sdwa v179, v172 dst_sel:DWORD dst_unused:UNUSED_PAD src0_sel:WORD_1
	v_fma_mix_f32 v132, v1, v176, 0 op_sel:[1,0,0] op_sel_hi:[1,0,0]
	v_fma_mix_f32 v130, v1, v130, 0 op_sel_hi:[1,0,0]
	v_fma_mix_f32 v130, v2, v131, v130 op_sel_hi:[1,0,0]
	v_fma_mix_f32 v131, v2, v178, v132 op_sel:[1,0,0] op_sel_hi:[1,0,0]
	v_and_b32_e32 v132, 0xff, v157
	v_bfe_u32 v133, v157, 8, 8
	v_mul_lo_u32 v132, v180, v132
	v_mul_lo_u32 v133, v182, v133
	v_mul_f32_e32 v131, v131, v179
	v_fma_mix_f32 v130, v130, v172, -v131 op_sel_hi:[0,1,0]
	v_add_f32_e32 v167, v127, v130
	v_cvt_f32_i32_e32 v127, v132
	v_cvt_f32_i32_e32 v130, v133
	v_cvt_f32_f16_sdwa v184, v173 dst_sel:DWORD dst_unused:UNUSED_PAD src0_sel:WORD_1
	v_cvt_f32_ubyte0_e32 v181, v158
	v_cvt_f32_ubyte1_e32 v183, v158
	v_fma_mix_f32 v131, v1, v181, 0 op_sel:[1,0,0] op_sel_hi:[1,0,0]
	v_fma_mix_f32 v127, v1, v127, 0 op_sel_hi:[1,0,0]
	v_fma_mix_f32 v127, v2, v130, v127 op_sel_hi:[1,0,0]
	v_fma_mix_f32 v130, v2, v183, v131 op_sel:[1,0,0] op_sel_hi:[1,0,0]
	v_mul_f32_e32 v130, v130, v184
	v_and_b32_e32 v131, 0xff, v165
	v_dot4_i32_i8 v129, v134, v144, v129
	v_mul_lo_u32 v131, v135, v131
	v_fma_mix_f32 v127, v127, v173, -v130 op_sel_hi:[0,1,0]
	v_bfe_u32 v130, v165, 8, 8
	v_mul_lo_u32 v129, v129, v130
	v_cvt_f32_i32_e32 v130, v131
	v_add_f32_e32 v169, v126, v127
	v_cvt_f32_f16_sdwa v175, v174 dst_sel:DWORD dst_unused:UNUSED_PAD src0_sel:WORD_1
	v_cvt_f32_i32_e32 v126, v129
	v_cvt_f32_ubyte0_e32 v136, v166
	v_fma_mix_f32 v127, v1, v130, 0 op_sel_hi:[1,0,0]
	v_fma_mix_f32 v1, v1, v136, 0 op_sel:[1,0,0] op_sel_hi:[1,0,0]
	v_fma_mix_f32 v126, v2, v126, v127 op_sel_hi:[1,0,0]
	v_cvt_f32_ubyte1_e32 v127, v166
	v_fma_mix_f32 v1, v2, v127, v1 op_sel:[1,0,0] op_sel_hi:[1,0,0]
	v_mul_f32_e32 v1, v1, v175
	ds_read_b128 v[129:132], v20 offset:64
	v_fma_mix_f32 v1, v126, v174, -v1 op_sel_hi:[0,1,0]
	v_add_f32_e32 v9, v9, v1
	ds_read_b128 v[133:136], v20 offset:80
	ds_read_b128 v[137:140], v20 offset:96
	;; [unrolled: 1-line block ×3, first 2 shown]
	ds_read2_b32 v[1:2], v25 offset0:50 offset1:51
	s_waitcnt lgkmcnt(4)
	v_dot4_i32_i8 v126, v153, v129, 0
	v_dot4_i32_i8 v176, v154, v130, v126
	ds_read2_b32 v[126:127], v25 offset0:52 offset1:53
	ds_read2_b32 v[153:154], v25 offset0:54 offset1:55
	;; [unrolled: 1-line block ×3, first 2 shown]
	v_lshrrev_b32_e32 v163, 24, v147
	s_waitcnt lgkmcnt(3)
	v_dot4_i32_i8 v1, v1, v131, v176
	v_dot4_i32_i8 v1, v2, v132, v1
	s_waitcnt lgkmcnt(2)
	v_dot4_i32_i8 v1, v126, v133, v1
	v_dot4_i32_i8 v1, v127, v134, v1
	;; [unrolled: 3-line block ×4, first 2 shown]
	v_dot4_i32_i8 v1, v149, v139, v1
	v_dot4_i32_i8 v1, v150, v140, v1
	;; [unrolled: 1-line block ×8, first 2 shown]
	v_add_u32_e32 v1, 0x2148, v25
	ds_read2_b32 v[1:2], v1 offset1:1
	v_cvt_f32_ubyte2_e32 v154, v148
	v_cvt_f32_ubyte3_e32 v155, v148
	v_add_u32_e32 v126, 0x2150, v25
	v_add_u32_e32 v148, 0x2158, v25
	v_add_u32_e32 v150, 0x2160, v25
	ds_read2_b32 v[126:127], v126 offset1:1
	ds_read2_b32 v[148:149], v148 offset1:1
	ds_read2_b32 v[150:151], v150 offset1:1
	s_waitcnt lgkmcnt(3)
	v_dot4_i32_i8 v1, v1, v131, v156
	v_dot4_i32_i8 v1, v2, v132, v1
	s_waitcnt lgkmcnt(2)
	v_dot4_i32_i8 v1, v126, v133, v1
	v_dot4_i32_i8 v1, v127, v134, v1
	s_waitcnt lgkmcnt(1)
	v_dot4_i32_i8 v1, v148, v135, v1
	v_dot4_i32_i8 v156, v149, v136, v1
	s_waitcnt lgkmcnt(0)
	v_dot4_i32_i8 v1, v150, v137, 0
	v_dot4_i32_i8 v160, v151, v138, v1
	v_add_u32_e32 v1, 0x2168, v25
	ds_read2_b32 v[1:2], v1 offset1:1
	v_add_u32_e32 v126, 0x2170, v25
	v_add_u32_e32 v148, 0x2178, v25
	v_add_u32_e32 v150, 0x41c0, v25
	ds_read2_b32 v[126:127], v126 offset1:1
	ds_read2_b32 v[148:149], v148 offset1:1
	ds_read2_b32 v[150:151], v150 offset1:1
	s_waitcnt lgkmcnt(3)
	v_dot4_i32_i8 v1, v1, v139, v160
	v_dot4_i32_i8 v1, v2, v140, v1
	s_waitcnt lgkmcnt(2)
	v_dot4_i32_i8 v1, v126, v141, v1
	v_dot4_i32_i8 v1, v127, v142, v1
	s_waitcnt lgkmcnt(1)
	v_dot4_i32_i8 v1, v148, v143, v1
	v_dot4_i32_i8 v160, v149, v144, v1
	s_waitcnt lgkmcnt(0)
	v_dot4_i32_i8 v1, v150, v129, 0
	v_dot4_i32_i8 v161, v151, v130, v1
	v_add_u32_e32 v1, 0x41c8, v25
	ds_read2_b32 v[1:2], v1 offset1:1
	;; [unrolled: 20-line block ×5, first 2 shown]
	v_add_u32_e32 v126, 0x6270, v25
	ds_read2_b32 v[126:127], v126 offset1:1
	v_add_u32_e32 v129, 0x6278, v25
	ds_read2_b32 v[129:130], v129 offset1:1
	s_waitcnt lgkmcnt(2)
	v_dot4_i32_i8 v1, v1, v139, v133
	v_dot4_i32_i8 v1, v2, v140, v1
	v_bfe_u32 v2, v147, 16, 8
	v_mul_lo_u32 v2, v153, v2
	s_waitcnt lgkmcnt(1)
	v_dot4_i32_i8 v1, v126, v141, v1
	v_mul_lo_u32 v126, v152, v163
	v_dot4_i32_i8 v1, v127, v142, v1
	v_cvt_f32_i32_e32 v2, v2
	v_fma_mix_f32 v127, v3, v154, 0 op_sel:[1,0,0] op_sel_hi:[1,0,0]
	v_cvt_f32_i32_e32 v126, v126
	v_lshrrev_b32_e32 v164, 24, v145
	v_fma_mix_f32 v2, v3, v2, 0 op_sel_hi:[1,0,0]
	s_waitcnt lgkmcnt(0)
	v_dot4_i32_i8 v1, v129, v143, v1
	v_fma_mix_f32 v2, v4, v126, v2 op_sel_hi:[1,0,0]
	v_fma_mix_f32 v126, v4, v155, v127 op_sel:[1,0,0] op_sel_hi:[1,0,0]
	v_bfe_u32 v127, v145, 16, 8
	v_mul_lo_u32 v127, v156, v127
	v_mul_lo_u32 v129, v160, v164
	v_mul_f32_e32 v126, v126, v171
	v_fma_mix_f32 v2, v2, v128, -v126 op_sel_hi:[0,1,0]
	v_cvt_f32_i32_e32 v126, v127
	v_cvt_f32_i32_e32 v127, v129
	v_lshrrev_b32_e32 v168, 24, v157
	v_cvt_f32_ubyte2_e32 v159, v146
	v_fma_mix_f32 v126, v3, v126, 0 op_sel_hi:[1,0,0]
	v_fma_mix_f32 v126, v4, v127, v126 op_sel_hi:[1,0,0]
	v_bfe_u32 v127, v157, 16, 8
	v_mul_lo_u32 v127, v161, v127
	v_cvt_f32_ubyte3_e32 v146, v146
	v_add_f32_e32 v82, v82, v2
	v_fma_mix_f32 v2, v3, v159, 0 op_sel:[1,0,0] op_sel_hi:[1,0,0]
	v_mul_lo_u32 v128, v176, v168
	v_fma_mix_f32 v2, v4, v146, v2 op_sel:[1,0,0] op_sel_hi:[1,0,0]
	v_mul_f32_e32 v2, v2, v179
	v_fma_mix_f32 v2, v126, v172, -v2 op_sel_hi:[0,1,0]
	v_cvt_f32_i32_e32 v126, v127
	v_cvt_f32_i32_e32 v128, v128
	v_lshrrev_b32_e32 v170, 24, v165
	v_dot4_i32_i8 v1, v130, v144, v1
	v_fma_mix_f32 v126, v3, v126, 0 op_sel_hi:[1,0,0]
	v_fma_mix_f32 v126, v4, v128, v126 op_sel_hi:[1,0,0]
	v_bfe_u32 v128, v165, 16, 8
	v_mul_lo_u32 v128, v131, v128
	v_mul_lo_u32 v1, v1, v170
	v_cvt_f32_ubyte2_e32 v162, v158
	v_cvt_f32_ubyte3_e32 v158, v158
	v_add_f32_e32 v127, v167, v2
	v_fma_mix_f32 v2, v3, v162, 0 op_sel:[1,0,0] op_sel_hi:[1,0,0]
	v_cvt_f32_i32_e32 v128, v128
	v_fma_mix_f32 v2, v4, v158, v2 op_sel:[1,0,0] op_sel_hi:[1,0,0]
	v_cvt_f32_i32_e32 v1, v1
	v_mul_f32_e32 v2, v2, v184
	v_fma_mix_f32 v2, v126, v173, -v2 op_sel_hi:[0,1,0]
	v_cvt_f32_ubyte2_e32 v132, v166
	v_add_f32_e32 v126, v169, v2
	v_fma_mix_f32 v2, v3, v128, 0 op_sel_hi:[1,0,0]
	v_fma_mix_f32 v3, v3, v132, 0 op_sel:[1,0,0] op_sel_hi:[1,0,0]
	v_fma_mix_f32 v1, v4, v1, v2 op_sel_hi:[1,0,0]
	v_cvt_f32_ubyte3_e32 v2, v166
	v_fma_mix_f32 v2, v4, v2, v3 op_sel:[1,0,0] op_sel_hi:[1,0,0]
	v_mul_f32_e32 v2, v2, v175
	v_fma_mix_f32 v1, v1, v174, -v2 op_sel_hi:[0,1,0]
	v_add_f32_e32 v9, v9, v1
	s_barrier
.LBB233_5:                              ;   in Loop: Header=BB233_6 Depth=1
	v_add_co_u32_e32 v36, vcc, 0xb0, v36
	v_addc_co_u32_e32 v37, vcc, 0, v37, vcc
	v_add_co_u32_e32 v38, vcc, 0xb0, v38
	v_addc_co_u32_e32 v39, vcc, 0, v39, vcc
	v_add_co_u32_e32 v40, vcc, 0xb0, v40
	v_addc_co_u32_e32 v41, vcc, 0, v41, vcc
	v_add_co_u32_e32 v42, vcc, 0xb0, v42
	v_addc_co_u32_e32 v43, vcc, 0, v43, vcc
	v_add_co_u32_e32 v44, vcc, 0xb0, v44
	v_addc_co_u32_e32 v45, vcc, 0, v45, vcc
	v_add_co_u32_e32 v46, vcc, 0xb0, v46
	v_addc_co_u32_e32 v47, vcc, 0, v47, vcc
	v_add_co_u32_e32 v48, vcc, 0xb0, v48
	v_addc_co_u32_e32 v49, vcc, 0, v49, vcc
	v_add_co_u32_e32 v50, vcc, 0xb0, v50
	v_addc_co_u32_e32 v51, vcc, 0, v51, vcc
	v_add_co_u32_e32 v52, vcc, 0xb0, v52
	v_addc_co_u32_e32 v53, vcc, 0, v53, vcc
	v_add_co_u32_e32 v54, vcc, 0xb0, v54
	v_addc_co_u32_e32 v55, vcc, 0, v55, vcc
	v_add_co_u32_e32 v56, vcc, 0xb0, v56
	v_addc_co_u32_e32 v57, vcc, 0, v57, vcc
	v_add_co_u32_e32 v58, vcc, 0xb0, v58
	v_addc_co_u32_e32 v59, vcc, 0, v59, vcc
	v_add_co_u32_e32 v60, vcc, 0xb0, v60
	v_addc_co_u32_e32 v61, vcc, 0, v61, vcc
	v_add_co_u32_e32 v62, vcc, 0xb0, v62
	v_addc_co_u32_e32 v63, vcc, 0, v63, vcc
	v_add_co_u32_e32 v64, vcc, 0xb0, v64
	v_addc_co_u32_e32 v65, vcc, 0, v65, vcc
	v_add_co_u32_e32 v66, vcc, 0xb0, v66
	v_addc_co_u32_e32 v67, vcc, 0, v67, vcc
	v_add_co_u32_e32 v68, vcc, 0xb0, v68
	v_addc_co_u32_e32 v69, vcc, 0, v69, vcc
	v_add_co_u32_e32 v70, vcc, 0xb0, v70
	v_addc_co_u32_e32 v71, vcc, 0, v71, vcc
	v_add_co_u32_e32 v72, vcc, 0xb0, v72
	v_addc_co_u32_e32 v73, vcc, 0, v73, vcc
	v_add_co_u32_e32 v74, vcc, 0xb0, v74
	v_addc_co_u32_e32 v75, vcc, 0, v75, vcc
	v_add_co_u32_e32 v76, vcc, 0xb0, v76
	v_addc_co_u32_e32 v77, vcc, 0, v77, vcc
	v_add_co_u32_e32 v78, vcc, 0xb0, v78
	v_addc_co_u32_e32 v79, vcc, 0, v79, vcc
	v_add_co_u32_e32 v80, vcc, 0xb0, v80
	v_addc_co_u32_e32 v81, vcc, 0, v81, vcc
	v_add_co_u32_e32 v83, vcc, 0xb0, v83
	v_addc_co_u32_e32 v84, vcc, 0, v84, vcc
	v_add_co_u32_e32 v85, vcc, 0xb0, v85
	v_addc_co_u32_e32 v86, vcc, 0, v86, vcc
	v_add_co_u32_e32 v87, vcc, 0xb0, v87
	v_addc_co_u32_e32 v88, vcc, 0, v88, vcc
	v_add_co_u32_e32 v89, vcc, 0xb0, v89
	v_addc_co_u32_e32 v90, vcc, 0, v90, vcc
	v_add_co_u32_e32 v91, vcc, 0xb0, v91
	v_addc_co_u32_e32 v92, vcc, 0, v92, vcc
	v_add_co_u32_e32 v93, vcc, 0xb0, v93
	v_addc_co_u32_e32 v94, vcc, 0, v94, vcc
	v_add_co_u32_e32 v95, vcc, 0xb0, v95
	v_addc_co_u32_e32 v96, vcc, 0, v96, vcc
	v_add_co_u32_e32 v97, vcc, 0xb0, v97
	v_addc_co_u32_e32 v98, vcc, 0, v98, vcc
	v_add_co_u32_e32 v99, vcc, 0xb0, v99
	v_addc_co_u32_e32 v100, vcc, 0, v100, vcc
	v_add_co_u32_e32 v7, vcc, 0xb0, v7
	v_addc_co_u32_e32 v8, vcc, 0, v8, vcc
	v_add_co_u32_e32 v101, vcc, 0xb0, v101
	v_addc_co_u32_e32 v102, vcc, 0, v102, vcc
	v_add_co_u32_e32 v103, vcc, 0xb0, v103
	v_addc_co_u32_e32 v104, vcc, 0, v104, vcc
	v_add_co_u32_e32 v105, vcc, 0xb0, v105
	v_addc_co_u32_e32 v106, vcc, 0, v106, vcc
	s_add_i32 s23, s23, -1
	s_addk_i32 s12, 0x100
	v_add_co_u32_e32 v107, vcc, 0xb0, v107
	v_add_u32_e32 v27, 8, v27
	v_add_u32_e32 v23, 8, v23
	;; [unrolled: 1-line block ×3, first 2 shown]
	s_cmp_eq_u32 s23, 0
	v_addc_co_u32_e32 v108, vcc, 0, v108, vcc
	s_cbranch_scc1 .LBB233_17
.LBB233_6:                              ; =>This Inner Loop Header: Depth=1
	v_add_co_u32_e32 v1, vcc, s18, v38
	v_addc_co_u32_e32 v2, vcc, v39, v109, vcc
	global_load_dword v128, v[1:2], off
	v_add_co_u32_e32 v1, vcc, s18, v36
	v_addc_co_u32_e32 v2, vcc, v37, v109, vcc
	global_load_dword v129, v[1:2], off
	v_add_co_u32_e32 v1, vcc, s18, v42
	v_addc_co_u32_e32 v2, vcc, v43, v109, vcc
	v_add_co_u32_e32 v3, vcc, s18, v40
	v_addc_co_u32_e32 v4, vcc, v41, v109, vcc
	global_load_dword v130, v[1:2], off
	v_add_co_u32_e32 v1, vcc, s18, v46
	v_addc_co_u32_e32 v2, vcc, v47, v109, vcc
	global_load_dword v131, v[3:4], off
	;; [unrolled: 3-line block ×13, first 2 shown]
	s_add_i32 s4, s12, 0xffffff80
	global_load_dword v3, v[3:4], off
	s_cmp_lt_i32 s4, s19
	s_waitcnt vmcnt(15)
	v_lshrrev_b32_e32 v1, 4, v128
	v_and_b32_e32 v144, 0xf0f0f0f, v1
	v_add_co_u32_e32 v1, vcc, s18, v70
	v_addc_co_u32_e32 v2, vcc, v71, v109, vcc
	global_load_dword v4, v[1:2], off
	v_add_co_u32_e32 v1, vcc, s18, v68
	v_addc_co_u32_e32 v2, vcc, v69, v109, vcc
	global_load_dword v1, v[1:2], off
	v_and_b32_e32 v143, 0xf0f0f0f, v128
	s_waitcnt vmcnt(16)
	v_ashrrev_i32_e32 v128, v11, v129
	v_lshlrev_b32_e32 v2, 4, v128
	v_ashrrev_i32_e32 v128, v12, v129
	v_lshlrev_b32_e32 v128, 4, v128
	v_and_or_b32 v2, v2, s13, v143
	v_and_or_b32 v128, v128, s13, v144
	ds_write2_b32 v13, v2, v128 offset1:8
	s_waitcnt vmcnt(15)
	v_and_b32_e32 v2, 0xf0f0f0f, v130
	v_lshrrev_b32_e32 v128, 4, v130
	s_waitcnt vmcnt(14)
	v_ashrrev_i32_e32 v129, v11, v131
	v_ashrrev_i32_e32 v130, v12, v131
	v_and_b32_e32 v128, 0xf0f0f0f, v128
	v_lshlrev_b32_e32 v129, 4, v129
	v_lshlrev_b32_e32 v130, 4, v130
	v_and_or_b32 v2, v129, s13, v2
	v_and_or_b32 v128, v130, s13, v128
	ds_write2_b32 v110, v2, v128 offset0:8 offset1:16
	s_waitcnt vmcnt(13)
	v_lshrrev_b32_e32 v128, 4, v132
	s_waitcnt vmcnt(12)
	v_ashrrev_i32_e32 v129, v11, v133
	v_ashrrev_i32_e32 v130, v12, v133
	v_and_b32_e32 v2, 0xf0f0f0f, v132
	v_and_b32_e32 v128, 0xf0f0f0f, v128
	v_lshlrev_b32_e32 v129, 4, v129
	v_lshlrev_b32_e32 v130, 4, v130
	v_and_or_b32 v2, v129, s13, v2
	v_and_or_b32 v128, v130, s13, v128
	ds_write2_b32 v111, v2, v128 offset0:16 offset1:24
	s_waitcnt vmcnt(11)
	v_lshrrev_b32_e32 v128, 4, v134
	s_waitcnt vmcnt(10)
	v_ashrrev_i32_e32 v129, v11, v135
	v_ashrrev_i32_e32 v130, v12, v135
	v_and_b32_e32 v2, 0xf0f0f0f, v134
	;; [unrolled: 12-line block ×6, first 2 shown]
	v_and_b32_e32 v128, 0xf0f0f0f, v128
	v_lshlrev_b32_e32 v129, 4, v129
	v_lshlrev_b32_e32 v3, 4, v3
	v_and_or_b32 v2, v129, s13, v2
	v_and_or_b32 v3, v3, s13, v128
	ds_write2_b32 v116, v2, v3 offset0:56 offset1:64
	s_waitcnt vmcnt(1)
	v_and_b32_e32 v2, 0xf0f0f0f, v4
	v_lshrrev_b32_e32 v3, 4, v4
	s_waitcnt vmcnt(0)
	v_ashrrev_i32_e32 v4, v11, v1
	v_ashrrev_i32_e32 v1, v12, v1
	v_and_b32_e32 v3, 0xf0f0f0f, v3
	v_lshlrev_b32_e32 v1, 4, v1
	v_lshlrev_b32_e32 v4, 4, v4
	v_and_or_b32 v3, v1, s13, v3
	v_add_co_u32_e32 v1, vcc, s18, v74
	v_and_or_b32 v4, v4, s13, v2
	v_addc_co_u32_e32 v2, vcc, v75, v109, vcc
	global_load_dword v128, v[1:2], off
	v_add_co_u32_e32 v1, vcc, s18, v72
	v_addc_co_u32_e32 v2, vcc, v73, v109, vcc
	global_load_dword v129, v[1:2], off
	v_add_co_u32_e32 v1, vcc, s18, v78
	;; [unrolled: 3-line block ×18, first 2 shown]
	v_addc_co_u32_e32 v2, vcc, v106, v109, vcc
	global_load_dword v1, v[1:2], off
	ds_write2_b32 v117, v4, v3 offset0:64 offset1:72
	s_waitcnt vmcnt(18)
	v_and_b32_e32 v2, 0xf0f0f0f, v128
	v_lshrrev_b32_e32 v3, 4, v128
	s_waitcnt vmcnt(17)
	v_ashrrev_i32_e32 v4, v11, v129
	v_ashrrev_i32_e32 v128, v12, v129
	v_and_b32_e32 v3, 0xf0f0f0f, v3
	v_lshlrev_b32_e32 v4, 4, v4
	v_lshlrev_b32_e32 v128, 4, v128
	v_and_or_b32 v2, v4, s13, v2
	v_and_or_b32 v3, v128, s13, v3
	ds_write2_b32 v118, v2, v3 offset0:72 offset1:80
	s_waitcnt vmcnt(16)
	v_lshrrev_b32_e32 v3, 4, v130
	s_waitcnt vmcnt(15)
	v_ashrrev_i32_e32 v4, v11, v131
	v_ashrrev_i32_e32 v128, v12, v131
	v_and_b32_e32 v2, 0xf0f0f0f, v130
	v_and_b32_e32 v3, 0xf0f0f0f, v3
	v_lshlrev_b32_e32 v4, 4, v4
	v_lshlrev_b32_e32 v128, 4, v128
	v_and_or_b32 v2, v4, s13, v2
	v_and_or_b32 v3, v128, s13, v3
	ds_write2_b32 v119, v2, v3 offset0:80 offset1:88
	s_waitcnt vmcnt(14)
	v_lshrrev_b32_e32 v3, 4, v132
	s_waitcnt vmcnt(13)
	v_ashrrev_i32_e32 v4, v11, v133
	v_ashrrev_i32_e32 v128, v12, v133
	v_and_b32_e32 v2, 0xf0f0f0f, v132
	;; [unrolled: 12-line block ×6, first 2 shown]
	v_and_b32_e32 v3, 0xf0f0f0f, v3
	v_lshlrev_b32_e32 v4, 4, v4
	v_lshlrev_b32_e32 v128, 4, v128
	v_and_or_b32 v2, v4, s13, v2
	v_and_or_b32 v3, v128, s13, v3
	ds_write2_b32 v124, v2, v3 offset0:120 offset1:128
	s_waitcnt vmcnt(4)
	ds_write_b32 v14, v142
	s_waitcnt vmcnt(3)
	v_ashrrev_i32_e32 v2, v15, v143
	v_and_b32_e32 v2, 0xf0f0f0f, v2
	s_waitcnt vmcnt(2)
	v_ashrrev_i32_e32 v3, v16, v144
	v_and_or_b32 v2, v3, s20, v2
	ds_write_b32 v17, v2
	s_waitcnt vmcnt(1)
	v_ashrrev_i32_e32 v2, v15, v145
	v_and_b32_e32 v2, 0xf0f0f0f, v2
	s_waitcnt vmcnt(0)
	v_ashrrev_i32_e32 v1, v16, v1
	v_and_or_b32 v1, v1, s20, v2
	ds_write_b32 v18, v1
	s_cbranch_scc0 .LBB233_5
; %bb.7:                                ;   in Loop: Header=BB233_6 Depth=1
	v_cmp_gt_i32_e32 vcc, s9, v23
	s_and_b64 s[24:25], s[2:3], vcc
	s_and_saveexec_b64 s[4:5], s[24:25]
	s_cbranch_execz .LBB233_9
; %bb.8:                                ;   in Loop: Header=BB233_6 Depth=1
	v_add_u32_e32 v1, v34, v23
	v_mad_i64_i32 v[1:2], s[24:25], v1, 36, v[5:6]
	global_load_dword v1, v[1:2], off offset:4
	s_waitcnt vmcnt(0)
	ds_write_b32 v21, v1
.LBB233_9:                              ;   in Loop: Header=BB233_6 Depth=1
	s_or_b64 exec, exec, s[4:5]
	v_cmp_gt_i32_e32 vcc, s9, v125
	s_and_b64 s[24:25], s[6:7], vcc
	s_and_saveexec_b64 s[4:5], s[24:25]
	s_cbranch_execz .LBB233_11
; %bb.10:                               ;   in Loop: Header=BB233_6 Depth=1
	v_add_u32_e32 v1, v34, v125
	v_mad_i64_i32 v[1:2], s[24:25], v1, 36, s[14:15]
	global_load_dword v1, v[1:2], off
	v_add_u32_e32 v2, v19, v22
	s_waitcnt vmcnt(0)
	ds_write_b32 v2, v1
.LBB233_11:                             ;   in Loop: Header=BB233_6 Depth=1
	s_or_b64 exec, exec, s[4:5]
	s_waitcnt lgkmcnt(0)
	s_barrier
	ds_read_b128 v[129:132], v20
	ds_read_b128 v[133:136], v20 offset:16
	ds_read2_b32 v[145:146], v25 offset1:1
	ds_read_b128 v[137:140], v20 offset:32
	ds_read_b128 v[141:144], v20 offset:48
	ds_read_b32 v128, v26
	ds_read_b128 v[1:4], v22 offset:36944
	ds_read2_b32 v[147:148], v25 offset0:2 offset1:3
	s_waitcnt lgkmcnt(5)
	v_dot4_i32_i8 v145, v145, v129, 0
	v_dot4_i32_i8 v153, v146, v130, v145
	ds_read2_b32 v[145:146], v25 offset0:4 offset1:5
	ds_read2_b32 v[149:150], v25 offset0:6 offset1:7
	;; [unrolled: 1-line block ×3, first 2 shown]
	v_add_u32_e32 v157, 0x2090, v25
	s_waitcnt lgkmcnt(3)
	v_dot4_i32_i8 v147, v147, v131, v153
	v_dot4_i32_i8 v153, v148, v132, v147
	s_waitcnt lgkmcnt(2)
	v_dot4_i32_i8 v145, v145, v133, v153
	v_dot4_i32_i8 v145, v146, v134, v145
	;; [unrolled: 3-line block ×3, first 2 shown]
	ds_read2_b32 v[145:146], v25 offset0:10 offset1:11
	s_waitcnt lgkmcnt(1)
	v_dot4_i32_i8 v149, v151, v137, 0
	ds_read2_b32 v[147:148], v24 offset1:2
	v_dot4_i32_i8 v155, v152, v138, v149
	ds_read2_b32 v[149:150], v25 offset0:12 offset1:13
	ds_read2_b32 v[151:152], v25 offset0:14 offset1:15
	;; [unrolled: 1-line block ×3, first 2 shown]
	s_waitcnt lgkmcnt(4)
	v_dot4_i32_i8 v145, v145, v139, v155
	v_dot4_i32_i8 v145, v146, v140, v145
	s_waitcnt lgkmcnt(2)
	v_dot4_i32_i8 v145, v149, v141, v145
	v_dot4_i32_i8 v145, v150, v142, v145
	;; [unrolled: 3-line block ×3, first 2 shown]
	v_add_u32_e32 v145, 0x2080, v25
	ds_read2_b32 v[145:146], v145 offset1:1
	ds_read2_b32 v[149:150], v25 offset0:26 offset1:27
	ds_read2_b32 v[151:152], v25 offset0:28 offset1:29
	;; [unrolled: 1-line block ×3, first 2 shown]
	ds_read_b32 v172, v29 offset:128
	ds_read_b32 v173, v31 offset:256
	;; [unrolled: 1-line block ×3, first 2 shown]
	s_waitcnt lgkmcnt(6)
	v_dot4_i32_i8 v145, v145, v129, 0
	v_dot4_i32_i8 v163, v146, v130, v145
	v_add_u32_e32 v145, 0x2088, v25
	ds_read2_b32 v[145:146], v145 offset1:1
	v_add_u32_e32 v159, 0x2098, v25
	v_add_u32_e32 v161, 0x20a0, v25
	ds_read2_b32 v[157:158], v157 offset1:1
	ds_read2_b32 v[159:160], v159 offset1:1
	;; [unrolled: 1-line block ×3, first 2 shown]
	v_cvt_f32_ubyte0_e32 v168, v148
	s_waitcnt lgkmcnt(3)
	v_dot4_i32_i8 v145, v145, v131, v163
	v_dot4_i32_i8 v163, v146, v132, v145
	s_waitcnt lgkmcnt(2)
	v_dot4_i32_i8 v157, v157, v133, v163
	v_dot4_i32_i8 v157, v158, v134, v157
	;; [unrolled: 3-line block ×4, first 2 shown]
	v_add_u32_e32 v157, 0x20a8, v25
	ds_read2_b32 v[157:158], v157 offset1:1
	v_add_u32_e32 v159, 0x20b0, v25
	v_add_u32_e32 v161, 0x20b8, v25
	;; [unrolled: 1-line block ×3, first 2 shown]
	ds_read2_b32 v[145:146], v28 offset1:2
	ds_read2_b32 v[159:160], v159 offset1:1
	;; [unrolled: 1-line block ×4, first 2 shown]
	s_waitcnt lgkmcnt(4)
	v_dot4_i32_i8 v157, v157, v139, v165
	v_dot4_i32_i8 v157, v158, v140, v157
	s_waitcnt lgkmcnt(2)
	v_dot4_i32_i8 v157, v159, v141, v157
	v_dot4_i32_i8 v157, v160, v142, v157
	;; [unrolled: 3-line block ×4, first 2 shown]
	v_add_u32_e32 v157, 0x4108, v25
	ds_read2_b32 v[157:158], v157 offset1:1
	v_add_u32_e32 v159, 0x4110, v25
	v_add_u32_e32 v161, 0x4118, v25
	;; [unrolled: 1-line block ×3, first 2 shown]
	ds_read2_b32 v[159:160], v159 offset1:1
	ds_read2_b32 v[161:162], v161 offset1:1
	;; [unrolled: 1-line block ×3, first 2 shown]
	s_waitcnt lgkmcnt(3)
	v_dot4_i32_i8 v157, v157, v131, v165
	v_dot4_i32_i8 v165, v158, v132, v157
	s_waitcnt lgkmcnt(2)
	v_dot4_i32_i8 v159, v159, v133, v165
	v_dot4_i32_i8 v159, v160, v134, v159
	;; [unrolled: 3-line block ×4, first 2 shown]
	v_add_u32_e32 v159, 0x4128, v25
	v_add_u32_e32 v161, 0x4130, v25
	;; [unrolled: 1-line block ×4, first 2 shown]
	ds_read2_b32 v[157:158], v30 offset1:2
	ds_read2_b32 v[159:160], v159 offset1:1
	;; [unrolled: 1-line block ×5, first 2 shown]
	v_cvt_f32_ubyte1_e32 v170, v148
	v_cvt_f32_f16_sdwa v171, v128 dst_sel:DWORD dst_unused:UNUSED_PAD src0_sel:WORD_1
	v_cvt_f32_ubyte0_e32 v176, v146
	s_waitcnt lgkmcnt(3)
	v_dot4_i32_i8 v159, v159, v139, v182
	s_waitcnt lgkmcnt(0)
	v_dot4_i32_i8 v129, v165, v129, 0
	v_dot4_i32_i8 v159, v160, v140, v159
	;; [unrolled: 1-line block ×3, first 2 shown]
	v_add_u32_e32 v129, 0x6188, v25
	v_dot4_i32_i8 v159, v161, v141, v159
	ds_read2_b32 v[129:130], v129 offset1:1
	v_dot4_i32_i8 v159, v162, v142, v159
	v_dot4_i32_i8 v159, v163, v143, v159
	;; [unrolled: 1-line block ×3, first 2 shown]
	v_add_u32_e32 v159, 0x6190, v25
	v_add_u32_e32 v161, 0x6198, v25
	;; [unrolled: 1-line block ×3, first 2 shown]
	ds_read2_b32 v[159:160], v159 offset1:1
	ds_read2_b32 v[161:162], v161 offset1:1
	;; [unrolled: 1-line block ×3, first 2 shown]
	s_waitcnt lgkmcnt(3)
	v_dot4_i32_i8 v129, v129, v131, v165
	v_dot4_i32_i8 v129, v130, v132, v129
	s_waitcnt lgkmcnt(2)
	v_dot4_i32_i8 v129, v159, v133, v129
	v_dot4_i32_i8 v129, v160, v134, v129
	;; [unrolled: 3-line block ×4, first 2 shown]
	v_add_u32_e32 v129, 0x61a8, v25
	ds_read2_b32 v[129:130], v129 offset1:1
	v_add_u32_e32 v131, 0x61b0, v25
	v_add_u32_e32 v133, 0x61b8, v25
	ds_read2_b32 v[165:166], v32 offset1:2
	v_add_u32_e32 v138, 0x20c0, v25
	ds_read2_b32 v[131:132], v131 offset1:1
	ds_read2_b32 v[133:134], v133 offset1:1
	;; [unrolled: 1-line block ×3, first 2 shown]
	s_waitcnt lgkmcnt(4)
	v_dot4_i32_i8 v129, v129, v139, v137
	v_dot4_i32_i8 v129, v130, v140, v129
	v_and_b32_e32 v130, 0xff, v147
	s_waitcnt lgkmcnt(2)
	v_dot4_i32_i8 v129, v131, v141, v129
	v_bfe_u32 v131, v147, 8, 8
	v_mul_lo_u32 v130, v167, v130
	v_mul_lo_u32 v131, v169, v131
	v_dot4_i32_i8 v129, v132, v142, v129
	v_fma_mix_f32 v132, v1, v168, 0 op_sel:[1,0,0] op_sel_hi:[1,0,0]
	v_cvt_f32_i32_e32 v130, v130
	v_cvt_f32_i32_e32 v131, v131
	s_waitcnt lgkmcnt(1)
	v_dot4_i32_i8 v129, v133, v143, v129
	v_bfe_u32 v133, v145, 8, 8
	v_fma_mix_f32 v130, v1, v130, 0 op_sel_hi:[1,0,0]
	v_fma_mix_f32 v130, v2, v131, v130 op_sel_hi:[1,0,0]
	v_fma_mix_f32 v131, v2, v170, v132 op_sel:[1,0,0] op_sel_hi:[1,0,0]
	v_and_b32_e32 v132, 0xff, v145
	v_mul_lo_u32 v132, v175, v132
	v_mul_lo_u32 v133, v177, v133
	v_mul_f32_e32 v131, v131, v171
	v_fma_mix_f32 v130, v130, v128, -v131 op_sel_hi:[0,1,0]
	v_add_f32_e32 v82, v82, v130
	v_cvt_f32_i32_e32 v130, v132
	v_cvt_f32_i32_e32 v131, v133
	v_cvt_f32_ubyte1_e32 v178, v146
	v_cvt_f32_f16_sdwa v179, v172 dst_sel:DWORD dst_unused:UNUSED_PAD src0_sel:WORD_1
	v_fma_mix_f32 v132, v1, v176, 0 op_sel:[1,0,0] op_sel_hi:[1,0,0]
	v_fma_mix_f32 v130, v1, v130, 0 op_sel_hi:[1,0,0]
	v_fma_mix_f32 v130, v2, v131, v130 op_sel_hi:[1,0,0]
	v_fma_mix_f32 v131, v2, v178, v132 op_sel:[1,0,0] op_sel_hi:[1,0,0]
	v_and_b32_e32 v132, 0xff, v157
	v_bfe_u32 v133, v157, 8, 8
	v_mul_lo_u32 v132, v180, v132
	v_mul_lo_u32 v133, v182, v133
	v_mul_f32_e32 v131, v131, v179
	v_fma_mix_f32 v130, v130, v172, -v131 op_sel_hi:[0,1,0]
	v_add_f32_e32 v167, v127, v130
	v_cvt_f32_i32_e32 v127, v132
	v_cvt_f32_i32_e32 v130, v133
	v_cvt_f32_f16_sdwa v184, v173 dst_sel:DWORD dst_unused:UNUSED_PAD src0_sel:WORD_1
	v_cvt_f32_ubyte0_e32 v181, v158
	v_cvt_f32_ubyte1_e32 v183, v158
	v_fma_mix_f32 v131, v1, v181, 0 op_sel:[1,0,0] op_sel_hi:[1,0,0]
	v_fma_mix_f32 v127, v1, v127, 0 op_sel_hi:[1,0,0]
	v_fma_mix_f32 v127, v2, v130, v127 op_sel_hi:[1,0,0]
	v_fma_mix_f32 v130, v2, v183, v131 op_sel:[1,0,0] op_sel_hi:[1,0,0]
	v_mul_f32_e32 v130, v130, v184
	v_and_b32_e32 v131, 0xff, v165
	v_dot4_i32_i8 v129, v134, v144, v129
	v_mul_lo_u32 v131, v135, v131
	v_fma_mix_f32 v127, v127, v173, -v130 op_sel_hi:[0,1,0]
	v_bfe_u32 v130, v165, 8, 8
	v_mul_lo_u32 v129, v129, v130
	v_cvt_f32_i32_e32 v130, v131
	v_add_f32_e32 v169, v126, v127
	v_cvt_f32_f16_sdwa v175, v174 dst_sel:DWORD dst_unused:UNUSED_PAD src0_sel:WORD_1
	v_cvt_f32_i32_e32 v126, v129
	v_cvt_f32_ubyte0_e32 v136, v166
	v_fma_mix_f32 v127, v1, v130, 0 op_sel_hi:[1,0,0]
	v_fma_mix_f32 v1, v1, v136, 0 op_sel:[1,0,0] op_sel_hi:[1,0,0]
	v_fma_mix_f32 v126, v2, v126, v127 op_sel_hi:[1,0,0]
	v_cvt_f32_ubyte1_e32 v127, v166
	v_fma_mix_f32 v1, v2, v127, v1 op_sel:[1,0,0] op_sel_hi:[1,0,0]
	v_mul_f32_e32 v1, v1, v175
	ds_read_b128 v[129:132], v20 offset:64
	v_fma_mix_f32 v1, v126, v174, -v1 op_sel_hi:[0,1,0]
	v_add_f32_e32 v9, v9, v1
	ds_read_b128 v[133:136], v20 offset:80
	ds_read_b128 v[137:140], v20 offset:96
	;; [unrolled: 1-line block ×3, first 2 shown]
	ds_read2_b32 v[1:2], v25 offset0:18 offset1:19
	s_waitcnt lgkmcnt(4)
	v_dot4_i32_i8 v126, v153, v129, 0
	v_dot4_i32_i8 v176, v154, v130, v126
	ds_read2_b32 v[126:127], v25 offset0:20 offset1:21
	ds_read2_b32 v[153:154], v25 offset0:22 offset1:23
	;; [unrolled: 1-line block ×3, first 2 shown]
	v_lshrrev_b32_e32 v163, 24, v147
	s_waitcnt lgkmcnt(3)
	v_dot4_i32_i8 v1, v1, v131, v176
	v_dot4_i32_i8 v1, v2, v132, v1
	s_waitcnt lgkmcnt(2)
	v_dot4_i32_i8 v1, v126, v133, v1
	v_dot4_i32_i8 v1, v127, v134, v1
	;; [unrolled: 3-line block ×4, first 2 shown]
	v_dot4_i32_i8 v1, v149, v139, v1
	v_dot4_i32_i8 v1, v150, v140, v1
	;; [unrolled: 1-line block ×8, first 2 shown]
	v_add_u32_e32 v1, 0x20c8, v25
	ds_read2_b32 v[1:2], v1 offset1:1
	v_cvt_f32_ubyte2_e32 v154, v148
	v_cvt_f32_ubyte3_e32 v155, v148
	v_add_u32_e32 v126, 0x20d0, v25
	v_add_u32_e32 v148, 0x20d8, v25
	v_add_u32_e32 v150, 0x20e0, v25
	ds_read2_b32 v[126:127], v126 offset1:1
	ds_read2_b32 v[148:149], v148 offset1:1
	ds_read2_b32 v[150:151], v150 offset1:1
	s_waitcnt lgkmcnt(3)
	v_dot4_i32_i8 v1, v1, v131, v156
	v_dot4_i32_i8 v1, v2, v132, v1
	s_waitcnt lgkmcnt(2)
	v_dot4_i32_i8 v1, v126, v133, v1
	v_dot4_i32_i8 v1, v127, v134, v1
	s_waitcnt lgkmcnt(1)
	v_dot4_i32_i8 v1, v148, v135, v1
	v_dot4_i32_i8 v156, v149, v136, v1
	s_waitcnt lgkmcnt(0)
	v_dot4_i32_i8 v1, v150, v137, 0
	v_dot4_i32_i8 v160, v151, v138, v1
	v_add_u32_e32 v1, 0x20e8, v25
	ds_read2_b32 v[1:2], v1 offset1:1
	v_add_u32_e32 v126, 0x20f0, v25
	v_add_u32_e32 v148, 0x20f8, v25
	v_add_u32_e32 v150, 0x4140, v25
	ds_read2_b32 v[126:127], v126 offset1:1
	ds_read2_b32 v[148:149], v148 offset1:1
	ds_read2_b32 v[150:151], v150 offset1:1
	s_waitcnt lgkmcnt(3)
	v_dot4_i32_i8 v1, v1, v139, v160
	v_dot4_i32_i8 v1, v2, v140, v1
	s_waitcnt lgkmcnt(2)
	v_dot4_i32_i8 v1, v126, v141, v1
	v_dot4_i32_i8 v1, v127, v142, v1
	s_waitcnt lgkmcnt(1)
	v_dot4_i32_i8 v1, v148, v143, v1
	v_dot4_i32_i8 v160, v149, v144, v1
	s_waitcnt lgkmcnt(0)
	v_dot4_i32_i8 v1, v150, v129, 0
	v_dot4_i32_i8 v161, v151, v130, v1
	v_add_u32_e32 v1, 0x4148, v25
	ds_read2_b32 v[1:2], v1 offset1:1
	;; [unrolled: 20-line block ×5, first 2 shown]
	v_add_u32_e32 v126, 0x61f0, v25
	ds_read2_b32 v[126:127], v126 offset1:1
	v_add_u32_e32 v129, 0x61f8, v25
	ds_read2_b32 v[129:130], v129 offset1:1
	s_waitcnt lgkmcnt(2)
	v_dot4_i32_i8 v1, v1, v139, v133
	v_dot4_i32_i8 v1, v2, v140, v1
	v_bfe_u32 v2, v147, 16, 8
	v_mul_lo_u32 v2, v153, v2
	s_waitcnt lgkmcnt(1)
	v_dot4_i32_i8 v1, v126, v141, v1
	v_mul_lo_u32 v126, v152, v163
	v_dot4_i32_i8 v1, v127, v142, v1
	v_cvt_f32_i32_e32 v2, v2
	v_fma_mix_f32 v127, v3, v154, 0 op_sel:[1,0,0] op_sel_hi:[1,0,0]
	v_cvt_f32_i32_e32 v126, v126
	v_lshrrev_b32_e32 v164, 24, v145
	v_fma_mix_f32 v2, v3, v2, 0 op_sel_hi:[1,0,0]
	s_waitcnt lgkmcnt(0)
	v_dot4_i32_i8 v1, v129, v143, v1
	v_fma_mix_f32 v2, v4, v126, v2 op_sel_hi:[1,0,0]
	v_fma_mix_f32 v126, v4, v155, v127 op_sel:[1,0,0] op_sel_hi:[1,0,0]
	v_bfe_u32 v127, v145, 16, 8
	v_mul_lo_u32 v127, v156, v127
	v_mul_lo_u32 v129, v160, v164
	v_mul_f32_e32 v126, v126, v171
	v_fma_mix_f32 v2, v2, v128, -v126 op_sel_hi:[0,1,0]
	v_cvt_f32_i32_e32 v126, v127
	v_cvt_f32_i32_e32 v127, v129
	v_lshrrev_b32_e32 v168, 24, v157
	v_cvt_f32_ubyte2_e32 v159, v146
	v_fma_mix_f32 v126, v3, v126, 0 op_sel_hi:[1,0,0]
	v_fma_mix_f32 v126, v4, v127, v126 op_sel_hi:[1,0,0]
	v_bfe_u32 v127, v157, 16, 8
	v_mul_lo_u32 v127, v161, v127
	v_cvt_f32_ubyte3_e32 v146, v146
	v_add_f32_e32 v82, v82, v2
	v_fma_mix_f32 v2, v3, v159, 0 op_sel:[1,0,0] op_sel_hi:[1,0,0]
	v_mul_lo_u32 v128, v176, v168
	v_fma_mix_f32 v2, v4, v146, v2 op_sel:[1,0,0] op_sel_hi:[1,0,0]
	v_mul_f32_e32 v2, v2, v179
	v_fma_mix_f32 v2, v126, v172, -v2 op_sel_hi:[0,1,0]
	v_cvt_f32_i32_e32 v126, v127
	v_cvt_f32_i32_e32 v128, v128
	v_lshrrev_b32_e32 v170, 24, v165
	v_dot4_i32_i8 v1, v130, v144, v1
	v_fma_mix_f32 v126, v3, v126, 0 op_sel_hi:[1,0,0]
	v_fma_mix_f32 v126, v4, v128, v126 op_sel_hi:[1,0,0]
	v_bfe_u32 v128, v165, 16, 8
	v_mul_lo_u32 v128, v131, v128
	v_mul_lo_u32 v1, v1, v170
	v_cvt_f32_ubyte2_e32 v162, v158
	v_cvt_f32_ubyte3_e32 v158, v158
	v_add_f32_e32 v127, v167, v2
	v_fma_mix_f32 v2, v3, v162, 0 op_sel:[1,0,0] op_sel_hi:[1,0,0]
	v_cvt_f32_i32_e32 v128, v128
	v_fma_mix_f32 v2, v4, v158, v2 op_sel:[1,0,0] op_sel_hi:[1,0,0]
	v_cvt_f32_i32_e32 v1, v1
	v_mul_f32_e32 v2, v2, v184
	v_fma_mix_f32 v2, v126, v173, -v2 op_sel_hi:[0,1,0]
	v_cvt_f32_ubyte2_e32 v132, v166
	v_add_f32_e32 v126, v169, v2
	v_fma_mix_f32 v2, v3, v128, 0 op_sel_hi:[1,0,0]
	v_fma_mix_f32 v3, v3, v132, 0 op_sel:[1,0,0] op_sel_hi:[1,0,0]
	v_fma_mix_f32 v1, v4, v1, v2 op_sel_hi:[1,0,0]
	v_cvt_f32_ubyte3_e32 v2, v166
	v_fma_mix_f32 v2, v4, v2, v3 op_sel:[1,0,0] op_sel_hi:[1,0,0]
	v_mul_f32_e32 v2, v2, v175
	v_fma_mix_f32 v1, v1, v174, -v2 op_sel_hi:[0,1,0]
	v_add_f32_e32 v9, v9, v1
	s_cmp_ge_i32 s12, s19
	s_barrier
	s_cbranch_scc1 .LBB233_5
; %bb.12:                               ;   in Loop: Header=BB233_6 Depth=1
	v_cmp_gt_i32_e32 vcc, s9, v27
	s_and_b64 s[24:25], s[2:3], vcc
	s_and_saveexec_b64 s[4:5], s[24:25]
	s_cbranch_execz .LBB233_14
; %bb.13:                               ;   in Loop: Header=BB233_6 Depth=1
	v_add_u32_e32 v1, v34, v27
	v_mad_i64_i32 v[1:2], s[24:25], v1, 36, v[5:6]
	global_load_dword v1, v[1:2], off offset:4
	s_waitcnt vmcnt(0)
	ds_write_b32 v21, v1
.LBB233_14:                             ;   in Loop: Header=BB233_6 Depth=1
	s_or_b64 exec, exec, s[4:5]
	s_and_saveexec_b64 s[4:5], s[0:1]
	s_cbranch_execz .LBB233_4
; %bb.15:                               ;   in Loop: Header=BB233_6 Depth=1
	v_add_u32_e32 v1, 4, v125
	v_cmp_gt_i32_e32 vcc, s9, v1
	s_and_b64 s[24:25], s[2:3], vcc
	s_and_b64 exec, exec, s[24:25]
	s_cbranch_execz .LBB233_4
; %bb.16:                               ;   in Loop: Header=BB233_6 Depth=1
	v_ashrrev_i32_e32 v1, 31, v125
	v_add_co_u32_e32 v2, vcc, v34, v125
	v_addc_co_u32_e32 v3, vcc, v35, v1, vcc
	v_mad_u64_u32 v[1:2], s[24:25], v2, 36, s[14:15]
	v_mad_i32_i24 v2, v3, 36, v2
	global_load_dword v1, v[1:2], off offset:144
	v_add_u32_e32 v2, v19, v22
	s_waitcnt vmcnt(0)
	ds_write_b32 v2, v1
	s_branch .LBB233_4
.LBB233_17:
	s_mul_i32 s0, s11, s8
	s_waitcnt vmcnt(0)
	v_cmp_gt_i32_e32 vcc, s0, v10
	s_and_saveexec_b64 s[0:1], vcc
	s_cbranch_execz .LBB233_26
; %bb.18:
	v_mul_lo_u32 v1, v10, s10
	v_add_u32_e32 v0, s22, v0
	v_cmp_gt_u32_e32 vcc, s10, v0
	s_and_saveexec_b64 s[0:1], vcc
	s_cbranch_execz .LBB233_20
; %bb.19:
	v_bfe_u32 v2, v82, 16, 1
	s_movk_i32 s2, 0x7fff
	v_add3_u32 v2, v82, v2, s2
	v_cmp_o_f32_e32 vcc, v82, v82
	v_mov_b32_e32 v3, 0x7fc0
	v_cndmask_b32_sdwa v4, v3, v2, vcc dst_sel:DWORD dst_unused:UNUSED_PAD src0_sel:DWORD src1_sel:WORD_1
	v_add_u32_e32 v2, v1, v0
	v_mov_b32_e32 v3, 0
	v_lshlrev_b64 v[2:3], 1, v[2:3]
	v_mov_b32_e32 v5, s17
	v_add_co_u32_e32 v2, vcc, s16, v2
	v_addc_co_u32_e32 v3, vcc, v5, v3, vcc
	global_store_short v[2:3], v4, off
.LBB233_20:
	s_or_b64 exec, exec, s[0:1]
	v_add_u32_e32 v2, 32, v0
	v_cmp_gt_u32_e32 vcc, s10, v2
	s_and_saveexec_b64 s[0:1], vcc
	s_cbranch_execz .LBB233_22
; %bb.21:
	v_bfe_u32 v3, v127, 16, 1
	s_movk_i32 s2, 0x7fff
	v_add3_u32 v3, v127, v3, s2
	v_cmp_o_f32_e32 vcc, v127, v127
	v_mov_b32_e32 v4, 0x7fc0
	v_cndmask_b32_sdwa v4, v4, v3, vcc dst_sel:DWORD dst_unused:UNUSED_PAD src0_sel:DWORD src1_sel:WORD_1
	v_add_u32_e32 v2, v1, v2
	v_mov_b32_e32 v3, 0
	v_lshlrev_b64 v[2:3], 1, v[2:3]
	v_mov_b32_e32 v5, s17
	v_add_co_u32_e32 v2, vcc, s16, v2
	v_addc_co_u32_e32 v3, vcc, v5, v3, vcc
	global_store_short v[2:3], v4, off
.LBB233_22:
	s_or_b64 exec, exec, s[0:1]
	v_add_u32_e32 v2, 64, v0
	v_cmp_gt_u32_e32 vcc, s10, v2
	s_and_saveexec_b64 s[0:1], vcc
	s_cbranch_execz .LBB233_24
; %bb.23:
	v_bfe_u32 v3, v126, 16, 1
	s_movk_i32 s2, 0x7fff
	v_add3_u32 v3, v126, v3, s2
	v_cmp_o_f32_e32 vcc, v126, v126
	v_mov_b32_e32 v4, 0x7fc0
	v_cndmask_b32_sdwa v4, v4, v3, vcc dst_sel:DWORD dst_unused:UNUSED_PAD src0_sel:DWORD src1_sel:WORD_1
	v_add_u32_e32 v2, v1, v2
	v_mov_b32_e32 v3, 0
	v_lshlrev_b64 v[2:3], 1, v[2:3]
	v_mov_b32_e32 v5, s17
	v_add_co_u32_e32 v2, vcc, s16, v2
	v_addc_co_u32_e32 v3, vcc, v5, v3, vcc
	global_store_short v[2:3], v4, off
.LBB233_24:
	s_or_b64 exec, exec, s[0:1]
	v_add_u32_e32 v0, 0x60, v0
	v_cmp_gt_u32_e32 vcc, s10, v0
	s_and_b64 exec, exec, vcc
	s_cbranch_execz .LBB233_26
; %bb.25:
	v_add_u32_e32 v0, v1, v0
	v_mov_b32_e32 v1, 0
	v_bfe_u32 v2, v9, 16, 1
	s_movk_i32 s0, 0x7fff
	v_lshlrev_b64 v[0:1], 1, v[0:1]
	v_add3_u32 v2, v9, v2, s0
	v_cmp_o_f32_e32 vcc, v9, v9
	v_mov_b32_e32 v3, 0x7fc0
	v_cndmask_b32_sdwa v2, v3, v2, vcc dst_sel:DWORD dst_unused:UNUSED_PAD src0_sel:DWORD src1_sel:WORD_1
	v_mov_b32_e32 v3, s17
	v_add_co_u32_e32 v0, vcc, s16, v0
	v_addc_co_u32_e32 v1, vcc, v3, v1, vcc
	global_store_short v[0:1], v2, off
.LBB233_26:
	s_endpgm
	.section	.rodata,"a",@progbits
	.p2align	6, 0x0
	.amdhsa_kernel _ZL8moe_q5_KIN3c108BFloat16ELb0EEvPKvS3_PT_PKiS7_S7_iiiiiii
		.amdhsa_group_segment_fixed_size 37072
		.amdhsa_private_segment_fixed_size 0
		.amdhsa_kernarg_size 76
		.amdhsa_user_sgpr_count 6
		.amdhsa_user_sgpr_private_segment_buffer 1
		.amdhsa_user_sgpr_dispatch_ptr 0
		.amdhsa_user_sgpr_queue_ptr 0
		.amdhsa_user_sgpr_kernarg_segment_ptr 1
		.amdhsa_user_sgpr_dispatch_id 0
		.amdhsa_user_sgpr_flat_scratch_init 0
		.amdhsa_user_sgpr_private_segment_size 0
		.amdhsa_uses_dynamic_stack 0
		.amdhsa_system_sgpr_private_segment_wavefront_offset 0
		.amdhsa_system_sgpr_workgroup_id_x 1
		.amdhsa_system_sgpr_workgroup_id_y 1
		.amdhsa_system_sgpr_workgroup_id_z 0
		.amdhsa_system_sgpr_workgroup_info 0
		.amdhsa_system_vgpr_workitem_id 1
		.amdhsa_next_free_vgpr 185
		.amdhsa_next_free_sgpr 98
		.amdhsa_reserve_vcc 1
		.amdhsa_reserve_flat_scratch 0
		.amdhsa_float_round_mode_32 0
		.amdhsa_float_round_mode_16_64 0
		.amdhsa_float_denorm_mode_32 3
		.amdhsa_float_denorm_mode_16_64 3
		.amdhsa_dx10_clamp 1
		.amdhsa_ieee_mode 1
		.amdhsa_fp16_overflow 0
		.amdhsa_exception_fp_ieee_invalid_op 0
		.amdhsa_exception_fp_denorm_src 0
		.amdhsa_exception_fp_ieee_div_zero 0
		.amdhsa_exception_fp_ieee_overflow 0
		.amdhsa_exception_fp_ieee_underflow 0
		.amdhsa_exception_fp_ieee_inexact 0
		.amdhsa_exception_int_div_zero 0
	.end_amdhsa_kernel
	.section	.text._ZL8moe_q5_KIN3c108BFloat16ELb0EEvPKvS3_PT_PKiS7_S7_iiiiiii,"axG",@progbits,_ZL8moe_q5_KIN3c108BFloat16ELb0EEvPKvS3_PT_PKiS7_S7_iiiiiii,comdat
.Lfunc_end233:
	.size	_ZL8moe_q5_KIN3c108BFloat16ELb0EEvPKvS3_PT_PKiS7_S7_iiiiiii, .Lfunc_end233-_ZL8moe_q5_KIN3c108BFloat16ELb0EEvPKvS3_PT_PKiS7_S7_iiiiiii
                                        ; -- End function
	.set _ZL8moe_q5_KIN3c108BFloat16ELb0EEvPKvS3_PT_PKiS7_S7_iiiiiii.num_vgpr, 185
	.set _ZL8moe_q5_KIN3c108BFloat16ELb0EEvPKvS3_PT_PKiS7_S7_iiiiiii.num_agpr, 0
	.set _ZL8moe_q5_KIN3c108BFloat16ELb0EEvPKvS3_PT_PKiS7_S7_iiiiiii.numbered_sgpr, 26
	.set _ZL8moe_q5_KIN3c108BFloat16ELb0EEvPKvS3_PT_PKiS7_S7_iiiiiii.num_named_barrier, 0
	.set _ZL8moe_q5_KIN3c108BFloat16ELb0EEvPKvS3_PT_PKiS7_S7_iiiiiii.private_seg_size, 0
	.set _ZL8moe_q5_KIN3c108BFloat16ELb0EEvPKvS3_PT_PKiS7_S7_iiiiiii.uses_vcc, 1
	.set _ZL8moe_q5_KIN3c108BFloat16ELb0EEvPKvS3_PT_PKiS7_S7_iiiiiii.uses_flat_scratch, 0
	.set _ZL8moe_q5_KIN3c108BFloat16ELb0EEvPKvS3_PT_PKiS7_S7_iiiiiii.has_dyn_sized_stack, 0
	.set _ZL8moe_q5_KIN3c108BFloat16ELb0EEvPKvS3_PT_PKiS7_S7_iiiiiii.has_recursion, 0
	.set _ZL8moe_q5_KIN3c108BFloat16ELb0EEvPKvS3_PT_PKiS7_S7_iiiiiii.has_indirect_call, 0
	.section	.AMDGPU.csdata,"",@progbits
; Kernel info:
; codeLenInByte = 12212
; TotalNumSgprs: 30
; NumVgprs: 185
; ScratchSize: 0
; MemoryBound: 0
; FloatMode: 240
; IeeeMode: 1
; LDSByteSize: 37072 bytes/workgroup (compile time only)
; SGPRBlocks: 12
; VGPRBlocks: 46
; NumSGPRsForWavesPerEU: 102
; NumVGPRsForWavesPerEU: 185
; Occupancy: 1
; WaveLimiterHint : 1
; COMPUTE_PGM_RSRC2:SCRATCH_EN: 0
; COMPUTE_PGM_RSRC2:USER_SGPR: 6
; COMPUTE_PGM_RSRC2:TRAP_HANDLER: 0
; COMPUTE_PGM_RSRC2:TGID_X_EN: 1
; COMPUTE_PGM_RSRC2:TGID_Y_EN: 1
; COMPUTE_PGM_RSRC2:TGID_Z_EN: 0
; COMPUTE_PGM_RSRC2:TIDIG_COMP_CNT: 1
	.section	.text._ZL8moe_q5_KIN3c108BFloat16ELb1EEvPKvS3_PT_PKiS7_S7_iiiiiii,"axG",@progbits,_ZL8moe_q5_KIN3c108BFloat16ELb1EEvPKvS3_PT_PKiS7_S7_iiiiiii,comdat
	.globl	_ZL8moe_q5_KIN3c108BFloat16ELb1EEvPKvS3_PT_PKiS7_S7_iiiiiii ; -- Begin function _ZL8moe_q5_KIN3c108BFloat16ELb1EEvPKvS3_PT_PKiS7_S7_iiiiiii
	.p2align	8
	.type	_ZL8moe_q5_KIN3c108BFloat16ELb1EEvPKvS3_PT_PKiS7_S7_iiiiiii,@function
_ZL8moe_q5_KIN3c108BFloat16ELb1EEvPKvS3_PT_PKiS7_S7_iiiiiii: ; @_ZL8moe_q5_KIN3c108BFloat16ELb1EEvPKvS3_PT_PKiS7_S7_iiiiiii
; %bb.0:
	s_load_dwordx4 s[0:3], s[4:5], 0x18
	s_mov_b32 s8, s7
	s_mov_b32 s9, 0
	s_lshl_b64 s[10:11], s[8:9], 2
	s_waitcnt lgkmcnt(0)
	s_add_u32 s2, s2, s10
	s_addc_u32 s3, s3, s11
	s_load_dword s2, s[2:3], 0x0
	s_waitcnt lgkmcnt(0)
	s_cmpk_gt_u32 s2, 0xff
	s_cbranch_scc1 .LBB234_26
; %bb.1:
	s_load_dwordx2 s[10:11], s[4:5], 0x28
	s_lshl_b32 s3, s8, 3
	s_waitcnt lgkmcnt(0)
	s_load_dword s7, s[10:11], 0x0
	s_waitcnt lgkmcnt(0)
	s_cmp_gt_u32 s3, s7
	s_cbranch_scc1 .LBB234_26
; %bb.2:
	v_add_u32_e32 v24, s3, v1
	v_mov_b32_e32 v25, 0
	v_lshlrev_b64 v[2:3], 2, v[24:25]
	v_mov_b32_e32 v4, s1
	v_add_co_u32_e32 v2, vcc, s0, v2
	v_addc_co_u32_e32 v3, vcc, v4, v3, vcc
	global_load_dword v26, v[2:3], off
	s_load_dwordx8 s[8:15], s[4:5], 0x30
	s_load_dwordx2 s[20:21], s[4:5], 0x10
	s_waitcnt lgkmcnt(0)
	s_lshl_b32 s15, s6, 7
	v_mov_b32_e32 v125, v25
	v_mov_b32_e32 v126, v25
	s_cmpk_lt_i32 s9, 0x100
	v_mov_b32_e32 v87, v25
	s_cbranch_scc1 .LBB234_17
; %bb.3:
	s_ashr_i32 s0, s9, 31
	s_lshr_b32 s0, s0, 24
	s_add_i32 s0, s9, s0
	s_ashr_i32 s24, s0, 8
	s_ashr_i32 s0, s12, 31
	s_lshr_b32 s0, s0, 27
	s_add_i32 s0, s12, s0
	s_ashr_i32 s12, s0, 5
	s_not_b32 s0, s15
	v_lshlrev_b32_e32 v4, 1, v0
	v_and_b32_e32 v5, 7, v0
	s_mul_i32 s8, s2, s8
	s_add_i32 s2, s10, s0
	v_and_or_b32 v4, v4, 48, v5
	v_min_i32_e32 v5, s2, v1
	v_lshlrev_b32_e32 v4, 2, v4
	s_movk_i32 s3, 0x104
	v_mul_lo_u32 v48, v5, s24
	v_mad_u64_u32 v[5:6], s[0:1], v5, s3, v[4:5]
	v_add_u32_e32 v6, 8, v1
	v_min_i32_e32 v6, s2, v6
	v_mul_lo_u32 v53, v6, s24
	v_mad_u64_u32 v[6:7], s[0:1], v6, s3, v[4:5]
	v_add_u32_e32 v7, 16, v1
	v_min_i32_e32 v7, s2, v7
	;; [unrolled: 4-line block ×15, first 2 shown]
	v_mul_lo_u32 v112, v20, s24
	v_mad_u64_u32 v[20:21], s[0:1], v20, s3, v[4:5]
	v_lshl_add_u32 v4, v1, 5, v0
	v_and_b32_e32 v4, 0x7f, v4
	v_min_i32_e32 v4, s2, v4
	v_ashrrev_i32_e32 v21, 31, v4
	v_lshrrev_b32_e32 v21, 27, v21
	v_add_u32_e32 v21, v4, v21
	v_ashrrev_i32_e32 v21, 5, v21
	v_mul_lo_u32 v23, v4, s24
	v_lshlrev_b32_e32 v21, 2, v21
	v_lshlrev_b32_e32 v4, 2, v4
	s_mov_b32 s3, 0x8e40
	v_lshrrev_b32_e32 v25, 2, v0
	v_add3_u32 v29, v21, v4, s3
	v_and_b32_e32 v21, 3, v0
	v_and_b32_e32 v27, 6, v25
	v_lshl_add_u32 v4, v1, 3, v25
	v_add_u32_e32 v25, 0xfe, v21
	v_and_b32_e32 v25, 0xff, v25
	v_cmp_gt_u32_e32 vcc, 2, v21
	v_cndmask_b32_e32 v25, v25, v21, vcc
	v_cmp_ne_u32_e32 vcc, 0, v21
	v_and_b32_e32 v32, 0x7f, v4
	v_addc_co_u32_e32 v116, vcc, 0, v25, vcc
	v_lshlrev_b32_e32 v31, 1, v25
	v_min_i32_e32 v25, s2, v32
	v_xor_b32_e32 v32, 64, v32
	v_min_i32_e32 v32, s2, v32
	v_ashrrev_i32_e32 v33, 31, v32
	v_ashrrev_i32_e32 v4, 31, v25
	v_lshrrev_b32_e32 v33, 29, v33
	s_load_dwordx4 s[16:19], s[4:5], 0x0
	v_lshrrev_b32_e32 v4, 29, v4
	v_add_u32_e32 v33, v32, v33
	s_abs_i32 s5, s14
	v_add_u32_e32 v4, v25, v4
	v_ashrrev_i32_e32 v33, 3, v33
	v_cvt_f32_u32_e32 v42, s5
	v_cmp_lt_u32_e32 vcc, 1, v21
	v_ashrrev_i32_e32 v4, 3, v4
	v_lshlrev_b32_e32 v21, 2, v21
	s_mov_b32 s0, 0x8200
	v_lshlrev_b32_e32 v33, 2, v33
	v_lshlrev_b32_e32 v4, 2, v4
	v_add3_u32 v123, v33, v21, s0
	v_mov_b32_e32 v33, 0x8a40
	v_lshlrev_b32_e32 v22, 2, v0
	v_add3_u32 v4, v4, v21, s0
	v_and_b32_e32 v21, 31, v0
	v_lshl_add_u32 v33, v1, 7, v33
	v_lshrrev_b32_e32 v36, 3, v0
	v_lshrrev_b32_e32 v24, 5, v0
	v_lshl_add_u32 v34, v21, 2, v33
	v_lshlrev_b32_e32 v35, 4, v1
	v_add_u32_e32 v1, v36, v22
	v_mov_b32_e32 v21, 0x8200
	v_rcp_iflag_f32_e32 v43, v42
	v_lshl_add_u32 v37, v1, 2, v21
	v_lshlrev_b32_e32 v1, 2, v24
	v_add3_u32 v39, v22, v1, s3
	v_add_u32_e32 v1, 32, v0
	v_lshrrev_b32_e32 v40, 3, v1
	v_lshl_add_u32 v1, v1, 2, v40
	v_mul_f32_e32 v43, 0x4f7ffffe, v43
	v_lshl_add_u32 v41, v1, 2, v21
	v_and_b32_e32 v1, 60, v40
	v_cvt_u32_f32_e32 v45, v43
	v_add3_u32 v42, v22, v1, s3
	v_add_u32_e32 v1, 64, v0
	v_lshrrev_b32_e32 v44, 3, v1
	v_lshl_add_u32 v1, v1, 2, v44
	s_sub_i32 s2, 0, s5
	v_lshl_add_u32 v43, v1, 2, v21
	v_mul_lo_u32 v1, s2, v45
	s_waitcnt vmcnt(0)
	v_sub_u32_e32 v49, 0, v26
	v_max_i32_e32 v49, v26, v49
	v_add_u32_e32 v46, 0x60, v0
	v_mul_hi_u32 v1, v45, v1
	v_lshrrev_b32_e32 v47, 3, v46
	v_and_b32_e32 v44, 60, v44
	v_and_b32_e32 v2, 0x7c, v22
	v_add_u32_e32 v1, v45, v1
	v_mul_hi_u32 v1, v49, v1
	v_lshl_add_u32 v45, v46, 2, v47
	v_lshl_add_u32 v45, v45, 2, v21
	v_and_b32_e32 v21, 60, v47
	v_mul_lo_u32 v47, v1, s5
	v_and_b32_e32 v3, 28, v22
	v_and_b32_e32 v30, 4, v22
	v_mul_lo_u32 v117, v32, s24
	v_lshlrev_b32_e32 v124, 4, v32
	v_add_u32_e32 v32, 0x9050, v22
	v_add3_u32 v44, v22, v44, s3
	v_add3_u32 v46, v22, v21, s3
	v_sub_u32_e32 v22, v49, v47
	v_add_u32_e32 v47, 1, v1
	v_cmp_le_u32_e64 s[2:3], s5, v22
	v_cndmask_b32_e64 v1, v1, v47, s[2:3]
	v_subrev_u32_e32 v47, s5, v22
	v_cndmask_b32_e64 v22, v22, v47, s[2:3]
	v_xor_b32_e32 v21, s14, v26
	v_add_u32_e32 v47, 1, v1
	v_cmp_le_u32_e64 s[2:3], s5, v22
	s_mul_i32 s4, s24, s15
	v_ashrrev_i32_e32 v21, 31, v21
	v_cndmask_b32_e64 v1, v1, v47, s[2:3]
	v_xor_b32_e32 v1, v1, v21
	s_mul_i32 s22, s4, 0xb0
	v_sub_u32_e32 v1, v1, v21
	s_mul_hi_i32 s23, s4, 0xb0
	v_mov_b32_e32 v21, s22
	s_movk_i32 s10, 0xb0
	v_mov_b32_e32 v22, s23
	v_mad_u64_u32 v[108:109], s[4:5], v24, s10, v[21:22]
	s_waitcnt lgkmcnt(0)
	v_mov_b32_e32 v47, s19
	v_add_co_u32_e64 v21, s[4:5], s18, v3
	v_addc_co_u32_e64 v22, s[4:5], 0, v47, s[4:5]
	v_mad_i64_i32 v[51:52], s[4:5], v48, s10, v[108:109]
	v_cmp_gt_i32_e64 s[2:3], s11, v1
	v_mul_lo_u32 v47, v1, s12
	v_add_co_u32_e64 v1, s[4:5], v51, v3
	v_addc_co_u32_e64 v24, s[4:5], 0, v52, s[4:5]
	v_mov_b32_e32 v49, s17
	v_add_co_u32_e64 v1, s[4:5], s16, v1
	v_addc_co_u32_e64 v24, s[4:5], v49, v24, s[4:5]
	v_add_co_u32_e64 v49, s[4:5], 16, v1
	v_addc_co_u32_e64 v50, s[4:5], 0, v24, s[4:5]
	v_add_co_u32_e64 v1, s[4:5], v51, v2
	v_addc_co_u32_e64 v24, s[4:5], 0, v52, s[4:5]
	v_mov_b32_e32 v51, s17
	v_add_co_u32_e64 v1, s[4:5], s16, v1
	v_addc_co_u32_e64 v24, s[4:5], v51, v24, s[4:5]
	v_mad_i64_i32 v[55:56], s[4:5], v53, s10, v[108:109]
	v_add_co_u32_e64 v51, s[4:5], 48, v1
	v_addc_co_u32_e64 v52, s[4:5], 0, v24, s[4:5]
	v_add_co_u32_e64 v1, s[4:5], v55, v3
	v_addc_co_u32_e64 v24, s[4:5], 0, v56, s[4:5]
	v_mov_b32_e32 v53, s17
	v_add_co_u32_e64 v1, s[4:5], s16, v1
	v_addc_co_u32_e64 v24, s[4:5], v53, v24, s[4:5]
	v_add_co_u32_e64 v53, s[4:5], 16, v1
	v_addc_co_u32_e64 v54, s[4:5], 0, v24, s[4:5]
	v_add_co_u32_e64 v1, s[4:5], v55, v2
	v_addc_co_u32_e64 v24, s[4:5], 0, v56, s[4:5]
	v_mov_b32_e32 v55, s17
	v_add_co_u32_e64 v1, s[4:5], s16, v1
	v_addc_co_u32_e64 v24, s[4:5], v55, v24, s[4:5]
	v_mad_i64_i32 v[59:60], s[4:5], v57, s10, v[108:109]
	v_add_co_u32_e64 v55, s[4:5], 48, v1
	v_addc_co_u32_e64 v56, s[4:5], 0, v24, s[4:5]
	;; [unrolled: 15-line block ×15, first 2 shown]
	v_add_co_u32_e64 v1, s[4:5], v112, v3
	v_addc_co_u32_e64 v3, s[4:5], 0, v113, s[4:5]
	v_mov_b32_e32 v24, s17
	v_add_co_u32_e64 v1, s[4:5], s16, v1
	v_addc_co_u32_e64 v3, s[4:5], v24, v3, s[4:5]
	v_add_co_u32_e64 v110, s[4:5], 16, v1
	v_addc_co_u32_e64 v111, s[4:5], 0, v3, s[4:5]
	;; [unrolled: 2-line block ×3, first 2 shown]
	v_mov_b32_e32 v3, s17
	v_add_co_u32_e64 v1, s[4:5], s16, v1
	v_addc_co_u32_e64 v2, s[4:5], v3, v2, s[4:5]
	v_mul_lo_u32 v114, v25, s24
	v_cmp_gt_u32_e64 s[0:1], 4, v0
	v_add_co_u32_e64 v112, s[4:5], 48, v1
	s_ashr_i32 s25, s8, 31
	s_and_b64 s[6:7], s[0:1], s[2:3]
	v_addc_co_u32_e64 v113, s[4:5], 0, v2, s[4:5]
	s_add_u32 s4, s16, s22
	s_addc_u32 s5, s17, s23
	v_mov_b32_e32 v1, s4
	v_mov_b32_e32 v2, s5
	v_mad_i64_i32 v[114:115], s[4:5], v114, s10, 0
	v_mad_i64_i32 v[23:24], s[4:5], v23, s10, v[1:2]
	v_cndmask_b32_e64 v3, 0, 1, vcc
	v_add_co_u32_e64 v2, s[4:5], s22, v114
	v_lshlrev_b32_e32 v3, 2, v3
	v_mov_b32_e32 v1, s23
	v_or_b32_e32 v114, v2, v3
	v_cndmask_b32_e32 v30, 0, v30, vcc
	v_addc_co_u32_e64 v1, s[4:5], v1, v115, s[4:5]
	v_mov_b32_e32 v115, s17
	v_add_co_u32_e32 v114, vcc, s16, v114
	v_addc_co_u32_e32 v115, vcc, v115, v1, vcc
	v_add_co_u32_e32 v114, vcc, 4, v114
	v_addc_co_u32_e32 v115, vcc, 0, v115, vcc
	v_lshlrev_b32_e32 v120, 2, v116
	v_add_co_u32_e32 v2, vcc, v2, v120
	v_addc_co_u32_e32 v1, vcc, 0, v1, vcc
	v_mov_b32_e32 v116, s17
	v_add_co_u32_e32 v118, vcc, s16, v2
	v_addc_co_u32_e32 v119, vcc, v116, v1, vcc
	v_mad_i64_i32 v[1:2], s[4:5], v117, s10, 0
	v_add_co_u32_e32 v116, vcc, 4, v118
	v_addc_co_u32_e32 v117, vcc, 0, v119, vcc
	v_mov_b32_e32 v118, s23
	v_add_co_u32_e32 v1, vcc, s22, v1
	v_addc_co_u32_e32 v2, vcc, v118, v2, vcc
	v_or_b32_e32 v3, v1, v3
	v_mov_b32_e32 v118, s17
	v_add_co_u32_e32 v3, vcc, s16, v3
	v_addc_co_u32_e32 v119, vcc, v118, v2, vcc
	v_add_co_u32_e32 v118, vcc, 4, v3
	v_addc_co_u32_e32 v119, vcc, 0, v119, vcc
	;; [unrolled: 2-line block ×3, first 2 shown]
	v_mov_b32_e32 v3, s17
	v_add_co_u32_e32 v1, vcc, s16, v1
	v_addc_co_u32_e32 v2, vcc, v3, v2, vcc
	v_lshlrev_b32_e32 v25, 4, v25
	v_add_co_u32_e32 v120, vcc, 4, v1
	v_mov_b32_e32 v87, 0
	v_or_b32_e32 v28, 1, v27
	v_mul_u32_u24_e32 v38, 0x104, v0
	v_ashrrev_i32_e32 v48, 31, v47
	v_addc_co_u32_e32 v121, vcc, 0, v2, vcc
	s_movk_i32 s10, 0x80
	s_mov_b32 s16, 0x10101010
	s_mov_b32 s17, 0x30303030
	v_add_u32_e32 v122, v4, v25
	v_add_u32_e32 v123, v123, v124
	v_mov_b32_e32 v124, v0
	v_mov_b32_e32 v126, 0
	;; [unrolled: 1-line block ×4, first 2 shown]
	s_branch .LBB234_6
.LBB234_4:                              ;   in Loop: Header=BB234_6 Depth=1
	s_or_b64 exec, exec, s[4:5]
	s_waitcnt lgkmcnt(0)
	s_barrier
	ds_read_b128 v[128:131], v33
	ds_read_b128 v[132:135], v33 offset:16
	ds_read2_b32 v[144:145], v38 offset0:32 offset1:33
	ds_read_b128 v[136:139], v33 offset:32
	ds_read_b128 v[140:143], v33 offset:48
	ds_read_b32 v127, v39
	ds_read_b128 v[1:4], v35 offset:36944
	ds_read2_b32 v[146:147], v38 offset0:34 offset1:35
	s_waitcnt lgkmcnt(5)
	v_dot4_i32_i8 v144, v144, v128, 0
	v_dot4_i32_i8 v152, v145, v129, v144
	ds_read2_b32 v[144:145], v38 offset0:36 offset1:37
	ds_read2_b32 v[148:149], v38 offset0:38 offset1:39
	;; [unrolled: 1-line block ×3, first 2 shown]
	v_add_u32_e32 v156, 0x2110, v38
	s_waitcnt lgkmcnt(3)
	v_dot4_i32_i8 v146, v146, v130, v152
	v_dot4_i32_i8 v152, v147, v131, v146
	s_waitcnt lgkmcnt(2)
	v_dot4_i32_i8 v144, v144, v132, v152
	v_dot4_i32_i8 v144, v145, v133, v144
	;; [unrolled: 3-line block ×3, first 2 shown]
	ds_read2_b32 v[144:145], v38 offset0:42 offset1:43
	s_waitcnt lgkmcnt(1)
	v_dot4_i32_i8 v148, v150, v136, 0
	ds_read2_b32 v[146:147], v37 offset0:1 offset1:3
	v_dot4_i32_i8 v154, v151, v137, v148
	ds_read2_b32 v[148:149], v38 offset0:44 offset1:45
	ds_read2_b32 v[150:151], v38 offset0:46 offset1:47
	;; [unrolled: 1-line block ×3, first 2 shown]
	s_waitcnt lgkmcnt(4)
	v_dot4_i32_i8 v144, v144, v138, v154
	v_dot4_i32_i8 v144, v145, v139, v144
	s_waitcnt lgkmcnt(2)
	v_dot4_i32_i8 v144, v148, v140, v144
	v_dot4_i32_i8 v144, v149, v141, v144
	;; [unrolled: 3-line block ×3, first 2 shown]
	v_add_u32_e32 v144, 0x2100, v38
	ds_read2_b32 v[144:145], v144 offset1:1
	ds_read2_b32 v[148:149], v38 offset0:58 offset1:59
	ds_read2_b32 v[150:151], v38 offset0:60 offset1:61
	;; [unrolled: 1-line block ×3, first 2 shown]
	ds_read_b32 v171, v42 offset:128
	ds_read_b32 v172, v44 offset:256
	;; [unrolled: 1-line block ×3, first 2 shown]
	s_waitcnt lgkmcnt(6)
	v_dot4_i32_i8 v144, v144, v128, 0
	v_dot4_i32_i8 v162, v145, v129, v144
	v_add_u32_e32 v144, 0x2108, v38
	ds_read2_b32 v[144:145], v144 offset1:1
	v_add_u32_e32 v158, 0x2118, v38
	v_add_u32_e32 v160, 0x2120, v38
	ds_read2_b32 v[156:157], v156 offset1:1
	ds_read2_b32 v[158:159], v158 offset1:1
	;; [unrolled: 1-line block ×3, first 2 shown]
	v_cvt_f32_ubyte0_e32 v167, v147
	s_waitcnt lgkmcnt(3)
	v_dot4_i32_i8 v144, v144, v130, v162
	v_dot4_i32_i8 v162, v145, v131, v144
	s_waitcnt lgkmcnt(2)
	v_dot4_i32_i8 v156, v156, v132, v162
	v_dot4_i32_i8 v156, v157, v133, v156
	;; [unrolled: 3-line block ×4, first 2 shown]
	v_add_u32_e32 v156, 0x2128, v38
	ds_read2_b32 v[156:157], v156 offset1:1
	v_add_u32_e32 v158, 0x2130, v38
	v_add_u32_e32 v160, 0x2138, v38
	;; [unrolled: 1-line block ×3, first 2 shown]
	ds_read2_b32 v[144:145], v41 offset0:1 offset1:3
	ds_read2_b32 v[158:159], v158 offset1:1
	ds_read2_b32 v[160:161], v160 offset1:1
	;; [unrolled: 1-line block ×3, first 2 shown]
	s_waitcnt lgkmcnt(4)
	v_dot4_i32_i8 v156, v156, v138, v164
	v_dot4_i32_i8 v156, v157, v139, v156
	s_waitcnt lgkmcnt(2)
	v_dot4_i32_i8 v156, v158, v140, v156
	v_dot4_i32_i8 v156, v159, v141, v156
	;; [unrolled: 3-line block ×4, first 2 shown]
	v_add_u32_e32 v156, 0x4188, v38
	ds_read2_b32 v[156:157], v156 offset1:1
	v_add_u32_e32 v158, 0x4190, v38
	v_add_u32_e32 v160, 0x4198, v38
	v_add_u32_e32 v162, 0x41a0, v38
	ds_read2_b32 v[158:159], v158 offset1:1
	ds_read2_b32 v[160:161], v160 offset1:1
	;; [unrolled: 1-line block ×3, first 2 shown]
	s_waitcnt lgkmcnt(3)
	v_dot4_i32_i8 v156, v156, v130, v164
	v_dot4_i32_i8 v164, v157, v131, v156
	s_waitcnt lgkmcnt(2)
	v_dot4_i32_i8 v158, v158, v132, v164
	v_dot4_i32_i8 v158, v159, v133, v158
	;; [unrolled: 3-line block ×4, first 2 shown]
	v_add_u32_e32 v158, 0x41a8, v38
	v_add_u32_e32 v160, 0x41b0, v38
	;; [unrolled: 1-line block ×4, first 2 shown]
	ds_read2_b32 v[156:157], v43 offset0:1 offset1:3
	ds_read2_b32 v[158:159], v158 offset1:1
	ds_read2_b32 v[160:161], v160 offset1:1
	;; [unrolled: 1-line block ×4, first 2 shown]
	v_cvt_f32_ubyte1_e32 v169, v147
	v_cvt_f32_f16_sdwa v170, v127 dst_sel:DWORD dst_unused:UNUSED_PAD src0_sel:WORD_1
	v_cvt_f32_ubyte0_e32 v175, v145
	s_waitcnt lgkmcnt(3)
	v_dot4_i32_i8 v158, v158, v138, v181
	s_waitcnt lgkmcnt(0)
	v_dot4_i32_i8 v128, v164, v128, 0
	v_dot4_i32_i8 v158, v159, v139, v158
	;; [unrolled: 1-line block ×3, first 2 shown]
	v_add_u32_e32 v128, 0x6208, v38
	v_dot4_i32_i8 v158, v160, v140, v158
	ds_read2_b32 v[128:129], v128 offset1:1
	v_dot4_i32_i8 v158, v161, v141, v158
	v_dot4_i32_i8 v158, v162, v142, v158
	;; [unrolled: 1-line block ×3, first 2 shown]
	v_add_u32_e32 v158, 0x6210, v38
	v_add_u32_e32 v160, 0x6218, v38
	v_add_u32_e32 v162, 0x6220, v38
	ds_read2_b32 v[158:159], v158 offset1:1
	ds_read2_b32 v[160:161], v160 offset1:1
	;; [unrolled: 1-line block ×3, first 2 shown]
	s_waitcnt lgkmcnt(3)
	v_dot4_i32_i8 v128, v128, v130, v164
	v_dot4_i32_i8 v128, v129, v131, v128
	s_waitcnt lgkmcnt(2)
	v_dot4_i32_i8 v128, v158, v132, v128
	v_dot4_i32_i8 v128, v159, v133, v128
	;; [unrolled: 3-line block ×4, first 2 shown]
	v_add_u32_e32 v128, 0x6228, v38
	ds_read2_b32 v[128:129], v128 offset1:1
	v_add_u32_e32 v130, 0x6230, v38
	v_add_u32_e32 v132, 0x6238, v38
	ds_read2_b32 v[164:165], v45 offset0:1 offset1:3
	v_add_u32_e32 v137, 0x2140, v38
	ds_read2_b32 v[130:131], v130 offset1:1
	ds_read2_b32 v[132:133], v132 offset1:1
	;; [unrolled: 1-line block ×3, first 2 shown]
	s_waitcnt lgkmcnt(4)
	v_dot4_i32_i8 v128, v128, v138, v136
	v_dot4_i32_i8 v128, v129, v139, v128
	v_and_b32_e32 v129, 0xff, v146
	s_waitcnt lgkmcnt(2)
	v_dot4_i32_i8 v128, v130, v140, v128
	v_bfe_u32 v130, v146, 8, 8
	v_mul_lo_u32 v129, v166, v129
	v_mul_lo_u32 v130, v168, v130
	v_dot4_i32_i8 v128, v131, v141, v128
	v_fma_mix_f32 v131, v1, v167, 0 op_sel:[1,0,0] op_sel_hi:[1,0,0]
	v_cvt_f32_i32_e32 v129, v129
	v_cvt_f32_i32_e32 v130, v130
	s_waitcnt lgkmcnt(1)
	v_dot4_i32_i8 v128, v132, v142, v128
	v_bfe_u32 v132, v144, 8, 8
	v_fma_mix_f32 v129, v1, v129, 0 op_sel_hi:[1,0,0]
	v_fma_mix_f32 v129, v2, v130, v129 op_sel_hi:[1,0,0]
	v_fma_mix_f32 v130, v2, v169, v131 op_sel:[1,0,0] op_sel_hi:[1,0,0]
	v_and_b32_e32 v131, 0xff, v144
	v_mul_lo_u32 v131, v174, v131
	v_mul_lo_u32 v132, v176, v132
	v_mul_f32_e32 v130, v130, v170
	v_fma_mix_f32 v129, v129, v127, -v130 op_sel_hi:[0,1,0]
	v_add_f32_e32 v87, v87, v129
	v_cvt_f32_i32_e32 v129, v131
	v_cvt_f32_i32_e32 v130, v132
	v_cvt_f32_ubyte1_e32 v177, v145
	v_cvt_f32_f16_sdwa v178, v171 dst_sel:DWORD dst_unused:UNUSED_PAD src0_sel:WORD_1
	v_fma_mix_f32 v131, v1, v175, 0 op_sel:[1,0,0] op_sel_hi:[1,0,0]
	v_fma_mix_f32 v129, v1, v129, 0 op_sel_hi:[1,0,0]
	v_fma_mix_f32 v129, v2, v130, v129 op_sel_hi:[1,0,0]
	v_fma_mix_f32 v130, v2, v177, v131 op_sel:[1,0,0] op_sel_hi:[1,0,0]
	v_and_b32_e32 v131, 0xff, v156
	v_bfe_u32 v132, v156, 8, 8
	v_mul_lo_u32 v131, v179, v131
	v_mul_lo_u32 v132, v181, v132
	v_mul_f32_e32 v130, v130, v178
	v_fma_mix_f32 v129, v129, v171, -v130 op_sel_hi:[0,1,0]
	v_add_f32_e32 v166, v126, v129
	v_cvt_f32_i32_e32 v126, v131
	v_cvt_f32_i32_e32 v129, v132
	v_cvt_f32_f16_sdwa v183, v172 dst_sel:DWORD dst_unused:UNUSED_PAD src0_sel:WORD_1
	v_cvt_f32_ubyte0_e32 v180, v157
	v_cvt_f32_ubyte1_e32 v182, v157
	v_fma_mix_f32 v130, v1, v180, 0 op_sel:[1,0,0] op_sel_hi:[1,0,0]
	v_fma_mix_f32 v126, v1, v126, 0 op_sel_hi:[1,0,0]
	v_fma_mix_f32 v126, v2, v129, v126 op_sel_hi:[1,0,0]
	v_fma_mix_f32 v129, v2, v182, v130 op_sel:[1,0,0] op_sel_hi:[1,0,0]
	v_mul_f32_e32 v129, v129, v183
	v_and_b32_e32 v130, 0xff, v164
	v_dot4_i32_i8 v128, v133, v143, v128
	v_mul_lo_u32 v130, v134, v130
	v_fma_mix_f32 v126, v126, v172, -v129 op_sel_hi:[0,1,0]
	v_bfe_u32 v129, v164, 8, 8
	v_mul_lo_u32 v128, v128, v129
	v_cvt_f32_i32_e32 v129, v130
	v_add_f32_e32 v168, v125, v126
	v_cvt_f32_f16_sdwa v174, v173 dst_sel:DWORD dst_unused:UNUSED_PAD src0_sel:WORD_1
	v_cvt_f32_i32_e32 v125, v128
	v_cvt_f32_ubyte0_e32 v135, v165
	v_fma_mix_f32 v126, v1, v129, 0 op_sel_hi:[1,0,0]
	v_fma_mix_f32 v1, v1, v135, 0 op_sel:[1,0,0] op_sel_hi:[1,0,0]
	v_fma_mix_f32 v125, v2, v125, v126 op_sel_hi:[1,0,0]
	v_cvt_f32_ubyte1_e32 v126, v165
	v_fma_mix_f32 v1, v2, v126, v1 op_sel:[1,0,0] op_sel_hi:[1,0,0]
	v_mul_f32_e32 v1, v1, v174
	ds_read_b128 v[128:131], v33 offset:64
	v_fma_mix_f32 v1, v125, v173, -v1 op_sel_hi:[0,1,0]
	v_add_f32_e32 v25, v25, v1
	ds_read_b128 v[132:135], v33 offset:80
	ds_read_b128 v[136:139], v33 offset:96
	;; [unrolled: 1-line block ×3, first 2 shown]
	ds_read2_b32 v[1:2], v38 offset0:50 offset1:51
	s_waitcnt lgkmcnt(4)
	v_dot4_i32_i8 v125, v152, v128, 0
	v_dot4_i32_i8 v175, v153, v129, v125
	ds_read2_b32 v[125:126], v38 offset0:52 offset1:53
	ds_read2_b32 v[152:153], v38 offset0:54 offset1:55
	;; [unrolled: 1-line block ×3, first 2 shown]
	v_lshrrev_b32_e32 v162, 24, v146
	s_waitcnt lgkmcnt(3)
	v_dot4_i32_i8 v1, v1, v130, v175
	v_dot4_i32_i8 v1, v2, v131, v1
	s_waitcnt lgkmcnt(2)
	v_dot4_i32_i8 v1, v125, v132, v1
	v_dot4_i32_i8 v1, v126, v133, v1
	;; [unrolled: 3-line block ×4, first 2 shown]
	v_dot4_i32_i8 v1, v148, v138, v1
	v_dot4_i32_i8 v1, v149, v139, v1
	;; [unrolled: 1-line block ×8, first 2 shown]
	v_add_u32_e32 v1, 0x2148, v38
	ds_read2_b32 v[1:2], v1 offset1:1
	v_cvt_f32_ubyte2_e32 v153, v147
	v_cvt_f32_ubyte3_e32 v154, v147
	v_add_u32_e32 v125, 0x2150, v38
	v_add_u32_e32 v147, 0x2158, v38
	v_add_u32_e32 v149, 0x2160, v38
	ds_read2_b32 v[125:126], v125 offset1:1
	ds_read2_b32 v[147:148], v147 offset1:1
	ds_read2_b32 v[149:150], v149 offset1:1
	s_waitcnt lgkmcnt(3)
	v_dot4_i32_i8 v1, v1, v130, v155
	v_dot4_i32_i8 v1, v2, v131, v1
	s_waitcnt lgkmcnt(2)
	v_dot4_i32_i8 v1, v125, v132, v1
	v_dot4_i32_i8 v1, v126, v133, v1
	s_waitcnt lgkmcnt(1)
	v_dot4_i32_i8 v1, v147, v134, v1
	v_dot4_i32_i8 v155, v148, v135, v1
	s_waitcnt lgkmcnt(0)
	v_dot4_i32_i8 v1, v149, v136, 0
	v_dot4_i32_i8 v159, v150, v137, v1
	v_add_u32_e32 v1, 0x2168, v38
	ds_read2_b32 v[1:2], v1 offset1:1
	v_add_u32_e32 v125, 0x2170, v38
	v_add_u32_e32 v147, 0x2178, v38
	v_add_u32_e32 v149, 0x41c0, v38
	ds_read2_b32 v[125:126], v125 offset1:1
	ds_read2_b32 v[147:148], v147 offset1:1
	ds_read2_b32 v[149:150], v149 offset1:1
	s_waitcnt lgkmcnt(3)
	v_dot4_i32_i8 v1, v1, v138, v159
	v_dot4_i32_i8 v1, v2, v139, v1
	s_waitcnt lgkmcnt(2)
	v_dot4_i32_i8 v1, v125, v140, v1
	v_dot4_i32_i8 v1, v126, v141, v1
	s_waitcnt lgkmcnt(1)
	v_dot4_i32_i8 v1, v147, v142, v1
	v_dot4_i32_i8 v159, v148, v143, v1
	s_waitcnt lgkmcnt(0)
	v_dot4_i32_i8 v1, v149, v128, 0
	v_dot4_i32_i8 v160, v150, v129, v1
	v_add_u32_e32 v1, 0x41c8, v38
	ds_read2_b32 v[1:2], v1 offset1:1
	;; [unrolled: 20-line block ×5, first 2 shown]
	v_add_u32_e32 v125, 0x6270, v38
	ds_read2_b32 v[125:126], v125 offset1:1
	v_add_u32_e32 v128, 0x6278, v38
	ds_read2_b32 v[128:129], v128 offset1:1
	s_waitcnt lgkmcnt(2)
	v_dot4_i32_i8 v1, v1, v138, v132
	v_dot4_i32_i8 v1, v2, v139, v1
	v_bfe_u32 v2, v146, 16, 8
	v_mul_lo_u32 v2, v152, v2
	s_waitcnt lgkmcnt(1)
	v_dot4_i32_i8 v1, v125, v140, v1
	v_mul_lo_u32 v125, v151, v162
	v_dot4_i32_i8 v1, v126, v141, v1
	v_cvt_f32_i32_e32 v2, v2
	v_fma_mix_f32 v126, v3, v153, 0 op_sel:[1,0,0] op_sel_hi:[1,0,0]
	v_cvt_f32_i32_e32 v125, v125
	v_lshrrev_b32_e32 v163, 24, v144
	v_fma_mix_f32 v2, v3, v2, 0 op_sel_hi:[1,0,0]
	s_waitcnt lgkmcnt(0)
	v_dot4_i32_i8 v1, v128, v142, v1
	v_fma_mix_f32 v2, v4, v125, v2 op_sel_hi:[1,0,0]
	v_fma_mix_f32 v125, v4, v154, v126 op_sel:[1,0,0] op_sel_hi:[1,0,0]
	v_bfe_u32 v126, v144, 16, 8
	v_mul_lo_u32 v126, v155, v126
	v_mul_lo_u32 v128, v159, v163
	v_mul_f32_e32 v125, v125, v170
	v_fma_mix_f32 v2, v2, v127, -v125 op_sel_hi:[0,1,0]
	v_cvt_f32_i32_e32 v125, v126
	v_cvt_f32_i32_e32 v126, v128
	v_lshrrev_b32_e32 v167, 24, v156
	v_cvt_f32_ubyte2_e32 v158, v145
	v_fma_mix_f32 v125, v3, v125, 0 op_sel_hi:[1,0,0]
	v_fma_mix_f32 v125, v4, v126, v125 op_sel_hi:[1,0,0]
	v_bfe_u32 v126, v156, 16, 8
	v_mul_lo_u32 v126, v160, v126
	v_cvt_f32_ubyte3_e32 v145, v145
	v_add_f32_e32 v87, v87, v2
	v_fma_mix_f32 v2, v3, v158, 0 op_sel:[1,0,0] op_sel_hi:[1,0,0]
	v_mul_lo_u32 v127, v175, v167
	v_fma_mix_f32 v2, v4, v145, v2 op_sel:[1,0,0] op_sel_hi:[1,0,0]
	v_mul_f32_e32 v2, v2, v178
	v_fma_mix_f32 v2, v125, v171, -v2 op_sel_hi:[0,1,0]
	v_cvt_f32_i32_e32 v125, v126
	v_cvt_f32_i32_e32 v127, v127
	v_lshrrev_b32_e32 v169, 24, v164
	v_dot4_i32_i8 v1, v129, v143, v1
	v_fma_mix_f32 v125, v3, v125, 0 op_sel_hi:[1,0,0]
	v_fma_mix_f32 v125, v4, v127, v125 op_sel_hi:[1,0,0]
	v_bfe_u32 v127, v164, 16, 8
	v_mul_lo_u32 v127, v130, v127
	v_mul_lo_u32 v1, v1, v169
	v_cvt_f32_ubyte2_e32 v161, v157
	v_cvt_f32_ubyte3_e32 v157, v157
	v_add_f32_e32 v126, v166, v2
	v_fma_mix_f32 v2, v3, v161, 0 op_sel:[1,0,0] op_sel_hi:[1,0,0]
	v_cvt_f32_i32_e32 v127, v127
	v_fma_mix_f32 v2, v4, v157, v2 op_sel:[1,0,0] op_sel_hi:[1,0,0]
	v_cvt_f32_i32_e32 v1, v1
	v_mul_f32_e32 v2, v2, v183
	v_fma_mix_f32 v2, v125, v172, -v2 op_sel_hi:[0,1,0]
	v_cvt_f32_ubyte2_e32 v131, v165
	v_add_f32_e32 v125, v168, v2
	v_fma_mix_f32 v2, v3, v127, 0 op_sel_hi:[1,0,0]
	v_fma_mix_f32 v3, v3, v131, 0 op_sel:[1,0,0] op_sel_hi:[1,0,0]
	v_fma_mix_f32 v1, v4, v1, v2 op_sel_hi:[1,0,0]
	v_cvt_f32_ubyte3_e32 v2, v165
	v_fma_mix_f32 v2, v4, v2, v3 op_sel:[1,0,0] op_sel_hi:[1,0,0]
	v_mul_f32_e32 v2, v2, v174
	v_fma_mix_f32 v1, v1, v173, -v2 op_sel_hi:[0,1,0]
	v_add_f32_e32 v25, v25, v1
	s_barrier
.LBB234_5:                              ;   in Loop: Header=BB234_6 Depth=1
	v_add_co_u32_e32 v49, vcc, 0xb0, v49
	v_addc_co_u32_e32 v50, vcc, 0, v50, vcc
	v_add_co_u32_e32 v51, vcc, 0xb0, v51
	v_addc_co_u32_e32 v52, vcc, 0, v52, vcc
	;; [unrolled: 2-line block ×36, first 2 shown]
	s_add_i32 s24, s24, -1
	s_addk_i32 s10, 0x100
	v_add_co_u32_e32 v120, vcc, 0xb0, v120
	v_add_u32_e32 v40, 8, v40
	v_add_u32_e32 v36, 8, v36
	;; [unrolled: 1-line block ×3, first 2 shown]
	s_cmp_eq_u32 s24, 0
	v_addc_co_u32_e32 v121, vcc, 0, v121, vcc
	s_cbranch_scc1 .LBB234_17
.LBB234_6:                              ; =>This Inner Loop Header: Depth=1
	v_mov_b32_e32 v127, s25
	v_add_co_u32_e32 v1, vcc, s8, v51
	v_addc_co_u32_e32 v2, vcc, v52, v127, vcc
	global_load_dword v128, v[1:2], off
	v_add_co_u32_e32 v1, vcc, s8, v49
	v_addc_co_u32_e32 v2, vcc, v50, v127, vcc
	global_load_dword v129, v[1:2], off
	v_add_co_u32_e32 v1, vcc, s8, v55
	v_addc_co_u32_e32 v2, vcc, v56, v127, vcc
	v_add_co_u32_e32 v3, vcc, s8, v53
	v_addc_co_u32_e32 v4, vcc, v54, v127, vcc
	global_load_dword v130, v[1:2], off
	v_add_co_u32_e32 v1, vcc, s8, v59
	v_addc_co_u32_e32 v2, vcc, v60, v127, vcc
	global_load_dword v131, v[3:4], off
	;; [unrolled: 3-line block ×13, first 2 shown]
	s_add_i32 s4, s10, 0xffffff80
	global_load_dword v3, v[3:4], off
	s_cmp_lt_i32 s4, s9
	s_waitcnt vmcnt(15)
	v_lshrrev_b32_e32 v1, 4, v128
	v_and_b32_e32 v144, 0xf0f0f0f, v1
	v_add_co_u32_e32 v1, vcc, s8, v83
	v_addc_co_u32_e32 v2, vcc, v84, v127, vcc
	global_load_dword v4, v[1:2], off
	v_add_co_u32_e32 v1, vcc, s8, v81
	v_addc_co_u32_e32 v2, vcc, v82, v127, vcc
	global_load_dword v1, v[1:2], off
	v_and_b32_e32 v143, 0xf0f0f0f, v128
	s_waitcnt vmcnt(16)
	v_ashrrev_i32_e32 v128, v27, v129
	v_lshlrev_b32_e32 v2, 4, v128
	v_ashrrev_i32_e32 v128, v28, v129
	v_lshlrev_b32_e32 v128, 4, v128
	v_and_or_b32 v2, v2, s16, v143
	v_and_or_b32 v128, v128, s16, v144
	ds_write2_b32 v5, v2, v128 offset1:8
	s_waitcnt vmcnt(15)
	v_and_b32_e32 v2, 0xf0f0f0f, v130
	v_lshrrev_b32_e32 v128, 4, v130
	s_waitcnt vmcnt(14)
	v_ashrrev_i32_e32 v129, v27, v131
	v_ashrrev_i32_e32 v130, v28, v131
	v_and_b32_e32 v128, 0xf0f0f0f, v128
	v_lshlrev_b32_e32 v129, 4, v129
	v_lshlrev_b32_e32 v130, 4, v130
	v_and_or_b32 v2, v129, s16, v2
	v_and_or_b32 v128, v130, s16, v128
	ds_write2_b32 v6, v2, v128 offset1:8
	s_waitcnt vmcnt(13)
	v_lshrrev_b32_e32 v128, 4, v132
	s_waitcnt vmcnt(12)
	v_ashrrev_i32_e32 v129, v27, v133
	v_ashrrev_i32_e32 v130, v28, v133
	v_and_b32_e32 v2, 0xf0f0f0f, v132
	v_and_b32_e32 v128, 0xf0f0f0f, v128
	v_lshlrev_b32_e32 v129, 4, v129
	v_lshlrev_b32_e32 v130, 4, v130
	v_and_or_b32 v2, v129, s16, v2
	v_and_or_b32 v128, v130, s16, v128
	ds_write2_b32 v7, v2, v128 offset1:8
	s_waitcnt vmcnt(11)
	v_lshrrev_b32_e32 v128, 4, v134
	s_waitcnt vmcnt(10)
	v_ashrrev_i32_e32 v129, v27, v135
	v_ashrrev_i32_e32 v130, v28, v135
	v_and_b32_e32 v2, 0xf0f0f0f, v134
	;; [unrolled: 12-line block ×6, first 2 shown]
	v_and_b32_e32 v128, 0xf0f0f0f, v128
	v_lshlrev_b32_e32 v129, 4, v129
	v_lshlrev_b32_e32 v3, 4, v3
	v_and_or_b32 v2, v129, s16, v2
	v_and_or_b32 v3, v3, s16, v128
	ds_write2_b32 v12, v2, v3 offset1:8
	s_waitcnt vmcnt(1)
	v_and_b32_e32 v2, 0xf0f0f0f, v4
	v_lshrrev_b32_e32 v3, 4, v4
	s_waitcnt vmcnt(0)
	v_ashrrev_i32_e32 v4, v27, v1
	v_ashrrev_i32_e32 v1, v28, v1
	v_and_b32_e32 v3, 0xf0f0f0f, v3
	v_lshlrev_b32_e32 v1, 4, v1
	v_lshlrev_b32_e32 v4, 4, v4
	v_and_or_b32 v3, v1, s16, v3
	v_add_co_u32_e32 v1, vcc, s8, v88
	v_and_or_b32 v4, v4, s16, v2
	v_addc_co_u32_e32 v2, vcc, v89, v127, vcc
	global_load_dword v128, v[1:2], off
	v_add_co_u32_e32 v1, vcc, s8, v85
	v_addc_co_u32_e32 v2, vcc, v86, v127, vcc
	global_load_dword v129, v[1:2], off
	v_add_co_u32_e32 v1, vcc, s8, v92
	v_addc_co_u32_e32 v2, vcc, v93, v127, vcc
	global_load_dword v130, v[1:2], off
	v_add_co_u32_e32 v1, vcc, s8, v90
	v_addc_co_u32_e32 v2, vcc, v91, v127, vcc
	global_load_dword v131, v[1:2], off
	v_add_co_u32_e32 v1, vcc, s8, v96
	v_addc_co_u32_e32 v2, vcc, v97, v127, vcc
	global_load_dword v132, v[1:2], off
	v_add_co_u32_e32 v1, vcc, s8, v94
	v_addc_co_u32_e32 v2, vcc, v95, v127, vcc
	global_load_dword v133, v[1:2], off
	v_add_co_u32_e32 v1, vcc, s8, v100
	v_addc_co_u32_e32 v2, vcc, v101, v127, vcc
	global_load_dword v134, v[1:2], off
	v_add_co_u32_e32 v1, vcc, s8, v98
	v_addc_co_u32_e32 v2, vcc, v99, v127, vcc
	global_load_dword v135, v[1:2], off
	v_add_co_u32_e32 v1, vcc, s8, v104
	v_addc_co_u32_e32 v2, vcc, v105, v127, vcc
	global_load_dword v136, v[1:2], off
	v_add_co_u32_e32 v1, vcc, s8, v102
	v_addc_co_u32_e32 v2, vcc, v103, v127, vcc
	global_load_dword v137, v[1:2], off
	v_add_co_u32_e32 v1, vcc, s8, v108
	v_addc_co_u32_e32 v2, vcc, v109, v127, vcc
	global_load_dword v138, v[1:2], off
	v_add_co_u32_e32 v1, vcc, s8, v106
	v_addc_co_u32_e32 v2, vcc, v107, v127, vcc
	global_load_dword v139, v[1:2], off
	v_add_co_u32_e32 v1, vcc, s8, v112
	v_addc_co_u32_e32 v2, vcc, v113, v127, vcc
	global_load_dword v140, v[1:2], off
	v_add_co_u32_e32 v1, vcc, s8, v110
	v_addc_co_u32_e32 v2, vcc, v111, v127, vcc
	global_load_dword v141, v[1:2], off
	v_add_co_u32_e32 v1, vcc, s8, v23
	v_addc_co_u32_e32 v2, vcc, v24, v127, vcc
	global_load_dword v142, v[1:2], off
	v_add_co_u32_e32 v1, vcc, s8, v116
	v_addc_co_u32_e32 v2, vcc, v117, v127, vcc
	global_load_dword v143, v[1:2], off
	v_add_co_u32_e32 v1, vcc, s8, v114
	v_addc_co_u32_e32 v2, vcc, v115, v127, vcc
	global_load_dword v144, v[1:2], off
	v_add_co_u32_e32 v1, vcc, s8, v120
	v_addc_co_u32_e32 v2, vcc, v121, v127, vcc
	global_load_dword v145, v[1:2], off
	v_add_co_u32_e32 v1, vcc, s8, v118
	v_addc_co_u32_e32 v2, vcc, v119, v127, vcc
	global_load_dword v1, v[1:2], off
	ds_write2_b32 v13, v4, v3 offset1:8
	s_waitcnt vmcnt(18)
	v_lshrrev_b32_e32 v3, 4, v128
	s_waitcnt vmcnt(17)
	v_ashrrev_i32_e32 v4, v27, v129
	v_ashrrev_i32_e32 v127, v28, v129
	v_and_b32_e32 v2, 0xf0f0f0f, v128
	v_and_b32_e32 v3, 0xf0f0f0f, v3
	v_lshlrev_b32_e32 v4, 4, v4
	v_lshlrev_b32_e32 v127, 4, v127
	v_and_or_b32 v2, v4, s16, v2
	v_and_or_b32 v3, v127, s16, v3
	ds_write2_b32 v14, v2, v3 offset1:8
	s_waitcnt vmcnt(16)
	v_lshrrev_b32_e32 v3, 4, v130
	s_waitcnt vmcnt(15)
	v_ashrrev_i32_e32 v4, v27, v131
	v_ashrrev_i32_e32 v127, v28, v131
	v_and_b32_e32 v2, 0xf0f0f0f, v130
	v_and_b32_e32 v3, 0xf0f0f0f, v3
	v_lshlrev_b32_e32 v4, 4, v4
	v_lshlrev_b32_e32 v127, 4, v127
	v_and_or_b32 v2, v4, s16, v2
	v_and_or_b32 v3, v127, s16, v3
	;; [unrolled: 12-line block ×7, first 2 shown]
	ds_write2_b32 v20, v2, v3 offset1:8
	s_waitcnt vmcnt(4)
	ds_write_b32 v29, v142
	s_waitcnt vmcnt(3)
	v_ashrrev_i32_e32 v2, v30, v143
	v_and_b32_e32 v2, 0xf0f0f0f, v2
	s_waitcnt vmcnt(2)
	v_ashrrev_i32_e32 v3, v31, v144
	v_and_or_b32 v2, v3, s17, v2
	ds_write_b32 v122, v2
	s_waitcnt vmcnt(1)
	v_ashrrev_i32_e32 v2, v30, v145
	v_and_b32_e32 v2, 0xf0f0f0f, v2
	s_waitcnt vmcnt(0)
	v_ashrrev_i32_e32 v1, v31, v1
	v_and_or_b32 v1, v1, s17, v2
	ds_write_b32 v123, v1
	s_cbranch_scc0 .LBB234_5
; %bb.7:                                ;   in Loop: Header=BB234_6 Depth=1
	v_cmp_gt_i32_e32 vcc, s12, v36
	s_and_b64 s[22:23], s[2:3], vcc
	s_and_saveexec_b64 s[4:5], s[22:23]
	s_cbranch_execz .LBB234_9
; %bb.8:                                ;   in Loop: Header=BB234_6 Depth=1
	v_add_u32_e32 v1, v47, v36
	v_mad_i64_i32 v[1:2], s[22:23], v1, 36, v[21:22]
	global_load_dword v1, v[1:2], off offset:4
	s_waitcnt vmcnt(0)
	ds_write_b32 v34, v1
.LBB234_9:                              ;   in Loop: Header=BB234_6 Depth=1
	s_or_b64 exec, exec, s[4:5]
	v_cmp_gt_i32_e32 vcc, s12, v124
	s_and_b64 s[22:23], s[6:7], vcc
	s_and_saveexec_b64 s[4:5], s[22:23]
	s_cbranch_execz .LBB234_11
; %bb.10:                               ;   in Loop: Header=BB234_6 Depth=1
	v_add_u32_e32 v1, v47, v124
	v_mad_i64_i32 v[1:2], s[22:23], v1, 36, s[18:19]
	global_load_dword v1, v[1:2], off
	v_add_u32_e32 v2, v32, v35
	s_waitcnt vmcnt(0)
	ds_write_b32 v2, v1
.LBB234_11:                             ;   in Loop: Header=BB234_6 Depth=1
	s_or_b64 exec, exec, s[4:5]
	s_waitcnt lgkmcnt(0)
	s_barrier
	ds_read_b128 v[128:131], v33
	ds_read_b128 v[132:135], v33 offset:16
	ds_read2_b32 v[144:145], v38 offset1:1
	ds_read_b128 v[136:139], v33 offset:32
	ds_read_b128 v[140:143], v33 offset:48
	ds_read_b32 v127, v39
	ds_read_b128 v[1:4], v35 offset:36944
	ds_read2_b32 v[146:147], v38 offset0:2 offset1:3
	s_waitcnt lgkmcnt(5)
	v_dot4_i32_i8 v144, v144, v128, 0
	v_dot4_i32_i8 v152, v145, v129, v144
	ds_read2_b32 v[144:145], v38 offset0:4 offset1:5
	ds_read2_b32 v[148:149], v38 offset0:6 offset1:7
	;; [unrolled: 1-line block ×3, first 2 shown]
	v_add_u32_e32 v156, 0x2090, v38
	s_waitcnt lgkmcnt(3)
	v_dot4_i32_i8 v146, v146, v130, v152
	v_dot4_i32_i8 v152, v147, v131, v146
	s_waitcnt lgkmcnt(2)
	v_dot4_i32_i8 v144, v144, v132, v152
	v_dot4_i32_i8 v144, v145, v133, v144
	;; [unrolled: 3-line block ×3, first 2 shown]
	ds_read2_b32 v[144:145], v38 offset0:10 offset1:11
	s_waitcnt lgkmcnt(1)
	v_dot4_i32_i8 v148, v150, v136, 0
	ds_read2_b32 v[146:147], v37 offset1:2
	v_dot4_i32_i8 v154, v151, v137, v148
	ds_read2_b32 v[148:149], v38 offset0:12 offset1:13
	ds_read2_b32 v[150:151], v38 offset0:14 offset1:15
	;; [unrolled: 1-line block ×3, first 2 shown]
	s_waitcnt lgkmcnt(4)
	v_dot4_i32_i8 v144, v144, v138, v154
	v_dot4_i32_i8 v144, v145, v139, v144
	s_waitcnt lgkmcnt(2)
	v_dot4_i32_i8 v144, v148, v140, v144
	v_dot4_i32_i8 v144, v149, v141, v144
	;; [unrolled: 3-line block ×3, first 2 shown]
	v_add_u32_e32 v144, 0x2080, v38
	ds_read2_b32 v[144:145], v144 offset1:1
	ds_read2_b32 v[148:149], v38 offset0:26 offset1:27
	ds_read2_b32 v[150:151], v38 offset0:28 offset1:29
	;; [unrolled: 1-line block ×3, first 2 shown]
	ds_read_b32 v171, v42 offset:128
	ds_read_b32 v172, v44 offset:256
	ds_read_b32 v173, v46 offset:384
	s_waitcnt lgkmcnt(6)
	v_dot4_i32_i8 v144, v144, v128, 0
	v_dot4_i32_i8 v162, v145, v129, v144
	v_add_u32_e32 v144, 0x2088, v38
	ds_read2_b32 v[144:145], v144 offset1:1
	v_add_u32_e32 v158, 0x2098, v38
	v_add_u32_e32 v160, 0x20a0, v38
	ds_read2_b32 v[156:157], v156 offset1:1
	ds_read2_b32 v[158:159], v158 offset1:1
	;; [unrolled: 1-line block ×3, first 2 shown]
	v_cvt_f32_ubyte0_e32 v167, v147
	s_waitcnt lgkmcnt(3)
	v_dot4_i32_i8 v144, v144, v130, v162
	v_dot4_i32_i8 v162, v145, v131, v144
	s_waitcnt lgkmcnt(2)
	v_dot4_i32_i8 v156, v156, v132, v162
	v_dot4_i32_i8 v156, v157, v133, v156
	;; [unrolled: 3-line block ×4, first 2 shown]
	v_add_u32_e32 v156, 0x20a8, v38
	ds_read2_b32 v[156:157], v156 offset1:1
	v_add_u32_e32 v158, 0x20b0, v38
	v_add_u32_e32 v160, 0x20b8, v38
	;; [unrolled: 1-line block ×3, first 2 shown]
	ds_read2_b32 v[144:145], v41 offset1:2
	ds_read2_b32 v[158:159], v158 offset1:1
	;; [unrolled: 1-line block ×4, first 2 shown]
	s_waitcnt lgkmcnt(4)
	v_dot4_i32_i8 v156, v156, v138, v164
	v_dot4_i32_i8 v156, v157, v139, v156
	s_waitcnt lgkmcnt(2)
	v_dot4_i32_i8 v156, v158, v140, v156
	v_dot4_i32_i8 v156, v159, v141, v156
	;; [unrolled: 3-line block ×4, first 2 shown]
	v_add_u32_e32 v156, 0x4108, v38
	ds_read2_b32 v[156:157], v156 offset1:1
	v_add_u32_e32 v158, 0x4110, v38
	v_add_u32_e32 v160, 0x4118, v38
	;; [unrolled: 1-line block ×3, first 2 shown]
	ds_read2_b32 v[158:159], v158 offset1:1
	ds_read2_b32 v[160:161], v160 offset1:1
	;; [unrolled: 1-line block ×3, first 2 shown]
	s_waitcnt lgkmcnt(3)
	v_dot4_i32_i8 v156, v156, v130, v164
	v_dot4_i32_i8 v164, v157, v131, v156
	s_waitcnt lgkmcnt(2)
	v_dot4_i32_i8 v158, v158, v132, v164
	v_dot4_i32_i8 v158, v159, v133, v158
	;; [unrolled: 3-line block ×4, first 2 shown]
	v_add_u32_e32 v158, 0x4128, v38
	v_add_u32_e32 v160, 0x4130, v38
	;; [unrolled: 1-line block ×4, first 2 shown]
	ds_read2_b32 v[156:157], v43 offset1:2
	ds_read2_b32 v[158:159], v158 offset1:1
	;; [unrolled: 1-line block ×5, first 2 shown]
	v_cvt_f32_ubyte1_e32 v169, v147
	v_cvt_f32_f16_sdwa v170, v127 dst_sel:DWORD dst_unused:UNUSED_PAD src0_sel:WORD_1
	v_cvt_f32_ubyte0_e32 v175, v145
	s_waitcnt lgkmcnt(3)
	v_dot4_i32_i8 v158, v158, v138, v181
	s_waitcnt lgkmcnt(0)
	v_dot4_i32_i8 v128, v164, v128, 0
	v_dot4_i32_i8 v158, v159, v139, v158
	;; [unrolled: 1-line block ×3, first 2 shown]
	v_add_u32_e32 v128, 0x6188, v38
	v_dot4_i32_i8 v158, v160, v140, v158
	ds_read2_b32 v[128:129], v128 offset1:1
	v_dot4_i32_i8 v158, v161, v141, v158
	v_dot4_i32_i8 v158, v162, v142, v158
	;; [unrolled: 1-line block ×3, first 2 shown]
	v_add_u32_e32 v158, 0x6190, v38
	v_add_u32_e32 v160, 0x6198, v38
	;; [unrolled: 1-line block ×3, first 2 shown]
	ds_read2_b32 v[158:159], v158 offset1:1
	ds_read2_b32 v[160:161], v160 offset1:1
	;; [unrolled: 1-line block ×3, first 2 shown]
	s_waitcnt lgkmcnt(3)
	v_dot4_i32_i8 v128, v128, v130, v164
	v_dot4_i32_i8 v128, v129, v131, v128
	s_waitcnt lgkmcnt(2)
	v_dot4_i32_i8 v128, v158, v132, v128
	v_dot4_i32_i8 v128, v159, v133, v128
	;; [unrolled: 3-line block ×4, first 2 shown]
	v_add_u32_e32 v128, 0x61a8, v38
	ds_read2_b32 v[128:129], v128 offset1:1
	v_add_u32_e32 v130, 0x61b0, v38
	v_add_u32_e32 v132, 0x61b8, v38
	ds_read2_b32 v[164:165], v45 offset1:2
	v_add_u32_e32 v137, 0x20c0, v38
	ds_read2_b32 v[130:131], v130 offset1:1
	ds_read2_b32 v[132:133], v132 offset1:1
	;; [unrolled: 1-line block ×3, first 2 shown]
	s_waitcnt lgkmcnt(4)
	v_dot4_i32_i8 v128, v128, v138, v136
	v_dot4_i32_i8 v128, v129, v139, v128
	v_and_b32_e32 v129, 0xff, v146
	s_waitcnt lgkmcnt(2)
	v_dot4_i32_i8 v128, v130, v140, v128
	v_bfe_u32 v130, v146, 8, 8
	v_mul_lo_u32 v129, v166, v129
	v_mul_lo_u32 v130, v168, v130
	v_dot4_i32_i8 v128, v131, v141, v128
	v_fma_mix_f32 v131, v1, v167, 0 op_sel:[1,0,0] op_sel_hi:[1,0,0]
	v_cvt_f32_i32_e32 v129, v129
	v_cvt_f32_i32_e32 v130, v130
	s_waitcnt lgkmcnt(1)
	v_dot4_i32_i8 v128, v132, v142, v128
	v_bfe_u32 v132, v144, 8, 8
	v_fma_mix_f32 v129, v1, v129, 0 op_sel_hi:[1,0,0]
	v_fma_mix_f32 v129, v2, v130, v129 op_sel_hi:[1,0,0]
	v_fma_mix_f32 v130, v2, v169, v131 op_sel:[1,0,0] op_sel_hi:[1,0,0]
	v_and_b32_e32 v131, 0xff, v144
	v_mul_lo_u32 v131, v174, v131
	v_mul_lo_u32 v132, v176, v132
	v_mul_f32_e32 v130, v130, v170
	v_fma_mix_f32 v129, v129, v127, -v130 op_sel_hi:[0,1,0]
	v_add_f32_e32 v87, v87, v129
	v_cvt_f32_i32_e32 v129, v131
	v_cvt_f32_i32_e32 v130, v132
	v_cvt_f32_ubyte1_e32 v177, v145
	v_cvt_f32_f16_sdwa v178, v171 dst_sel:DWORD dst_unused:UNUSED_PAD src0_sel:WORD_1
	v_fma_mix_f32 v131, v1, v175, 0 op_sel:[1,0,0] op_sel_hi:[1,0,0]
	v_fma_mix_f32 v129, v1, v129, 0 op_sel_hi:[1,0,0]
	v_fma_mix_f32 v129, v2, v130, v129 op_sel_hi:[1,0,0]
	v_fma_mix_f32 v130, v2, v177, v131 op_sel:[1,0,0] op_sel_hi:[1,0,0]
	v_and_b32_e32 v131, 0xff, v156
	v_bfe_u32 v132, v156, 8, 8
	v_mul_lo_u32 v131, v179, v131
	v_mul_lo_u32 v132, v181, v132
	v_mul_f32_e32 v130, v130, v178
	v_fma_mix_f32 v129, v129, v171, -v130 op_sel_hi:[0,1,0]
	v_add_f32_e32 v166, v126, v129
	v_cvt_f32_i32_e32 v126, v131
	v_cvt_f32_i32_e32 v129, v132
	v_cvt_f32_f16_sdwa v183, v172 dst_sel:DWORD dst_unused:UNUSED_PAD src0_sel:WORD_1
	v_cvt_f32_ubyte0_e32 v180, v157
	v_cvt_f32_ubyte1_e32 v182, v157
	v_fma_mix_f32 v130, v1, v180, 0 op_sel:[1,0,0] op_sel_hi:[1,0,0]
	v_fma_mix_f32 v126, v1, v126, 0 op_sel_hi:[1,0,0]
	v_fma_mix_f32 v126, v2, v129, v126 op_sel_hi:[1,0,0]
	v_fma_mix_f32 v129, v2, v182, v130 op_sel:[1,0,0] op_sel_hi:[1,0,0]
	v_mul_f32_e32 v129, v129, v183
	v_and_b32_e32 v130, 0xff, v164
	v_dot4_i32_i8 v128, v133, v143, v128
	v_mul_lo_u32 v130, v134, v130
	v_fma_mix_f32 v126, v126, v172, -v129 op_sel_hi:[0,1,0]
	v_bfe_u32 v129, v164, 8, 8
	v_mul_lo_u32 v128, v128, v129
	v_cvt_f32_i32_e32 v129, v130
	v_add_f32_e32 v168, v125, v126
	v_cvt_f32_f16_sdwa v174, v173 dst_sel:DWORD dst_unused:UNUSED_PAD src0_sel:WORD_1
	v_cvt_f32_i32_e32 v125, v128
	v_cvt_f32_ubyte0_e32 v135, v165
	v_fma_mix_f32 v126, v1, v129, 0 op_sel_hi:[1,0,0]
	v_fma_mix_f32 v1, v1, v135, 0 op_sel:[1,0,0] op_sel_hi:[1,0,0]
	v_fma_mix_f32 v125, v2, v125, v126 op_sel_hi:[1,0,0]
	v_cvt_f32_ubyte1_e32 v126, v165
	v_fma_mix_f32 v1, v2, v126, v1 op_sel:[1,0,0] op_sel_hi:[1,0,0]
	v_mul_f32_e32 v1, v1, v174
	ds_read_b128 v[128:131], v33 offset:64
	v_fma_mix_f32 v1, v125, v173, -v1 op_sel_hi:[0,1,0]
	v_add_f32_e32 v25, v25, v1
	ds_read_b128 v[132:135], v33 offset:80
	ds_read_b128 v[136:139], v33 offset:96
	;; [unrolled: 1-line block ×3, first 2 shown]
	ds_read2_b32 v[1:2], v38 offset0:18 offset1:19
	s_waitcnt lgkmcnt(4)
	v_dot4_i32_i8 v125, v152, v128, 0
	v_dot4_i32_i8 v175, v153, v129, v125
	ds_read2_b32 v[125:126], v38 offset0:20 offset1:21
	ds_read2_b32 v[152:153], v38 offset0:22 offset1:23
	;; [unrolled: 1-line block ×3, first 2 shown]
	v_lshrrev_b32_e32 v162, 24, v146
	s_waitcnt lgkmcnt(3)
	v_dot4_i32_i8 v1, v1, v130, v175
	v_dot4_i32_i8 v1, v2, v131, v1
	s_waitcnt lgkmcnt(2)
	v_dot4_i32_i8 v1, v125, v132, v1
	v_dot4_i32_i8 v1, v126, v133, v1
	;; [unrolled: 3-line block ×4, first 2 shown]
	v_dot4_i32_i8 v1, v148, v138, v1
	v_dot4_i32_i8 v1, v149, v139, v1
	;; [unrolled: 1-line block ×8, first 2 shown]
	v_add_u32_e32 v1, 0x20c8, v38
	ds_read2_b32 v[1:2], v1 offset1:1
	v_cvt_f32_ubyte2_e32 v153, v147
	v_cvt_f32_ubyte3_e32 v154, v147
	v_add_u32_e32 v125, 0x20d0, v38
	v_add_u32_e32 v147, 0x20d8, v38
	v_add_u32_e32 v149, 0x20e0, v38
	ds_read2_b32 v[125:126], v125 offset1:1
	ds_read2_b32 v[147:148], v147 offset1:1
	ds_read2_b32 v[149:150], v149 offset1:1
	s_waitcnt lgkmcnt(3)
	v_dot4_i32_i8 v1, v1, v130, v155
	v_dot4_i32_i8 v1, v2, v131, v1
	s_waitcnt lgkmcnt(2)
	v_dot4_i32_i8 v1, v125, v132, v1
	v_dot4_i32_i8 v1, v126, v133, v1
	s_waitcnt lgkmcnt(1)
	v_dot4_i32_i8 v1, v147, v134, v1
	v_dot4_i32_i8 v155, v148, v135, v1
	s_waitcnt lgkmcnt(0)
	v_dot4_i32_i8 v1, v149, v136, 0
	v_dot4_i32_i8 v159, v150, v137, v1
	v_add_u32_e32 v1, 0x20e8, v38
	ds_read2_b32 v[1:2], v1 offset1:1
	v_add_u32_e32 v125, 0x20f0, v38
	v_add_u32_e32 v147, 0x20f8, v38
	v_add_u32_e32 v149, 0x4140, v38
	ds_read2_b32 v[125:126], v125 offset1:1
	ds_read2_b32 v[147:148], v147 offset1:1
	ds_read2_b32 v[149:150], v149 offset1:1
	s_waitcnt lgkmcnt(3)
	v_dot4_i32_i8 v1, v1, v138, v159
	v_dot4_i32_i8 v1, v2, v139, v1
	s_waitcnt lgkmcnt(2)
	v_dot4_i32_i8 v1, v125, v140, v1
	v_dot4_i32_i8 v1, v126, v141, v1
	s_waitcnt lgkmcnt(1)
	v_dot4_i32_i8 v1, v147, v142, v1
	v_dot4_i32_i8 v159, v148, v143, v1
	s_waitcnt lgkmcnt(0)
	v_dot4_i32_i8 v1, v149, v128, 0
	v_dot4_i32_i8 v160, v150, v129, v1
	v_add_u32_e32 v1, 0x4148, v38
	ds_read2_b32 v[1:2], v1 offset1:1
	;; [unrolled: 20-line block ×5, first 2 shown]
	v_add_u32_e32 v125, 0x61f0, v38
	ds_read2_b32 v[125:126], v125 offset1:1
	v_add_u32_e32 v128, 0x61f8, v38
	ds_read2_b32 v[128:129], v128 offset1:1
	s_waitcnt lgkmcnt(2)
	v_dot4_i32_i8 v1, v1, v138, v132
	v_dot4_i32_i8 v1, v2, v139, v1
	v_bfe_u32 v2, v146, 16, 8
	v_mul_lo_u32 v2, v152, v2
	s_waitcnt lgkmcnt(1)
	v_dot4_i32_i8 v1, v125, v140, v1
	v_mul_lo_u32 v125, v151, v162
	v_dot4_i32_i8 v1, v126, v141, v1
	v_cvt_f32_i32_e32 v2, v2
	v_fma_mix_f32 v126, v3, v153, 0 op_sel:[1,0,0] op_sel_hi:[1,0,0]
	v_cvt_f32_i32_e32 v125, v125
	v_lshrrev_b32_e32 v163, 24, v144
	v_fma_mix_f32 v2, v3, v2, 0 op_sel_hi:[1,0,0]
	s_waitcnt lgkmcnt(0)
	v_dot4_i32_i8 v1, v128, v142, v1
	v_fma_mix_f32 v2, v4, v125, v2 op_sel_hi:[1,0,0]
	v_fma_mix_f32 v125, v4, v154, v126 op_sel:[1,0,0] op_sel_hi:[1,0,0]
	v_bfe_u32 v126, v144, 16, 8
	v_mul_lo_u32 v126, v155, v126
	v_mul_lo_u32 v128, v159, v163
	v_mul_f32_e32 v125, v125, v170
	v_fma_mix_f32 v2, v2, v127, -v125 op_sel_hi:[0,1,0]
	v_cvt_f32_i32_e32 v125, v126
	v_cvt_f32_i32_e32 v126, v128
	v_lshrrev_b32_e32 v167, 24, v156
	v_cvt_f32_ubyte2_e32 v158, v145
	v_fma_mix_f32 v125, v3, v125, 0 op_sel_hi:[1,0,0]
	v_fma_mix_f32 v125, v4, v126, v125 op_sel_hi:[1,0,0]
	v_bfe_u32 v126, v156, 16, 8
	v_mul_lo_u32 v126, v160, v126
	v_cvt_f32_ubyte3_e32 v145, v145
	v_add_f32_e32 v87, v87, v2
	v_fma_mix_f32 v2, v3, v158, 0 op_sel:[1,0,0] op_sel_hi:[1,0,0]
	v_mul_lo_u32 v127, v175, v167
	v_fma_mix_f32 v2, v4, v145, v2 op_sel:[1,0,0] op_sel_hi:[1,0,0]
	v_mul_f32_e32 v2, v2, v178
	v_fma_mix_f32 v2, v125, v171, -v2 op_sel_hi:[0,1,0]
	v_cvt_f32_i32_e32 v125, v126
	v_cvt_f32_i32_e32 v127, v127
	v_lshrrev_b32_e32 v169, 24, v164
	v_dot4_i32_i8 v1, v129, v143, v1
	v_fma_mix_f32 v125, v3, v125, 0 op_sel_hi:[1,0,0]
	v_fma_mix_f32 v125, v4, v127, v125 op_sel_hi:[1,0,0]
	v_bfe_u32 v127, v164, 16, 8
	v_mul_lo_u32 v127, v130, v127
	v_mul_lo_u32 v1, v1, v169
	v_cvt_f32_ubyte2_e32 v161, v157
	v_cvt_f32_ubyte3_e32 v157, v157
	v_add_f32_e32 v126, v166, v2
	v_fma_mix_f32 v2, v3, v161, 0 op_sel:[1,0,0] op_sel_hi:[1,0,0]
	v_cvt_f32_i32_e32 v127, v127
	v_fma_mix_f32 v2, v4, v157, v2 op_sel:[1,0,0] op_sel_hi:[1,0,0]
	v_cvt_f32_i32_e32 v1, v1
	v_mul_f32_e32 v2, v2, v183
	v_fma_mix_f32 v2, v125, v172, -v2 op_sel_hi:[0,1,0]
	v_cvt_f32_ubyte2_e32 v131, v165
	v_add_f32_e32 v125, v168, v2
	v_fma_mix_f32 v2, v3, v127, 0 op_sel_hi:[1,0,0]
	v_fma_mix_f32 v3, v3, v131, 0 op_sel:[1,0,0] op_sel_hi:[1,0,0]
	v_fma_mix_f32 v1, v4, v1, v2 op_sel_hi:[1,0,0]
	v_cvt_f32_ubyte3_e32 v2, v165
	v_fma_mix_f32 v2, v4, v2, v3 op_sel:[1,0,0] op_sel_hi:[1,0,0]
	v_mul_f32_e32 v2, v2, v174
	v_fma_mix_f32 v1, v1, v173, -v2 op_sel_hi:[0,1,0]
	v_add_f32_e32 v25, v25, v1
	s_cmp_ge_i32 s10, s9
	s_barrier
	s_cbranch_scc1 .LBB234_5
; %bb.12:                               ;   in Loop: Header=BB234_6 Depth=1
	v_cmp_gt_i32_e32 vcc, s12, v40
	s_and_b64 s[22:23], s[2:3], vcc
	s_and_saveexec_b64 s[4:5], s[22:23]
	s_cbranch_execz .LBB234_14
; %bb.13:                               ;   in Loop: Header=BB234_6 Depth=1
	v_add_u32_e32 v1, v47, v40
	v_mad_i64_i32 v[1:2], s[22:23], v1, 36, v[21:22]
	global_load_dword v1, v[1:2], off offset:4
	s_waitcnt vmcnt(0)
	ds_write_b32 v34, v1
.LBB234_14:                             ;   in Loop: Header=BB234_6 Depth=1
	s_or_b64 exec, exec, s[4:5]
	s_and_saveexec_b64 s[4:5], s[0:1]
	s_cbranch_execz .LBB234_4
; %bb.15:                               ;   in Loop: Header=BB234_6 Depth=1
	v_add_u32_e32 v1, 4, v124
	v_cmp_gt_i32_e32 vcc, s12, v1
	s_and_b64 s[22:23], s[2:3], vcc
	s_and_b64 exec, exec, s[22:23]
	s_cbranch_execz .LBB234_4
; %bb.16:                               ;   in Loop: Header=BB234_6 Depth=1
	v_ashrrev_i32_e32 v1, 31, v124
	v_add_co_u32_e32 v2, vcc, v47, v124
	v_addc_co_u32_e32 v3, vcc, v48, v1, vcc
	v_mad_u64_u32 v[1:2], s[22:23], v2, 36, s[18:19]
	v_mad_i32_i24 v2, v3, 36, v2
	global_load_dword v1, v[1:2], off offset:144
	v_add_u32_e32 v2, v32, v35
	s_waitcnt vmcnt(0)
	ds_write_b32 v2, v1
	s_branch .LBB234_4
.LBB234_17:
	s_mul_i32 s0, s14, s11
	s_waitcnt vmcnt(0)
	v_cmp_gt_i32_e32 vcc, s0, v26
	s_and_saveexec_b64 s[0:1], vcc
	s_cbranch_execz .LBB234_26
; %bb.18:
	v_mul_lo_u32 v1, v26, s13
	v_add_u32_e32 v0, s15, v0
	v_cmp_gt_u32_e32 vcc, s13, v0
	s_and_saveexec_b64 s[0:1], vcc
	s_cbranch_execz .LBB234_20
; %bb.19:
	v_bfe_u32 v2, v87, 16, 1
	s_movk_i32 s2, 0x7fff
	v_add3_u32 v2, v87, v2, s2
	v_cmp_o_f32_e32 vcc, v87, v87
	v_mov_b32_e32 v3, 0x7fc0
	v_cndmask_b32_sdwa v4, v3, v2, vcc dst_sel:DWORD dst_unused:UNUSED_PAD src0_sel:DWORD src1_sel:WORD_1
	v_add_u32_e32 v2, v1, v0
	v_mov_b32_e32 v3, 0
	v_lshlrev_b64 v[2:3], 1, v[2:3]
	v_mov_b32_e32 v5, s21
	v_add_co_u32_e32 v2, vcc, s20, v2
	v_addc_co_u32_e32 v3, vcc, v5, v3, vcc
	global_store_short v[2:3], v4, off
.LBB234_20:
	s_or_b64 exec, exec, s[0:1]
	v_add_u32_e32 v2, 32, v0
	v_cmp_gt_u32_e32 vcc, s13, v2
	s_and_saveexec_b64 s[0:1], vcc
	s_cbranch_execz .LBB234_22
; %bb.21:
	v_bfe_u32 v3, v126, 16, 1
	s_movk_i32 s2, 0x7fff
	v_add3_u32 v3, v126, v3, s2
	v_cmp_o_f32_e32 vcc, v126, v126
	v_mov_b32_e32 v4, 0x7fc0
	v_cndmask_b32_sdwa v4, v4, v3, vcc dst_sel:DWORD dst_unused:UNUSED_PAD src0_sel:DWORD src1_sel:WORD_1
	v_add_u32_e32 v2, v1, v2
	v_mov_b32_e32 v3, 0
	v_lshlrev_b64 v[2:3], 1, v[2:3]
	v_mov_b32_e32 v5, s21
	v_add_co_u32_e32 v2, vcc, s20, v2
	v_addc_co_u32_e32 v3, vcc, v5, v3, vcc
	global_store_short v[2:3], v4, off
.LBB234_22:
	s_or_b64 exec, exec, s[0:1]
	;; [unrolled: 20-line block ×3, first 2 shown]
	v_add_u32_e32 v0, 0x60, v0
	v_cmp_gt_u32_e32 vcc, s13, v0
	s_and_b64 exec, exec, vcc
	s_cbranch_execz .LBB234_26
; %bb.25:
	v_add_u32_e32 v0, v1, v0
	v_mov_b32_e32 v1, 0
	v_bfe_u32 v2, v25, 16, 1
	s_movk_i32 s0, 0x7fff
	v_lshlrev_b64 v[0:1], 1, v[0:1]
	v_add3_u32 v2, v25, v2, s0
	v_cmp_o_f32_e32 vcc, v25, v25
	v_mov_b32_e32 v3, 0x7fc0
	v_cndmask_b32_sdwa v2, v3, v2, vcc dst_sel:DWORD dst_unused:UNUSED_PAD src0_sel:DWORD src1_sel:WORD_1
	v_mov_b32_e32 v3, s21
	v_add_co_u32_e32 v0, vcc, s20, v0
	v_addc_co_u32_e32 v1, vcc, v3, v1, vcc
	global_store_short v[0:1], v2, off
.LBB234_26:
	s_endpgm
	.section	.rodata,"a",@progbits
	.p2align	6, 0x0
	.amdhsa_kernel _ZL8moe_q5_KIN3c108BFloat16ELb1EEvPKvS3_PT_PKiS7_S7_iiiiiii
		.amdhsa_group_segment_fixed_size 37072
		.amdhsa_private_segment_fixed_size 0
		.amdhsa_kernarg_size 76
		.amdhsa_user_sgpr_count 6
		.amdhsa_user_sgpr_private_segment_buffer 1
		.amdhsa_user_sgpr_dispatch_ptr 0
		.amdhsa_user_sgpr_queue_ptr 0
		.amdhsa_user_sgpr_kernarg_segment_ptr 1
		.amdhsa_user_sgpr_dispatch_id 0
		.amdhsa_user_sgpr_flat_scratch_init 0
		.amdhsa_user_sgpr_private_segment_size 0
		.amdhsa_uses_dynamic_stack 0
		.amdhsa_system_sgpr_private_segment_wavefront_offset 0
		.amdhsa_system_sgpr_workgroup_id_x 1
		.amdhsa_system_sgpr_workgroup_id_y 1
		.amdhsa_system_sgpr_workgroup_id_z 0
		.amdhsa_system_sgpr_workgroup_info 0
		.amdhsa_system_vgpr_workitem_id 1
		.amdhsa_next_free_vgpr 184
		.amdhsa_next_free_sgpr 98
		.amdhsa_reserve_vcc 1
		.amdhsa_reserve_flat_scratch 0
		.amdhsa_float_round_mode_32 0
		.amdhsa_float_round_mode_16_64 0
		.amdhsa_float_denorm_mode_32 3
		.amdhsa_float_denorm_mode_16_64 3
		.amdhsa_dx10_clamp 1
		.amdhsa_ieee_mode 1
		.amdhsa_fp16_overflow 0
		.amdhsa_exception_fp_ieee_invalid_op 0
		.amdhsa_exception_fp_denorm_src 0
		.amdhsa_exception_fp_ieee_div_zero 0
		.amdhsa_exception_fp_ieee_overflow 0
		.amdhsa_exception_fp_ieee_underflow 0
		.amdhsa_exception_fp_ieee_inexact 0
		.amdhsa_exception_int_div_zero 0
	.end_amdhsa_kernel
	.section	.text._ZL8moe_q5_KIN3c108BFloat16ELb1EEvPKvS3_PT_PKiS7_S7_iiiiiii,"axG",@progbits,_ZL8moe_q5_KIN3c108BFloat16ELb1EEvPKvS3_PT_PKiS7_S7_iiiiiii,comdat
.Lfunc_end234:
	.size	_ZL8moe_q5_KIN3c108BFloat16ELb1EEvPKvS3_PT_PKiS7_S7_iiiiiii, .Lfunc_end234-_ZL8moe_q5_KIN3c108BFloat16ELb1EEvPKvS3_PT_PKiS7_S7_iiiiiii
                                        ; -- End function
	.set _ZL8moe_q5_KIN3c108BFloat16ELb1EEvPKvS3_PT_PKiS7_S7_iiiiiii.num_vgpr, 184
	.set _ZL8moe_q5_KIN3c108BFloat16ELb1EEvPKvS3_PT_PKiS7_S7_iiiiiii.num_agpr, 0
	.set _ZL8moe_q5_KIN3c108BFloat16ELb1EEvPKvS3_PT_PKiS7_S7_iiiiiii.numbered_sgpr, 26
	.set _ZL8moe_q5_KIN3c108BFloat16ELb1EEvPKvS3_PT_PKiS7_S7_iiiiiii.num_named_barrier, 0
	.set _ZL8moe_q5_KIN3c108BFloat16ELb1EEvPKvS3_PT_PKiS7_S7_iiiiiii.private_seg_size, 0
	.set _ZL8moe_q5_KIN3c108BFloat16ELb1EEvPKvS3_PT_PKiS7_S7_iiiiiii.uses_vcc, 1
	.set _ZL8moe_q5_KIN3c108BFloat16ELb1EEvPKvS3_PT_PKiS7_S7_iiiiiii.uses_flat_scratch, 0
	.set _ZL8moe_q5_KIN3c108BFloat16ELb1EEvPKvS3_PT_PKiS7_S7_iiiiiii.has_dyn_sized_stack, 0
	.set _ZL8moe_q5_KIN3c108BFloat16ELb1EEvPKvS3_PT_PKiS7_S7_iiiiiii.has_recursion, 0
	.set _ZL8moe_q5_KIN3c108BFloat16ELb1EEvPKvS3_PT_PKiS7_S7_iiiiiii.has_indirect_call, 0
	.section	.AMDGPU.csdata,"",@progbits
; Kernel info:
; codeLenInByte = 12508
; TotalNumSgprs: 30
; NumVgprs: 184
; ScratchSize: 0
; MemoryBound: 0
; FloatMode: 240
; IeeeMode: 1
; LDSByteSize: 37072 bytes/workgroup (compile time only)
; SGPRBlocks: 12
; VGPRBlocks: 45
; NumSGPRsForWavesPerEU: 102
; NumVGPRsForWavesPerEU: 184
; Occupancy: 1
; WaveLimiterHint : 1
; COMPUTE_PGM_RSRC2:SCRATCH_EN: 0
; COMPUTE_PGM_RSRC2:USER_SGPR: 6
; COMPUTE_PGM_RSRC2:TRAP_HANDLER: 0
; COMPUTE_PGM_RSRC2:TGID_X_EN: 1
; COMPUTE_PGM_RSRC2:TGID_Y_EN: 1
; COMPUTE_PGM_RSRC2:TGID_Z_EN: 0
; COMPUTE_PGM_RSRC2:TIDIG_COMP_CNT: 1
	.section	.text._ZL8moe_q6_KIN3c108BFloat16ELb0EEvPKvS3_PT_PKiS7_S7_iiiiiii,"axG",@progbits,_ZL8moe_q6_KIN3c108BFloat16ELb0EEvPKvS3_PT_PKiS7_S7_iiiiiii,comdat
	.globl	_ZL8moe_q6_KIN3c108BFloat16ELb0EEvPKvS3_PT_PKiS7_S7_iiiiiii ; -- Begin function _ZL8moe_q6_KIN3c108BFloat16ELb0EEvPKvS3_PT_PKiS7_S7_iiiiiii
	.p2align	8
	.type	_ZL8moe_q6_KIN3c108BFloat16ELb0EEvPKvS3_PT_PKiS7_S7_iiiiiii,@function
_ZL8moe_q6_KIN3c108BFloat16ELb0EEvPKvS3_PT_PKiS7_S7_iiiiiii: ; @_ZL8moe_q6_KIN3c108BFloat16ELb0EEvPKvS3_PT_PKiS7_S7_iiiiiii
; %bb.0:
	s_load_dwordx4 s[0:3], s[4:5], 0x18
	s_mov_b32 s8, s7
	s_mov_b32 s9, 0
	s_lshl_b64 s[10:11], s[8:9], 2
	s_waitcnt lgkmcnt(0)
	s_add_u32 s2, s2, s10
	s_addc_u32 s3, s3, s11
	s_load_dword s2, s[2:3], 0x0
	s_waitcnt lgkmcnt(0)
	s_cmpk_gt_u32 s2, 0xff
	s_cbranch_scc1 .LBB235_26
; %bb.1:
	s_load_dwordx2 s[10:11], s[4:5], 0x28
	s_lshl_b32 s3, s8, 3
	s_waitcnt lgkmcnt(0)
	s_load_dword s7, s[10:11], 0x0
	s_waitcnt lgkmcnt(0)
	s_cmp_gt_u32 s3, s7
	s_cbranch_scc1 .LBB235_26
; %bb.2:
	v_add_u32_e32 v3, s3, v1
	v_mov_b32_e32 v4, 0
	v_lshlrev_b64 v[2:3], 2, v[3:4]
	v_mov_b32_e32 v5, s1
	v_add_co_u32_e32 v2, vcc, s0, v2
	v_addc_co_u32_e32 v3, vcc, v5, v3, vcc
	global_load_dword v5, v[2:3], off
	s_load_dwordx2 s[14:15], s[4:5], 0x30
	s_load_dwordx2 s[12:13], s[4:5], 0x10
	s_load_dwordx4 s[8:11], s[4:5], 0x3c
	s_lshl_b32 s20, s6, 7
	v_mov_b32_e32 v99, v4
	s_waitcnt lgkmcnt(0)
	s_cmpk_lt_i32 s15, 0x100
	v_mov_b32_e32 v104, v4
	v_mov_b32_e32 v6, v4
	s_cbranch_scc1 .LBB235_17
; %bb.3:
	s_abs_i32 s17, s11
	v_cvt_f32_u32_e32 v30, s17
	v_add_u32_e32 v31, 64, v0
	s_ashr_i32 s0, s15, 31
	v_lshrrev_b32_e32 v32, 3, v31
	v_rcp_iflag_f32_e32 v30, v30
	s_lshr_b32 s0, s0, 24
	s_mov_b32 s3, 0x8200
	v_lshlrev_b32_e32 v33, 2, v32
	v_mul_f32_e32 v30, 0x4f7ffffe, v30
	v_cvt_u32_f32_e32 v34, v30
	v_lshlrev_b32_e32 v31, 4, v31
	s_sub_i32 s18, 0, s17
	s_add_i32 s0, s15, s0
	v_add3_u32 v30, v31, v33, s3
	v_and_b32_e32 v31, 60, v32
	v_mul_lo_u32 v32, s18, v34
	s_ashr_i32 s21, s0, 8
	s_ashr_i32 s0, s9, 31
	v_and_b32_e32 v2, 31, v0
	s_lshr_b32 s0, s0, 27
	v_add_u16_e32 v7, -16, v2
	v_cmp_gt_u32_e32 vcc, 16, v2
	s_add_i32 s0, s9, s0
	v_lshlrev_b32_e32 v3, 1, v2
	v_lshlrev_b32_e32 v99, 2, v2
	v_cndmask_b32_e32 v2, v7, v2, vcc
	s_ashr_i32 s9, s0, 5
	v_cmp_lt_u16_e64 s[0:1], 7, v2
	v_add_u32_e32 v2, 0xe0, v3
	v_mul_hi_u32 v32, v34, v32
	v_cndmask_b32_e32 v2, v2, v3, vcc
	v_and_b32_e32 v2, 0xfe, v2
	v_sub_u32_e32 v2, v3, v2
	v_and_b32_e32 v3, 15, v0
	v_mul_u32_u24_e32 v8, 0x41, v1
	s_waitcnt vmcnt(0)
	v_sub_u32_e32 v39, 0, v5
	v_cndmask_b32_e64 v7, 0, 2, s[0:1]
	v_lshlrev_b32_e32 v2, 2, v2
	v_lshlrev_b32_e32 v3, 2, v3
	;; [unrolled: 1-line block ×3, first 2 shown]
	s_lshl_b32 s0, s21, 3
	v_max_i32_e32 v39, v5, v39
	v_add_u32_e32 v32, v34, v32
	v_add3_u32 v8, v2, v3, v8
	v_mov_b32_e32 v2, s0
	v_mul_hi_u32 v34, v39, v32
	v_mad_i32_i24 v40, s21, v1, v2
	v_lshl_add_u32 v2, v1, 5, v0
	v_and_b32_e32 v3, 0x7f, v2
	v_lshrrev_b32_e32 v2, 3, v2
	v_add_u32_e32 v33, 0x60, v0
	s_mul_i32 s14, s2, s14
	v_mul_i32_i24_e32 v101, s21, v3
	v_and_b32_e32 v2, 12, v2
	v_lshlrev_b32_e32 v3, 2, v3
	s_mov_b32 s2, 0x8e40
	v_lshrrev_b32_e32 v35, 3, v33
	v_add3_u32 v16, v3, v2, s2
	v_lshlrev_b32_e32 v2, 3, v1
	v_lshrrev_b32_e32 v3, 2, v0
	v_lshlrev_b32_e32 v36, 2, v35
	v_lshlrev_b32_e32 v32, 4, v33
	v_and_b32_e32 v33, 60, v35
	v_mul_lo_u32 v35, v34, s17
	v_add_u32_e32 v17, v3, v2
	v_and_b32_e32 v18, 3, v0
	v_add_u16_e32 v2, v3, v2
	v_lshlrev_b32_e32 v106, 2, v18
	v_and_b32_e32 v18, 0x7f, v17
	v_lshrrev_b16_e32 v2, 1, v2
	v_lshl_or_b32 v17, v18, 4, v106
	v_and_b32_e32 v2, 60, v2
	v_add3_u32 v17, v17, v2, s3
	v_xor_b32_e32 v2, 64, v18
	v_add_u32_e32 v28, 32, v0
	v_sub_u32_e32 v35, v39, v35
	v_mul_i32_i24_e32 v104, s21, v2
	v_lshl_or_b32 v3, v2, 4, v106
	v_lshrrev_b32_e32 v2, 1, v2
	v_lshrrev_b32_e32 v27, 3, v28
	v_add3_u32 v32, v32, v36, s3
	v_add_u32_e32 v36, 1, v34
	v_cmp_le_u32_e32 vcc, s17, v35
	s_load_dwordx4 s[4:7], s[4:5], 0x0
	v_lshrrev_b32_e32 v4, 5, v0
	v_and_b32_e32 v2, 60, v2
	v_lshlrev_b32_e32 v29, 2, v27
	v_lshlrev_b32_e32 v28, 4, v28
	v_cndmask_b32_e32 v34, v34, v36, vcc
	v_subrev_u32_e32 v36, s17, v35
	v_mul_i32_i24_e32 v102, s21, v18
	v_add3_u32 v18, v3, v2, s3
	v_lshlrev_b32_e32 v2, 2, v0
	v_lshlrev_b32_e32 v26, 2, v4
	v_add3_u32 v28, v28, v29, s3
	v_and_b32_e32 v29, 60, v27
	v_cndmask_b32_e32 v35, v35, v36, vcc
	v_add_u32_e32 v19, 0x9050, v2
	v_and_b32_e32 v3, 28, v2
	v_add3_u32 v26, v2, v26, s2
	v_add3_u32 v29, v2, v29, s2
	;; [unrolled: 1-line block ×4, first 2 shown]
	v_xor_b32_e32 v2, s11, v5
	v_add_u32_e32 v36, 1, v34
	v_cmp_le_u32_e32 vcc, s17, v35
	v_ashrrev_i32_e32 v2, 31, v2
	v_cndmask_b32_e32 v34, v34, v36, vcc
	s_mul_i32 s16, s21, s20
	v_xor_b32_e32 v34, v34, v2
	v_sub_u32_e32 v34, v34, v2
	s_waitcnt lgkmcnt(0)
	v_mov_b32_e32 v35, s7
	v_add_co_u32_e32 v2, vcc, s6, v3
	s_mul_hi_i32 s19, s16, 0xd2
	v_addc_co_u32_e32 v3, vcc, 0, v35, vcc
	s_mul_i32 s18, s16, 0xd2
	v_mov_b32_e32 v36, s19
	s_movk_i32 s23, 0xd2
	v_mov_b32_e32 v35, s18
	v_mad_u64_u32 v[94:95], s[16:17], v4, s23, v[35:36]
	v_mul_i32_i24_e32 v38, s21, v1
	v_and_b32_e32 v37, 7, v0
	v_mad_u64_u32 v[38:39], s[26:27], v38, s23, v[94:95]
	v_lshlrev_b32_e32 v4, 1, v0
	v_lshlrev_b32_e32 v36, 2, v37
	v_and_or_b32 v4, v4, 32, v36
	v_add_co_u32_e32 v36, vcc, v38, v4
	v_addc_co_u32_e32 v37, vcc, 0, v39, vcc
	v_mov_b32_e32 v41, s5
	v_add_co_u32_e32 v36, vcc, s4, v36
	v_addc_co_u32_e32 v37, vcc, v41, v37, vcc
	s_movk_i32 s22, 0x80
	v_add_co_u32_e32 v36, vcc, s22, v36
	v_addc_co_u32_e32 v37, vcc, 0, v37, vcc
	v_add_co_u32_e32 v38, vcc, v38, v99
	v_mad_u64_u32 v[42:43], s[26:27], v40, s23, v[94:95]
	v_addc_co_u32_e32 v39, vcc, 0, v39, vcc
	v_add_co_u32_e32 v38, vcc, s4, v38
	v_addc_co_u32_e32 v39, vcc, v41, v39, vcc
	v_add_u32_e32 v44, s0, v40
	v_add_co_u32_e32 v40, vcc, v42, v4
	v_addc_co_u32_e32 v41, vcc, 0, v43, vcc
	v_mov_b32_e32 v45, s5
	v_add_co_u32_e32 v40, vcc, s4, v40
	v_addc_co_u32_e32 v41, vcc, v45, v41, vcc
	v_add_co_u32_e32 v40, vcc, s22, v40
	v_addc_co_u32_e32 v41, vcc, 0, v41, vcc
	v_add_co_u32_e32 v42, vcc, v42, v99
	v_mad_u64_u32 v[46:47], s[26:27], v44, s23, v[94:95]
	v_addc_co_u32_e32 v43, vcc, 0, v43, vcc
	v_add_co_u32_e32 v42, vcc, s4, v42
	v_addc_co_u32_e32 v43, vcc, v45, v43, vcc
	v_add_u32_e32 v48, s0, v44
	v_add_co_u32_e32 v44, vcc, v46, v4
	v_addc_co_u32_e32 v45, vcc, 0, v47, vcc
	v_mov_b32_e32 v49, s5
	v_add_co_u32_e32 v44, vcc, s4, v44
	v_addc_co_u32_e32 v45, vcc, v49, v45, vcc
	;; [unrolled: 13-line block ×13, first 2 shown]
	v_add_co_u32_e32 v88, vcc, s22, v88
	v_addc_co_u32_e32 v89, vcc, 0, v89, vcc
	v_add_co_u32_e32 v90, vcc, v90, v99
	v_mad_u64_u32 v[96:97], s[26:27], v92, s23, v[94:95]
	v_addc_co_u32_e32 v91, vcc, 0, v91, vcc
	v_add_co_u32_e32 v90, vcc, s4, v90
	v_addc_co_u32_e32 v91, vcc, v93, v91, vcc
	v_add_co_u32_e32 v92, vcc, v96, v4
	v_addc_co_u32_e32 v93, vcc, 0, v97, vcc
	v_mov_b32_e32 v98, s5
	v_add_co_u32_e32 v92, vcc, s4, v92
	v_addc_co_u32_e32 v93, vcc, v98, v93, vcc
	v_add_co_u32_e32 v92, vcc, s22, v92
	v_addc_co_u32_e32 v93, vcc, 0, v93, vcc
	v_add_co_u32_e32 v96, vcc, v96, v99
	s_mul_i32 s25, s21, 0x78
	v_mov_b32_e32 v20, 0x8a40
	v_addc_co_u32_e32 v100, vcc, 0, v97, vcc
	v_mov_b32_e32 v97, s25
	v_lshl_add_u32 v20, v1, 7, v20
	v_lshlrev_b32_e32 v22, 4, v1
	v_mad_i32_i24 v1, s21, v1, v97
	v_mad_u64_u32 v[97:98], s[26:27], v1, s23, v[94:95]
	v_mov_b32_e32 v103, s5
	v_add_co_u32_e32 v1, vcc, s4, v96
	v_addc_co_u32_e32 v94, vcc, v103, v100, vcc
	v_add_co_u32_e32 v4, vcc, v97, v4
	v_addc_co_u32_e32 v95, vcc, 0, v98, vcc
	v_mov_b32_e32 v96, s5
	v_add_co_u32_e32 v4, vcc, s4, v4
	v_lshrrev_b32_e32 v23, 3, v0
	v_addc_co_u32_e32 v96, vcc, v96, v95, vcc
	v_lshlrev_b32_e32 v24, 2, v23
	v_lshlrev_b32_e32 v25, 4, v0
	v_add_co_u32_e32 v95, vcc, s22, v4
	v_cmp_gt_u32_e64 s[0:1], 4, v0
	v_add3_u32 v24, v25, v24, s3
	v_cmp_gt_i32_e64 s[2:3], s8, v34
	v_addc_co_u32_e32 v96, vcc, 0, v96, vcc
	s_ashr_i32 s24, s14, 31
	s_and_b64 s[16:17], s[0:1], s[2:3]
	v_add_co_u32_e32 v4, vcc, v97, v99
	v_addc_co_u32_e32 v98, vcc, 0, v98, vcc
	s_add_u32 s26, s4, s18
	v_add_u32_e32 v21, v20, v99
	v_mov_b32_e32 v99, s5
	v_add_co_u32_e32 v97, vcc, s4, v4
	s_addc_u32 s27, s5, s19
	v_addc_co_u32_e32 v98, vcc, v99, v98, vcc
	v_mov_b32_e32 v100, s27
	v_mov_b32_e32 v99, s26
	v_mad_u64_u32 v[100:101], s[26:27], v101, s23, v[99:100]
	v_mad_u64_u32 v[102:103], s[26:27], v102, s23, 0
	s_movk_i32 s25, 0xd0
	v_add_co_u32_e32 v100, vcc, s25, v100
	v_addc_co_u32_e32 v101, vcc, 0, v101, vcc
	v_mov_b32_e32 v4, s19
	v_add_co_u32_e32 v99, vcc, s18, v102
	v_addc_co_u32_e32 v4, vcc, v4, v103, vcc
	v_add_co_u32_e32 v99, vcc, v99, v106
	v_addc_co_u32_e32 v4, vcc, 0, v4, vcc
	v_mov_b32_e32 v102, s5
	v_add_co_u32_e32 v99, vcc, s4, v99
	v_mad_u64_u32 v[104:105], s[26:27], v104, s23, 0
	v_addc_co_u32_e32 v4, vcc, v102, v4, vcc
	s_movk_i32 s25, 0xc0
	v_add_co_u32_e32 v102, vcc, s25, v99
	v_addc_co_u32_e32 v103, vcc, 0, v4, vcc
	v_mov_b32_e32 v4, s19
	v_add_co_u32_e32 v99, vcc, s18, v104
	v_addc_co_u32_e32 v4, vcc, v4, v105, vcc
	v_add_co_u32_e32 v99, vcc, v99, v106
	v_mul_lo_u32 v34, v34, s9
	v_addc_co_u32_e32 v4, vcc, 0, v4, vcc
	v_mov_b32_e32 v104, s5
	v_add_co_u32_e32 v99, vcc, s4, v99
	v_addc_co_u32_e32 v4, vcc, v104, v4, vcc
	v_add_u32_e32 v9, 0x30c0, v8
	v_add_co_u32_e32 v105, vcc, s25, v99
	v_mov_b32_e32 v6, 0
	v_add_u32_e32 v10, 0x5140, v8
	v_add_u32_e32 v11, 0x5960, v8
	;; [unrolled: 1-line block ×6, first 2 shown]
	v_mul_u32_u24_e32 v25, 0x104, v0
	v_ashrrev_i32_e32 v35, 31, v34
	v_addc_co_u32_e32 v106, vcc, 0, v4, vcc
	s_mov_b32 s18, 0x30303030
	s_movk_i32 s19, 0x3f00
	s_movk_i32 s23, 0xe000
	v_mov_b32_e32 v107, s24
	v_mov_b32_e32 v108, 8
	v_add_u32_e32 v109, 0x800, v8
	v_add_u32_e32 v110, 0x1000, v8
	;; [unrolled: 1-line block ×8, first 2 shown]
	v_mov_b32_e32 v117, v0
	v_mov_b32_e32 v104, 0
	;; [unrolled: 1-line block ×4, first 2 shown]
	s_branch .LBB235_6
.LBB235_4:                              ;   in Loop: Header=BB235_6 Depth=1
	s_or_b64 exec, exec, s[4:5]
	s_waitcnt lgkmcnt(0)
	s_barrier
	ds_read_b128 v[120:123], v20
	ds_read_b128 v[124:127], v20 offset:16
	ds_read_b128 v[128:131], v20 offset:32
	;; [unrolled: 1-line block ×3, first 2 shown]
	ds_read_b32 v119, v26
	ds_read2_b32 v[136:137], v25 offset0:44 offset1:45
	ds_read2_b32 v[138:139], v25 offset0:38 offset1:39
	;; [unrolled: 1-line block ×8, first 2 shown]
	s_waitcnt lgkmcnt(7)
	v_dot4_i32_i8 v118, v136, v132, 0
	v_dot4_i32_i8 v118, v137, v133, v118
	s_waitcnt lgkmcnt(2)
	v_dot4_i32_i8 v118, v146, v134, v118
	v_dot4_i32_i8 v160, v147, v135, v118
	;; [unrolled: 3-line block ×3, first 2 shown]
	v_dot4_i32_i8 v118, v148, v130, v118
	v_dot4_i32_i8 v161, v149, v131, v118
	;; [unrolled: 1-line block ×10, first 2 shown]
	v_add_u32_e32 v118, 0x2118, v25
	ds_read2_b32 v[136:137], v118 offset1:1
	v_add_u32_e32 v118, 0x2110, v25
	v_add_u32_e32 v140, 0x2108, v25
	;; [unrolled: 1-line block ×4, first 2 shown]
	ds_read2_b32 v[138:139], v118 offset1:1
	ds_read2_b32 v[140:141], v140 offset1:1
	;; [unrolled: 1-line block ×4, first 2 shown]
	v_add_u32_e32 v118, 0x2130, v25
	ds_read2_b32 v[146:147], v118 offset1:1
	v_add_u32_e32 v118, 0x2128, v25
	v_add_u32_e32 v150, 0x2120, v25
	;; [unrolled: 1-line block ×3, first 2 shown]
	ds_read2_b32 v[148:149], v118 offset1:1
	ds_read2_b32 v[150:151], v150 offset1:1
	;; [unrolled: 1-line block ×3, first 2 shown]
	s_waitcnt lgkmcnt(3)
	v_dot4_i32_i8 v118, v146, v132, 0
	v_dot4_i32_i8 v118, v147, v133, v118
	v_dot4_i32_i8 v118, v144, v134, v118
	v_dot4_i32_i8 v164, v145, v135, v118
	s_waitcnt lgkmcnt(1)
	v_dot4_i32_i8 v118, v150, v128, 0
	v_dot4_i32_i8 v118, v151, v129, v118
	;; [unrolled: 1-line block ×12, first 2 shown]
	v_add_u32_e32 v136, 0x4190, v25
	v_add_u32_e32 v138, 0x4188, v25
	;; [unrolled: 1-line block ×5, first 2 shown]
	ds_read_b32 v118, v33 offset:384
	ds_read2_b32 v[136:137], v136 offset1:1
	ds_read2_b32 v[138:139], v138 offset1:1
	;; [unrolled: 1-line block ×5, first 2 shown]
	v_add_u32_e32 v146, 0x41a8, v25
	v_add_u32_e32 v148, 0x41a0, v25
	;; [unrolled: 1-line block ×3, first 2 shown]
	ds_read2_b32 v[146:147], v146 offset1:1
	ds_read2_b32 v[148:149], v148 offset1:1
	;; [unrolled: 1-line block ×3, first 2 shown]
	s_waitcnt lgkmcnt(3)
	v_dot4_i32_i8 v144, v144, v132, 0
	v_dot4_i32_i8 v136, v136, v124, 0
	;; [unrolled: 1-line block ×7, first 2 shown]
	s_waitcnt lgkmcnt(1)
	v_dot4_i32_i8 v142, v148, v128, 0
	v_dot4_i32_i8 v170, v153, v127, v136
	;; [unrolled: 1-line block ×9, first 2 shown]
	v_add_u32_e32 v136, 0x6210, v25
	v_add_u32_e32 v138, 0x6208, v25
	v_add_u32_e32 v140, 0x6200, v25
	v_add_u32_e32 v142, 0x6238, v25
	v_add_u32_e32 v144, 0x6230, v25
	ds_read2_b32 v[136:137], v136 offset1:1
	ds_read2_b32 v[138:139], v138 offset1:1
	;; [unrolled: 1-line block ×5, first 2 shown]
	v_add_u32_e32 v146, 0x6228, v25
	v_add_u32_e32 v148, 0x6220, v25
	;; [unrolled: 1-line block ×3, first 2 shown]
	ds_read2_b32 v[146:147], v146 offset1:1
	ds_read2_b32 v[148:149], v148 offset1:1
	;; [unrolled: 1-line block ×3, first 2 shown]
	s_waitcnt lgkmcnt(3)
	v_dot4_i32_i8 v132, v144, v132, 0
	v_dot4_i32_i8 v124, v136, v124, 0
	;; [unrolled: 1-line block ×3, first 2 shown]
	s_waitcnt lgkmcnt(1)
	v_dot4_i32_i8 v128, v148, v128, 0
	v_dot4_i32_i8 v132, v145, v133, v132
	;; [unrolled: 1-line block ×13, first 2 shown]
	ds_read_b128 v[120:123], v20 offset:80
	ds_read_b128 v[124:127], v20 offset:64
	;; [unrolled: 1-line block ×4, first 2 shown]
	ds_read2_b32 v[136:137], v25 offset0:62 offset1:63
	ds_read2_b32 v[138:139], v25 offset0:60 offset1:61
	;; [unrolled: 1-line block ×7, first 2 shown]
	s_waitcnt lgkmcnt(5)
	v_dot4_i32_i8 v138, v138, v128, 0
	v_dot4_i32_i8 v138, v139, v129, v138
	;; [unrolled: 1-line block ×4, first 2 shown]
	s_waitcnt lgkmcnt(3)
	v_dot4_i32_i8 v136, v142, v120, 0
	v_dot4_i32_i8 v136, v143, v121, v136
	;; [unrolled: 1-line block ×4, first 2 shown]
	s_waitcnt lgkmcnt(1)
	v_dot4_i32_i8 v136, v146, v124, 0
	v_dot4_i32_i8 v136, v147, v125, v136
	;; [unrolled: 1-line block ×3, first 2 shown]
	v_add_u32_e32 v140, 0x6250, v25
	v_add_u32_e32 v142, 0x6248, v25
	;; [unrolled: 1-line block ×5, first 2 shown]
	v_dot4_i32_i8 v178, v145, v127, v136
	ds_read_b128 v[136:139], v22 offset:36944
	ds_read2_b32 v[140:141], v140 offset1:1
	ds_read2_b32 v[142:143], v142 offset1:1
	;; [unrolled: 1-line block ×5, first 2 shown]
	v_add_u32_e32 v154, 0x6268, v25
	v_add_u32_e32 v156, 0x6260, v25
	v_add_u32_e32 v158, 0x2158, v25
	ds_read2_b32 v[154:155], v154 offset1:1
	ds_read2_b32 v[156:157], v156 offset1:1
	;; [unrolled: 1-line block ×3, first 2 shown]
	s_waitcnt lgkmcnt(3)
	v_dot4_i32_i8 v150, v150, v128, 0
	v_dot4_i32_i8 v150, v151, v129, v150
	;; [unrolled: 1-line block ×4, first 2 shown]
	s_waitcnt lgkmcnt(1)
	v_dot4_i32_i8 v146, v156, v132, 0
	v_dot4_i32_i8 v151, v157, v133, v146
	ds_read_b32 v179, v31 offset:256
	ds_read2_b32 v[146:147], v32 offset0:2 offset1:3
	v_dot4_i32_i8 v140, v140, v120, 0
	v_dot4_i32_i8 v140, v141, v121, v140
	;; [unrolled: 1-line block ×4, first 2 shown]
	s_waitcnt lgkmcnt(0)
	v_bfe_i32 v141, v146, 8, 8
	v_bfe_i32 v152, v147, 8, 8
	v_mul_lo_u32 v140, v140, v152
	v_mul_lo_u32 v141, v174, v141
	v_dot4_i32_i8 v144, v144, v124, 0
	v_dot4_i32_i8 v144, v145, v125, v144
	;; [unrolled: 1-line block ×4, first 2 shown]
	v_bfe_i32 v143, v147, 0, 8
	v_mad_u64_u32 v[142:143], s[4:5], v142, v143, v[140:141]
	v_bfe_i32 v144, v146, 0, 8
	v_add_u32_e32 v156, 0x2160, v25
	v_mad_u64_u32 v[140:141], s[4:5], v175, v144, v[141:142]
	v_dot4_i32_i8 v141, v154, v134, v151
	v_dot4_i32_i8 v143, v155, v135, v141
	v_cvt_f32_i32_e32 v151, v140
	v_ashrrev_i32_e32 v140, 24, v147
	v_ashrrev_i32_e32 v141, 24, v146
	v_mul_lo_u32 v140, v150, v140
	v_mul_lo_u32 v141, v172, v141
	v_cvt_f32_i32_e32 v145, v142
	v_bfe_i32 v142, v147, 16, 8
	v_bfe_i32 v144, v146, 16, 8
	v_mad_u64_u32 v[142:143], s[4:5], v143, v142, v[140:141]
	v_fma_f32 v146, v136, v151, 0
	v_fma_f32 v172, v138, v145, 0
	v_mad_u64_u32 v[140:141], s[4:5], v173, v144, v[141:142]
	ds_read2_b32 v[143:144], v24 offset0:2 offset1:3
	v_cvt_f32_i32_e32 v142, v142
	v_cvt_f32_i32_e32 v147, v140
	ds_read2_b32 v[140:141], v25 offset0:56 offset1:57
	v_add_u32_e32 v150, 0x2178, v25
	v_fmac_f32_e32 v172, v139, v142
	v_fmac_f32_e32 v146, v137, v147
	s_waitcnt lgkmcnt(1)
	v_bfe_i32 v142, v143, 0, 8
	s_waitcnt lgkmcnt(0)
	v_dot4_i32_i8 v140, v140, v132, 0
	v_dot4_i32_i8 v140, v141, v133, v140
	v_bfe_i32 v141, v143, 8, 8
	v_mul_lo_u32 v141, v162, v141
	v_dot4_i32_i8 v140, v148, v134, v140
	v_dot4_i32_i8 v147, v149, v135, v140
	v_bfe_i32 v140, v144, 8, 8
	v_mul_lo_u32 v140, v177, v140
	v_mad_u64_u32 v[141:142], s[4:5], v163, v142, v[141:142]
	v_bfe_i32 v145, v144, 0, 8
	v_fmac_f32_e32 v4, v118, v146
	v_mad_u64_u32 v[145:146], s[4:5], v178, v145, v[140:141]
	v_ashrrev_i32_e32 v140, 24, v144
	v_mul_lo_u32 v140, v176, v140
	v_bfe_i32 v148, v144, 16, 8
	v_ashrrev_i32_e32 v142, 24, v143
	v_bfe_i32 v146, v143, 16, 8
	v_mul_lo_u32 v142, v160, v142
	v_mad_u64_u32 v[143:144], s[4:5], v147, v148, v[140:141]
	v_cvt_f32_i32_e32 v140, v141
	v_cvt_f32_i32_e32 v141, v145
	v_mad_u64_u32 v[146:147], s[4:5], v161, v146, v[142:143]
	v_cvt_f32_i32_e32 v142, v143
	v_fma_f32 v144, v136, v140, 0
	v_cvt_f32_i32_e32 v143, v146
	v_fma_f32 v145, v138, v141, 0
	v_fmac_f32_e32 v145, v139, v142
	v_add_u32_e32 v146, 0x2148, v25
	v_fmac_f32_e32 v144, v137, v143
	v_fmac_f32_e32 v6, v119, v144
	;; [unrolled: 1-line block ×3, first 2 shown]
	v_add_u32_e32 v119, 0x2150, v25
	v_add_u32_e32 v148, 0x2140, v25
	ds_read_b32 v162, v29 offset:128
	ds_read2_b32 v[140:141], v30 offset0:2 offset1:3
	ds_read2_b32 v[142:143], v28 offset0:2 offset1:3
	ds_read2_b32 v[144:145], v119 offset1:1
	ds_read2_b32 v[146:147], v146 offset1:1
	;; [unrolled: 1-line block ×4, first 2 shown]
	v_add_u32_e32 v119, 0x2170, v25
	ds_read2_b32 v[152:153], v119 offset1:1
	v_add_u32_e32 v119, 0x2168, v25
	v_add_u32_e32 v160, 0x41d8, v25
	ds_read2_b32 v[154:155], v119 offset1:1
	ds_read2_b32 v[156:157], v156 offset1:1
	;; [unrolled: 1-line block ×3, first 2 shown]
	v_fmac_f32_e32 v4, v118, v172
	s_waitcnt lgkmcnt(3)
	v_dot4_i32_i8 v119, v152, v128, 0
	v_dot4_i32_i8 v119, v153, v129, v119
	;; [unrolled: 1-line block ×4, first 2 shown]
	s_waitcnt lgkmcnt(1)
	v_dot4_i32_i8 v119, v156, v132, 0
	v_dot4_i32_i8 v119, v157, v133, v119
	;; [unrolled: 1-line block ×11, first 2 shown]
	v_bfe_i32 v144, v142, 8, 8
	v_dot4_i32_i8 v119, v159, v123, v119
	v_bfe_i32 v145, v143, 8, 8
	v_mul_lo_u32 v144, v166, v144
	v_mul_lo_u32 v119, v119, v145
	v_bfe_i32 v145, v142, 0, 8
	v_bfe_i32 v147, v143, 0, 8
	v_mad_u64_u32 v[144:145], s[4:5], v167, v145, v[144:145]
	v_bfe_i32 v148, v142, 16, 8
	v_ashrrev_i32_e32 v142, 24, v142
	v_mad_u64_u32 v[145:146], s[4:5], v146, v147, v[119:120]
	v_ashrrev_i32_e32 v119, 24, v143
	v_mul_lo_u32 v142, v164, v142
	v_mul_lo_u32 v119, v150, v119
	v_bfe_i32 v146, v143, 16, 8
	v_add_u32_e32 v154, 0x41e0, v25
	v_mad_u64_u32 v[142:143], s[4:5], v165, v148, v[142:143]
	v_mad_u64_u32 v[146:147], s[4:5], v151, v146, v[119:120]
	v_cvt_f32_i32_e32 v119, v144
	v_cvt_f32_i32_e32 v143, v145
	;; [unrolled: 1-line block ×4, first 2 shown]
	v_fma_f32 v119, v136, v119, 0
	v_fma_f32 v143, v138, v143, 0
	v_fmac_f32_e32 v119, v137, v142
	v_fmac_f32_e32 v143, v139, v144
	;; [unrolled: 1-line block ×3, first 2 shown]
	v_add_u32_e32 v119, 0x41d0, v25
	v_add_u32_e32 v144, 0x41c8, v25
	;; [unrolled: 1-line block ×4, first 2 shown]
	v_fmac_f32_e32 v104, v162, v143
	ds_read2_b32 v[142:143], v119 offset1:1
	ds_read2_b32 v[144:145], v144 offset1:1
	;; [unrolled: 1-line block ×4, first 2 shown]
	v_add_u32_e32 v119, 0x41f0, v25
	ds_read2_b32 v[150:151], v119 offset1:1
	v_add_u32_e32 v119, 0x41e8, v25
	ds_read2_b32 v[152:153], v119 offset1:1
	ds_read2_b32 v[154:155], v154 offset1:1
	s_waitcnt lgkmcnt(0)
	s_barrier
	v_dot4_i32_i8 v119, v150, v128, 0
	v_dot4_i32_i8 v119, v151, v129, v119
	;; [unrolled: 1-line block ×15, first 2 shown]
	v_bfe_i32 v120, v140, 8, 8
	v_mul_lo_u32 v120, v170, v120
	v_dot4_i32_i8 v119, v161, v123, v119
	v_bfe_i32 v121, v141, 8, 8
	v_mul_lo_u32 v119, v119, v121
	v_bfe_i32 v121, v140, 0, 8
	v_mad_u64_u32 v[120:121], s[4:5], v171, v121, v[120:121]
	v_bfe_i32 v123, v141, 0, 8
	v_bfe_i32 v125, v140, 16, 8
	v_mad_u64_u32 v[121:122], s[4:5], v122, v123, v[119:120]
	v_ashrrev_i32_e32 v119, 24, v141
	v_mul_lo_u32 v119, v128, v119
	v_bfe_i32 v123, v141, 16, 8
	v_ashrrev_i32_e32 v122, 24, v140
	v_mul_lo_u32 v122, v168, v122
	v_mad_u64_u32 v[123:124], s[4:5], v129, v123, v[119:120]
	v_cvt_f32_i32_e32 v119, v120
	v_cvt_f32_i32_e32 v120, v121
	v_mad_u64_u32 v[124:125], s[4:5], v169, v125, v[122:123]
	v_cvt_f32_i32_e32 v121, v123
	v_fma_f32 v119, v136, v119, 0
	v_cvt_f32_i32_e32 v122, v124
	v_fma_f32 v120, v138, v120, 0
	v_fmac_f32_e32 v120, v139, v121
	v_fmac_f32_e32 v119, v137, v122
	;; [unrolled: 1-line block ×4, first 2 shown]
.LBB235_5:                              ;   in Loop: Header=BB235_6 Depth=1
	v_add_co_u32_e32 v36, vcc, 0xd2, v36
	v_addc_co_u32_e32 v37, vcc, 0, v37, vcc
	v_add_co_u32_e32 v38, vcc, 0xd2, v38
	v_addc_co_u32_e32 v39, vcc, 0, v39, vcc
	;; [unrolled: 2-line block ×34, first 2 shown]
	s_add_i32 s21, s21, -1
	s_addk_i32 s22, 0x100
	v_add_co_u32_e32 v105, vcc, 0xd2, v105
	v_add_u32_e32 v27, 8, v27
	v_add_u32_e32 v23, 8, v23
	;; [unrolled: 1-line block ×3, first 2 shown]
	s_cmp_eq_u32 s21, 0
	v_addc_co_u32_e32 v106, vcc, 0, v106, vcc
	s_cbranch_scc1 .LBB235_17
.LBB235_6:                              ; =>This Inner Loop Header: Depth=1
	v_add_co_u32_e32 v118, vcc, s14, v38
	v_addc_co_u32_e32 v119, vcc, v39, v107, vcc
	global_load_dword v122, v[118:119], off
	v_add_co_u32_e32 v118, vcc, s14, v36
	v_addc_co_u32_e32 v119, vcc, v37, v107, vcc
	global_load_dword v123, v[118:119], off
	;; [unrolled: 3-line block ×4, first 2 shown]
	v_add_co_u32_e32 v118, vcc, s14, v46
	v_addc_co_u32_e32 v119, vcc, v47, v107, vcc
	v_add_co_u32_e32 v120, vcc, s14, v44
	v_addc_co_u32_e32 v121, vcc, v45, v107, vcc
	global_load_dword v127, v[120:121], off
	global_load_dword v126, v[118:119], off
	v_add_co_u32_e32 v118, vcc, s14, v50
	v_addc_co_u32_e32 v119, vcc, v51, v107, vcc
	v_add_co_u32_e32 v120, vcc, s14, v48
	v_addc_co_u32_e32 v121, vcc, v49, v107, vcc
	global_load_dword v128, v[118:119], off
	s_nop 0
	global_load_dword v120, v[120:121], off
	s_add_i32 s4, s22, 0xffffff80
	s_cmp_lt_i32 s4, s15
	s_waitcnt vmcnt(7)
	v_lshrrev_b32_e32 v119, 4, v122
	v_and_b32_e32 v118, 0xf0f0f0f, v122
	v_and_b32_e32 v119, 0xf0f0f0f, v119
	s_waitcnt vmcnt(6)
	v_ashrrev_i32_e32 v121, v7, v123
	v_and_or_b32 v119, v121, s18, v119
	v_lshlrev_b16_e32 v130, 8, v119
	v_and_b32_sdwa v131, v119, s19 dst_sel:DWORD dst_unused:UNUSED_PAD src0_sel:WORD_1 src1_sel:DWORD
	v_add_u16_e32 v130, 0xe000, v130
	s_waitcnt vmcnt(5)
	v_and_b32_e32 v122, 0xf0f0f0f, v124
	v_lshrrev_b32_e32 v123, 4, v124
	v_and_b32_e32 v123, 0xf0f0f0f, v123
	s_waitcnt vmcnt(4)
	v_ashrrev_i32_e32 v124, v7, v125
	v_lshlrev_b32_e32 v125, 4, v121
	v_lshlrev_b32_e32 v129, 4, v124
	v_and_or_b32 v118, v125, s18, v118
	v_and_or_b32 v121, v129, s18, v122
	;; [unrolled: 1-line block ×3, first 2 shown]
	v_and_b32_e32 v123, 0x3f00, v118
	v_lshlrev_b16_e32 v124, 8, v118
	v_and_b32_sdwa v125, v118, s19 dst_sel:DWORD dst_unused:UNUSED_PAD src0_sel:WORD_1 src1_sel:DWORD
	v_lshlrev_b16_sdwa v118, v108, v118 dst_sel:DWORD dst_unused:UNUSED_PAD src0_sel:DWORD src1_sel:WORD_1
	v_and_b32_e32 v129, 0x3f00, v119
	v_lshlrev_b16_sdwa v119, v108, v119 dst_sel:DWORD dst_unused:UNUSED_PAD src0_sel:DWORD src1_sel:WORD_1
	v_add_u16_e32 v124, 0xe000, v124
	v_add_u16_e32 v118, 0xe000, v118
	;; [unrolled: 1-line block ×3, first 2 shown]
	v_or_b32_sdwa v123, v123, v124 dst_sel:DWORD dst_unused:UNUSED_PAD src0_sel:DWORD src1_sel:BYTE_1
	v_or_b32_sdwa v118, v125, v118 dst_sel:DWORD dst_unused:UNUSED_PAD src0_sel:DWORD src1_sel:BYTE_1
	;; [unrolled: 1-line block ×4, first 2 shown]
	v_add_u16_e32 v123, 0xe000, v123
	v_add_u16_sdwa v118, v118, s23 dst_sel:WORD_1 dst_unused:UNUSED_PAD src0_sel:DWORD src1_sel:DWORD
	v_add_u16_e32 v124, 0xe000, v124
	v_add_u16_sdwa v119, v119, s23 dst_sel:WORD_1 dst_unused:UNUSED_PAD src0_sel:DWORD src1_sel:DWORD
	v_lshlrev_b16_e32 v136, 8, v122
	v_or_b32_e32 v118, v123, v118
	v_or_b32_e32 v119, v124, v119
	v_and_b32_e32 v132, 0x3f00, v121
	v_lshlrev_b16_e32 v133, 8, v121
	v_and_b32_sdwa v134, v121, s19 dst_sel:DWORD dst_unused:UNUSED_PAD src0_sel:WORD_1 src1_sel:DWORD
	v_lshlrev_b16_sdwa v121, v108, v121 dst_sel:DWORD dst_unused:UNUSED_PAD src0_sel:DWORD src1_sel:WORD_1
	v_and_b32_e32 v135, 0x3f00, v122
	ds_write2_b32 v8, v118, v119 offset1:16
	v_add_u16_e32 v118, 0xe000, v136
	v_add_u16_e32 v133, 0xe000, v133
	;; [unrolled: 1-line block ×3, first 2 shown]
	v_or_b32_sdwa v118, v135, v118 dst_sel:DWORD dst_unused:UNUSED_PAD src0_sel:DWORD src1_sel:BYTE_1
	v_or_b32_sdwa v125, v132, v133 dst_sel:DWORD dst_unused:UNUSED_PAD src0_sel:DWORD src1_sel:BYTE_1
	;; [unrolled: 1-line block ×3, first 2 shown]
	v_add_u16_e32 v123, 0xe000, v118
	v_add_co_u32_e32 v118, vcc, s14, v54
	v_add_u16_e32 v125, 0xe000, v125
	v_add_u16_sdwa v121, v121, s23 dst_sel:WORD_1 dst_unused:UNUSED_PAD src0_sel:DWORD src1_sel:DWORD
	v_addc_co_u32_e32 v119, vcc, v55, v107, vcc
	v_or_b32_e32 v121, v125, v121
	global_load_dword v125, v[118:119], off
	v_add_co_u32_e32 v118, vcc, s14, v52
	v_addc_co_u32_e32 v119, vcc, v53, v107, vcc
	global_load_dword v129, v[118:119], off
	v_lshlrev_b16_sdwa v118, v108, v122 dst_sel:DWORD dst_unused:UNUSED_PAD src0_sel:DWORD src1_sel:WORD_1
	v_and_b32_sdwa v124, v122, s19 dst_sel:DWORD dst_unused:UNUSED_PAD src0_sel:WORD_1 src1_sel:DWORD
	v_add_u16_e32 v118, 0xe000, v118
	v_or_b32_sdwa v118, v124, v118 dst_sel:DWORD dst_unused:UNUSED_PAD src0_sel:DWORD src1_sel:BYTE_1
	v_add_u16_sdwa v118, v118, s23 dst_sel:WORD_1 dst_unused:UNUSED_PAD src0_sel:DWORD src1_sel:DWORD
	v_or_b32_e32 v118, v123, v118
	ds_write2_b32 v109, v121, v118 offset0:8 offset1:24
	s_waitcnt vmcnt(5)
	v_ashrrev_i32_e32 v121, v7, v127
	s_waitcnt vmcnt(4)
	v_and_b32_e32 v118, 0xf0f0f0f, v126
	v_lshlrev_b32_e32 v122, 4, v121
	v_and_or_b32 v118, v122, s18, v118
	v_lshlrev_b16_e32 v123, 8, v118
	v_and_b32_e32 v122, 0x3f00, v118
	v_add_u16_e32 v123, 0xe000, v123
	v_or_b32_sdwa v122, v122, v123 dst_sel:DWORD dst_unused:UNUSED_PAD src0_sel:DWORD src1_sel:BYTE_1
	v_and_b32_sdwa v123, v118, s19 dst_sel:DWORD dst_unused:UNUSED_PAD src0_sel:WORD_1 src1_sel:DWORD
	v_lshlrev_b16_sdwa v118, v108, v118 dst_sel:DWORD dst_unused:UNUSED_PAD src0_sel:DWORD src1_sel:WORD_1
	v_lshrrev_b32_e32 v119, 4, v126
	v_add_u16_e32 v118, 0xe000, v118
	v_and_b32_e32 v119, 0xf0f0f0f, v119
	v_or_b32_sdwa v118, v123, v118 dst_sel:DWORD dst_unused:UNUSED_PAD src0_sel:DWORD src1_sel:BYTE_1
	v_add_u16_e32 v122, 0xe000, v122
	v_add_u16_sdwa v118, v118, s23 dst_sel:WORD_1 dst_unused:UNUSED_PAD src0_sel:DWORD src1_sel:DWORD
	v_and_or_b32 v119, v121, s18, v119
	v_or_b32_e32 v118, v122, v118
	v_lshlrev_b16_e32 v122, 8, v119
	v_and_b32_e32 v121, 0x3f00, v119
	v_add_u16_e32 v122, 0xe000, v122
	v_or_b32_sdwa v121, v121, v122 dst_sel:DWORD dst_unused:UNUSED_PAD src0_sel:DWORD src1_sel:BYTE_1
	v_and_b32_sdwa v122, v119, s19 dst_sel:DWORD dst_unused:UNUSED_PAD src0_sel:WORD_1 src1_sel:DWORD
	v_lshlrev_b16_sdwa v119, v108, v119 dst_sel:DWORD dst_unused:UNUSED_PAD src0_sel:DWORD src1_sel:WORD_1
	v_add_u16_e32 v119, 0xe000, v119
	v_or_b32_sdwa v119, v122, v119 dst_sel:DWORD dst_unused:UNUSED_PAD src0_sel:DWORD src1_sel:BYTE_1
	v_add_u16_e32 v121, 0xe000, v121
	v_add_u16_sdwa v119, v119, s23 dst_sel:WORD_1 dst_unused:UNUSED_PAD src0_sel:DWORD src1_sel:DWORD
	v_or_b32_e32 v119, v121, v119
	ds_write2_b32 v110, v118, v119 offset0:16 offset1:32
	s_waitcnt vmcnt(3)
	v_lshrrev_b32_e32 v118, 4, v128
	v_and_b32_e32 v122, 0xf0f0f0f, v118
	v_add_co_u32_e32 v118, vcc, s14, v58
	v_addc_co_u32_e32 v119, vcc, v59, v107, vcc
	global_load_dword v123, v[118:119], off
	v_add_co_u32_e32 v118, vcc, s14, v56
	v_addc_co_u32_e32 v119, vcc, v57, v107, vcc
	global_load_dword v124, v[118:119], off
	s_waitcnt vmcnt(4)
	v_ashrrev_i32_e32 v120, v7, v120
	v_and_b32_e32 v121, 0xf0f0f0f, v128
	v_lshlrev_b32_e32 v118, 4, v120
	v_and_or_b32 v118, v118, s18, v121
	v_lshlrev_b16_e32 v121, 8, v118
	v_and_b32_e32 v119, 0x3f00, v118
	v_add_u16_e32 v121, 0xe000, v121
	v_or_b32_sdwa v119, v119, v121 dst_sel:DWORD dst_unused:UNUSED_PAD src0_sel:DWORD src1_sel:BYTE_1
	v_and_b32_sdwa v121, v118, s19 dst_sel:DWORD dst_unused:UNUSED_PAD src0_sel:WORD_1 src1_sel:DWORD
	v_lshlrev_b16_sdwa v118, v108, v118 dst_sel:DWORD dst_unused:UNUSED_PAD src0_sel:DWORD src1_sel:WORD_1
	v_add_u16_e32 v118, 0xe000, v118
	v_or_b32_sdwa v118, v121, v118 dst_sel:DWORD dst_unused:UNUSED_PAD src0_sel:DWORD src1_sel:BYTE_1
	v_add_u16_e32 v119, 0xe000, v119
	v_add_u16_sdwa v118, v118, s23 dst_sel:WORD_1 dst_unused:UNUSED_PAD src0_sel:DWORD src1_sel:DWORD
	v_or_b32_e32 v118, v119, v118
	v_and_or_b32 v119, v120, s18, v122
	v_lshlrev_b16_e32 v121, 8, v119
	v_and_b32_e32 v120, 0x3f00, v119
	v_add_u16_e32 v121, 0xe000, v121
	v_or_b32_sdwa v120, v120, v121 dst_sel:DWORD dst_unused:UNUSED_PAD src0_sel:DWORD src1_sel:BYTE_1
	v_and_b32_sdwa v121, v119, s19 dst_sel:DWORD dst_unused:UNUSED_PAD src0_sel:WORD_1 src1_sel:DWORD
	v_lshlrev_b16_sdwa v119, v108, v119 dst_sel:DWORD dst_unused:UNUSED_PAD src0_sel:DWORD src1_sel:WORD_1
	v_add_u16_e32 v119, 0xe000, v119
	v_or_b32_sdwa v119, v121, v119 dst_sel:DWORD dst_unused:UNUSED_PAD src0_sel:DWORD src1_sel:BYTE_1
	v_add_u16_e32 v120, 0xe000, v120
	v_add_u16_sdwa v119, v119, s23 dst_sel:WORD_1 dst_unused:UNUSED_PAD src0_sel:DWORD src1_sel:DWORD
	v_or_b32_e32 v119, v120, v119
	ds_write2_b32 v111, v118, v119 offset0:24 offset1:40
	s_waitcnt vmcnt(3)
	v_lshrrev_b32_e32 v118, 4, v125
	v_and_b32_e32 v121, 0xf0f0f0f, v118
	v_add_co_u32_e32 v118, vcc, s14, v62
	v_addc_co_u32_e32 v119, vcc, v63, v107, vcc
	v_and_b32_e32 v120, 0xf0f0f0f, v125
	global_load_dword v125, v[118:119], off
	v_add_co_u32_e32 v118, vcc, s14, v60
	v_addc_co_u32_e32 v119, vcc, v61, v107, vcc
	global_load_dword v126, v[118:119], off
	s_waitcnt vmcnt(4)
	v_ashrrev_i32_e32 v122, v7, v129
	v_lshlrev_b32_e32 v118, 4, v122
	v_and_or_b32 v118, v118, s18, v120
	v_lshlrev_b16_e32 v120, 8, v118
	v_and_b32_e32 v119, 0x3f00, v118
	v_add_u16_e32 v120, 0xe000, v120
	v_or_b32_sdwa v119, v119, v120 dst_sel:DWORD dst_unused:UNUSED_PAD src0_sel:DWORD src1_sel:BYTE_1
	v_and_b32_sdwa v120, v118, s19 dst_sel:DWORD dst_unused:UNUSED_PAD src0_sel:WORD_1 src1_sel:DWORD
	v_lshlrev_b16_sdwa v118, v108, v118 dst_sel:DWORD dst_unused:UNUSED_PAD src0_sel:DWORD src1_sel:WORD_1
	v_add_u16_e32 v118, 0xe000, v118
	v_or_b32_sdwa v118, v120, v118 dst_sel:DWORD dst_unused:UNUSED_PAD src0_sel:DWORD src1_sel:BYTE_1
	v_add_u16_e32 v119, 0xe000, v119
	v_add_u16_sdwa v118, v118, s23 dst_sel:WORD_1 dst_unused:UNUSED_PAD src0_sel:DWORD src1_sel:DWORD
	v_and_or_b32 v121, v122, s18, v121
	v_or_b32_e32 v120, v119, v118
	v_lshlrev_b16_e32 v119, 8, v121
	v_and_b32_e32 v118, 0x3f00, v121
	v_add_u16_e32 v119, 0xe000, v119
	v_or_b32_sdwa v118, v118, v119 dst_sel:DWORD dst_unused:UNUSED_PAD src0_sel:DWORD src1_sel:BYTE_1
	v_add_u16_e32 v122, 0xe000, v118
	v_add_co_u32_e32 v118, vcc, s14, v66
	v_addc_co_u32_e32 v119, vcc, v67, v107, vcc
	global_load_dword v128, v[118:119], off
	v_add_co_u32_e32 v118, vcc, s14, v64
	v_addc_co_u32_e32 v119, vcc, v65, v107, vcc
	global_load_dword v129, v[118:119], off
	v_lshlrev_b16_sdwa v118, v108, v121 dst_sel:DWORD dst_unused:UNUSED_PAD src0_sel:DWORD src1_sel:WORD_1
	v_and_b32_sdwa v127, v121, s19 dst_sel:DWORD dst_unused:UNUSED_PAD src0_sel:WORD_1 src1_sel:DWORD
	v_add_u16_e32 v118, 0xe000, v118
	v_or_b32_sdwa v118, v127, v118 dst_sel:DWORD dst_unused:UNUSED_PAD src0_sel:DWORD src1_sel:BYTE_1
	v_add_u16_sdwa v118, v118, s23 dst_sel:WORD_1 dst_unused:UNUSED_PAD src0_sel:DWORD src1_sel:DWORD
	v_or_b32_e32 v118, v122, v118
	ds_write2_b32 v112, v120, v118 offset0:32 offset1:48
	s_waitcnt vmcnt(5)
	v_and_b32_e32 v118, 0xf0f0f0f, v123
	s_waitcnt vmcnt(4)
	v_ashrrev_i32_e32 v120, v7, v124
	v_lshlrev_b32_e32 v121, 4, v120
	v_and_or_b32 v118, v121, s18, v118
	v_lshlrev_b16_e32 v122, 8, v118
	v_and_b32_e32 v121, 0x3f00, v118
	v_add_u16_e32 v122, 0xe000, v122
	v_lshrrev_b32_e32 v119, 4, v123
	v_or_b32_sdwa v121, v121, v122 dst_sel:DWORD dst_unused:UNUSED_PAD src0_sel:DWORD src1_sel:BYTE_1
	v_and_b32_sdwa v122, v118, s19 dst_sel:DWORD dst_unused:UNUSED_PAD src0_sel:WORD_1 src1_sel:DWORD
	v_lshlrev_b16_sdwa v118, v108, v118 dst_sel:DWORD dst_unused:UNUSED_PAD src0_sel:DWORD src1_sel:WORD_1
	v_and_b32_e32 v119, 0xf0f0f0f, v119
	v_add_u16_e32 v118, 0xe000, v118
	v_or_b32_sdwa v118, v122, v118 dst_sel:DWORD dst_unused:UNUSED_PAD src0_sel:DWORD src1_sel:BYTE_1
	v_and_or_b32 v120, v120, s18, v119
	v_add_u16_e32 v121, 0xe000, v121
	v_add_u16_sdwa v118, v118, s23 dst_sel:WORD_1 dst_unused:UNUSED_PAD src0_sel:DWORD src1_sel:DWORD
	v_lshlrev_b16_e32 v119, 8, v120
	v_or_b32_e32 v121, v121, v118
	v_and_b32_e32 v118, 0x3f00, v120
	v_add_u16_e32 v119, 0xe000, v119
	v_or_b32_sdwa v118, v118, v119 dst_sel:DWORD dst_unused:UNUSED_PAD src0_sel:DWORD src1_sel:BYTE_1
	v_add_u16_e32 v122, 0xe000, v118
	v_add_co_u32_e32 v118, vcc, s14, v70
	v_addc_co_u32_e32 v119, vcc, v71, v107, vcc
	global_load_dword v124, v[118:119], off
	v_add_co_u32_e32 v118, vcc, s14, v68
	v_addc_co_u32_e32 v119, vcc, v69, v107, vcc
	global_load_dword v127, v[118:119], off
	v_lshlrev_b16_sdwa v118, v108, v120 dst_sel:DWORD dst_unused:UNUSED_PAD src0_sel:DWORD src1_sel:WORD_1
	v_and_b32_sdwa v123, v120, s19 dst_sel:DWORD dst_unused:UNUSED_PAD src0_sel:WORD_1 src1_sel:DWORD
	v_add_u16_e32 v118, 0xe000, v118
	v_or_b32_sdwa v118, v123, v118 dst_sel:DWORD dst_unused:UNUSED_PAD src0_sel:DWORD src1_sel:BYTE_1
	v_add_u16_sdwa v118, v118, s23 dst_sel:WORD_1 dst_unused:UNUSED_PAD src0_sel:DWORD src1_sel:DWORD
	v_or_b32_e32 v118, v122, v118
	ds_write2_b32 v113, v121, v118 offset0:40 offset1:56
	s_waitcnt vmcnt(5)
	v_and_b32_e32 v118, 0xf0f0f0f, v125
	v_lshrrev_b32_e32 v119, 4, v125
	s_waitcnt vmcnt(4)
	v_ashrrev_i32_e32 v120, v7, v126
	v_lshlrev_b32_e32 v121, 4, v120
	v_and_or_b32 v118, v121, s18, v118
	v_lshlrev_b16_e32 v122, 8, v118
	v_and_b32_e32 v121, 0x3f00, v118
	v_add_u16_e32 v122, 0xe000, v122
	v_or_b32_sdwa v121, v121, v122 dst_sel:DWORD dst_unused:UNUSED_PAD src0_sel:DWORD src1_sel:BYTE_1
	v_and_b32_sdwa v122, v118, s19 dst_sel:DWORD dst_unused:UNUSED_PAD src0_sel:WORD_1 src1_sel:DWORD
	v_lshlrev_b16_sdwa v118, v108, v118 dst_sel:DWORD dst_unused:UNUSED_PAD src0_sel:DWORD src1_sel:WORD_1
	v_add_u16_e32 v118, 0xe000, v118
	v_and_b32_e32 v119, 0xf0f0f0f, v119
	v_or_b32_sdwa v118, v122, v118 dst_sel:DWORD dst_unused:UNUSED_PAD src0_sel:DWORD src1_sel:BYTE_1
	v_add_u16_e32 v121, 0xe000, v121
	v_add_u16_sdwa v118, v118, s23 dst_sel:WORD_1 dst_unused:UNUSED_PAD src0_sel:DWORD src1_sel:DWORD
	v_and_or_b32 v119, v120, s18, v119
	v_or_b32_e32 v118, v121, v118
	v_lshlrev_b16_e32 v121, 8, v119
	v_and_b32_e32 v120, 0x3f00, v119
	v_add_u16_e32 v121, 0xe000, v121
	v_or_b32_sdwa v120, v120, v121 dst_sel:DWORD dst_unused:UNUSED_PAD src0_sel:DWORD src1_sel:BYTE_1
	v_and_b32_sdwa v121, v119, s19 dst_sel:DWORD dst_unused:UNUSED_PAD src0_sel:WORD_1 src1_sel:DWORD
	v_lshlrev_b16_sdwa v119, v108, v119 dst_sel:DWORD dst_unused:UNUSED_PAD src0_sel:DWORD src1_sel:WORD_1
	v_add_u16_e32 v119, 0xe000, v119
	v_or_b32_sdwa v119, v121, v119 dst_sel:DWORD dst_unused:UNUSED_PAD src0_sel:DWORD src1_sel:BYTE_1
	v_add_u16_e32 v120, 0xe000, v120
	v_add_u16_sdwa v119, v119, s23 dst_sel:WORD_1 dst_unused:UNUSED_PAD src0_sel:DWORD src1_sel:DWORD
	v_or_b32_e32 v119, v120, v119
	ds_write2_b32 v9, v118, v119 offset1:16
	s_waitcnt vmcnt(3)
	v_lshrrev_b32_e32 v118, 4, v128
	v_and_b32_e32 v121, 0xf0f0f0f, v118
	v_add_co_u32_e32 v118, vcc, s14, v74
	v_addc_co_u32_e32 v119, vcc, v75, v107, vcc
	global_load_dword v123, v[118:119], off
	v_add_co_u32_e32 v118, vcc, s14, v72
	s_waitcnt vmcnt(3)
	v_ashrrev_i32_e32 v122, v7, v129
	v_addc_co_u32_e32 v119, vcc, v73, v107, vcc
	v_and_b32_e32 v120, 0xf0f0f0f, v128
	global_load_dword v125, v[118:119], off
	v_lshlrev_b32_e32 v118, 4, v122
	v_and_or_b32 v118, v118, s18, v120
	v_lshlrev_b16_e32 v120, 8, v118
	v_and_b32_e32 v119, 0x3f00, v118
	v_add_u16_e32 v120, 0xe000, v120
	v_or_b32_sdwa v119, v119, v120 dst_sel:DWORD dst_unused:UNUSED_PAD src0_sel:DWORD src1_sel:BYTE_1
	v_and_b32_sdwa v120, v118, s19 dst_sel:DWORD dst_unused:UNUSED_PAD src0_sel:WORD_1 src1_sel:DWORD
	v_lshlrev_b16_sdwa v118, v108, v118 dst_sel:DWORD dst_unused:UNUSED_PAD src0_sel:DWORD src1_sel:WORD_1
	v_add_u16_e32 v118, 0xe000, v118
	v_or_b32_sdwa v118, v120, v118 dst_sel:DWORD dst_unused:UNUSED_PAD src0_sel:DWORD src1_sel:BYTE_1
	v_add_u16_e32 v119, 0xe000, v119
	v_add_u16_sdwa v118, v118, s23 dst_sel:WORD_1 dst_unused:UNUSED_PAD src0_sel:DWORD src1_sel:DWORD
	v_or_b32_e32 v118, v119, v118
	v_and_or_b32 v119, v122, s18, v121
	v_lshlrev_b16_e32 v121, 8, v119
	v_and_b32_e32 v120, 0x3f00, v119
	v_add_u16_e32 v121, 0xe000, v121
	v_or_b32_sdwa v120, v120, v121 dst_sel:DWORD dst_unused:UNUSED_PAD src0_sel:DWORD src1_sel:BYTE_1
	v_and_b32_sdwa v121, v119, s19 dst_sel:DWORD dst_unused:UNUSED_PAD src0_sel:WORD_1 src1_sel:DWORD
	v_lshlrev_b16_sdwa v119, v108, v119 dst_sel:DWORD dst_unused:UNUSED_PAD src0_sel:DWORD src1_sel:WORD_1
	v_add_u16_e32 v119, 0xe000, v119
	v_or_b32_sdwa v119, v121, v119 dst_sel:DWORD dst_unused:UNUSED_PAD src0_sel:DWORD src1_sel:BYTE_1
	v_add_u16_e32 v120, 0xe000, v120
	v_add_u16_sdwa v119, v119, s23 dst_sel:WORD_1 dst_unused:UNUSED_PAD src0_sel:DWORD src1_sel:DWORD
	v_or_b32_e32 v119, v120, v119
	ds_write2_b32 v114, v118, v119 offset0:8 offset1:24
	s_waitcnt vmcnt(3)
	v_lshrrev_b32_e32 v118, 4, v124
	v_and_b32_e32 v121, 0xf0f0f0f, v118
	v_add_co_u32_e32 v118, vcc, s14, v78
	v_addc_co_u32_e32 v119, vcc, v79, v107, vcc
	v_and_b32_e32 v120, 0xf0f0f0f, v124
	global_load_dword v124, v[118:119], off
	v_add_co_u32_e32 v118, vcc, s14, v76
	v_addc_co_u32_e32 v119, vcc, v77, v107, vcc
	global_load_dword v126, v[118:119], off
	s_waitcnt vmcnt(4)
	v_ashrrev_i32_e32 v122, v7, v127
	v_lshlrev_b32_e32 v118, 4, v122
	v_and_or_b32 v118, v118, s18, v120
	v_lshlrev_b16_e32 v120, 8, v118
	v_and_b32_e32 v119, 0x3f00, v118
	v_add_u16_e32 v120, 0xe000, v120
	v_or_b32_sdwa v119, v119, v120 dst_sel:DWORD dst_unused:UNUSED_PAD src0_sel:DWORD src1_sel:BYTE_1
	v_and_b32_sdwa v120, v118, s19 dst_sel:DWORD dst_unused:UNUSED_PAD src0_sel:WORD_1 src1_sel:DWORD
	v_lshlrev_b16_sdwa v118, v108, v118 dst_sel:DWORD dst_unused:UNUSED_PAD src0_sel:DWORD src1_sel:WORD_1
	v_add_u16_e32 v118, 0xe000, v118
	v_or_b32_sdwa v118, v120, v118 dst_sel:DWORD dst_unused:UNUSED_PAD src0_sel:DWORD src1_sel:BYTE_1
	v_add_u16_e32 v119, 0xe000, v119
	v_add_u16_sdwa v118, v118, s23 dst_sel:WORD_1 dst_unused:UNUSED_PAD src0_sel:DWORD src1_sel:DWORD
	v_and_or_b32 v121, v122, s18, v121
	v_or_b32_e32 v120, v119, v118
	v_lshlrev_b16_e32 v119, 8, v121
	v_and_b32_e32 v118, 0x3f00, v121
	v_add_u16_e32 v119, 0xe000, v119
	v_or_b32_sdwa v118, v118, v119 dst_sel:DWORD dst_unused:UNUSED_PAD src0_sel:DWORD src1_sel:BYTE_1
	v_add_u16_e32 v122, 0xe000, v118
	v_add_co_u32_e32 v118, vcc, s14, v82
	v_addc_co_u32_e32 v119, vcc, v83, v107, vcc
	global_load_dword v128, v[118:119], off
	v_add_co_u32_e32 v118, vcc, s14, v80
	v_addc_co_u32_e32 v119, vcc, v81, v107, vcc
	global_load_dword v129, v[118:119], off
	v_lshlrev_b16_sdwa v118, v108, v121 dst_sel:DWORD dst_unused:UNUSED_PAD src0_sel:DWORD src1_sel:WORD_1
	v_and_b32_sdwa v127, v121, s19 dst_sel:DWORD dst_unused:UNUSED_PAD src0_sel:WORD_1 src1_sel:DWORD
	v_add_u16_e32 v118, 0xe000, v118
	v_or_b32_sdwa v118, v127, v118 dst_sel:DWORD dst_unused:UNUSED_PAD src0_sel:DWORD src1_sel:BYTE_1
	v_add_u16_sdwa v118, v118, s23 dst_sel:WORD_1 dst_unused:UNUSED_PAD src0_sel:DWORD src1_sel:DWORD
	v_or_b32_e32 v118, v122, v118
	ds_write2_b32 v115, v120, v118 offset0:16 offset1:32
	s_waitcnt vmcnt(5)
	v_and_b32_e32 v118, 0xf0f0f0f, v123
	v_lshrrev_b32_e32 v119, 4, v123
	v_and_b32_e32 v119, 0xf0f0f0f, v119
	s_waitcnt vmcnt(4)
	v_ashrrev_i32_e32 v120, v7, v125
	v_lshlrev_b32_e32 v121, 4, v120
	v_and_or_b32 v118, v121, s18, v118
	v_lshlrev_b16_e32 v122, 8, v118
	v_and_b32_e32 v121, 0x3f00, v118
	v_add_u16_e32 v122, 0xe000, v122
	v_or_b32_sdwa v121, v121, v122 dst_sel:DWORD dst_unused:UNUSED_PAD src0_sel:DWORD src1_sel:BYTE_1
	v_and_b32_sdwa v122, v118, s19 dst_sel:DWORD dst_unused:UNUSED_PAD src0_sel:WORD_1 src1_sel:DWORD
	v_lshlrev_b16_sdwa v118, v108, v118 dst_sel:DWORD dst_unused:UNUSED_PAD src0_sel:DWORD src1_sel:WORD_1
	v_add_u16_e32 v118, 0xe000, v118
	v_or_b32_sdwa v118, v122, v118 dst_sel:DWORD dst_unused:UNUSED_PAD src0_sel:DWORD src1_sel:BYTE_1
	v_and_or_b32 v120, v120, s18, v119
	v_add_u16_e32 v121, 0xe000, v121
	v_add_u16_sdwa v118, v118, s23 dst_sel:WORD_1 dst_unused:UNUSED_PAD src0_sel:DWORD src1_sel:DWORD
	v_lshlrev_b16_e32 v119, 8, v120
	v_or_b32_e32 v121, v121, v118
	v_and_b32_e32 v118, 0x3f00, v120
	v_add_u16_e32 v119, 0xe000, v119
	v_or_b32_sdwa v118, v118, v119 dst_sel:DWORD dst_unused:UNUSED_PAD src0_sel:DWORD src1_sel:BYTE_1
	v_add_u16_e32 v122, 0xe000, v118
	v_add_co_u32_e32 v118, vcc, s14, v86
	v_addc_co_u32_e32 v119, vcc, v87, v107, vcc
	global_load_dword v125, v[118:119], off
	v_add_co_u32_e32 v118, vcc, s14, v84
	v_addc_co_u32_e32 v119, vcc, v85, v107, vcc
	global_load_dword v127, v[118:119], off
	v_lshlrev_b16_sdwa v118, v108, v120 dst_sel:DWORD dst_unused:UNUSED_PAD src0_sel:DWORD src1_sel:WORD_1
	v_and_b32_sdwa v123, v120, s19 dst_sel:DWORD dst_unused:UNUSED_PAD src0_sel:WORD_1 src1_sel:DWORD
	v_add_u16_e32 v118, 0xe000, v118
	v_or_b32_sdwa v118, v123, v118 dst_sel:DWORD dst_unused:UNUSED_PAD src0_sel:DWORD src1_sel:BYTE_1
	v_add_u16_sdwa v118, v118, s23 dst_sel:WORD_1 dst_unused:UNUSED_PAD src0_sel:DWORD src1_sel:DWORD
	v_or_b32_e32 v118, v122, v118
	ds_write2_b32 v116, v121, v118 offset0:24 offset1:40
	s_waitcnt vmcnt(5)
	v_and_b32_e32 v118, 0xf0f0f0f, v124
	v_lshrrev_b32_e32 v119, 4, v124
	s_waitcnt vmcnt(4)
	v_ashrrev_i32_e32 v120, v7, v126
	v_lshlrev_b32_e32 v121, 4, v120
	v_and_or_b32 v118, v121, s18, v118
	v_lshlrev_b16_e32 v122, 8, v118
	v_and_b32_e32 v121, 0x3f00, v118
	v_add_u16_e32 v122, 0xe000, v122
	v_or_b32_sdwa v121, v121, v122 dst_sel:DWORD dst_unused:UNUSED_PAD src0_sel:DWORD src1_sel:BYTE_1
	v_and_b32_sdwa v122, v118, s19 dst_sel:DWORD dst_unused:UNUSED_PAD src0_sel:WORD_1 src1_sel:DWORD
	v_lshlrev_b16_sdwa v118, v108, v118 dst_sel:DWORD dst_unused:UNUSED_PAD src0_sel:DWORD src1_sel:WORD_1
	v_add_u16_e32 v118, 0xe000, v118
	v_and_b32_e32 v119, 0xf0f0f0f, v119
	v_or_b32_sdwa v118, v122, v118 dst_sel:DWORD dst_unused:UNUSED_PAD src0_sel:DWORD src1_sel:BYTE_1
	v_add_u16_e32 v121, 0xe000, v121
	v_add_u16_sdwa v118, v118, s23 dst_sel:WORD_1 dst_unused:UNUSED_PAD src0_sel:DWORD src1_sel:DWORD
	v_and_or_b32 v119, v120, s18, v119
	v_or_b32_e32 v118, v121, v118
	v_lshlrev_b16_e32 v121, 8, v119
	v_and_b32_e32 v120, 0x3f00, v119
	v_add_u16_e32 v121, 0xe000, v121
	v_or_b32_sdwa v120, v120, v121 dst_sel:DWORD dst_unused:UNUSED_PAD src0_sel:DWORD src1_sel:BYTE_1
	v_and_b32_sdwa v121, v119, s19 dst_sel:DWORD dst_unused:UNUSED_PAD src0_sel:WORD_1 src1_sel:DWORD
	v_lshlrev_b16_sdwa v119, v108, v119 dst_sel:DWORD dst_unused:UNUSED_PAD src0_sel:DWORD src1_sel:WORD_1
	v_add_u16_e32 v119, 0xe000, v119
	v_or_b32_sdwa v119, v121, v119 dst_sel:DWORD dst_unused:UNUSED_PAD src0_sel:DWORD src1_sel:BYTE_1
	v_add_u16_e32 v120, 0xe000, v120
	v_add_u16_sdwa v119, v119, s23 dst_sel:WORD_1 dst_unused:UNUSED_PAD src0_sel:DWORD src1_sel:DWORD
	v_or_b32_e32 v119, v120, v119
	ds_write2_b32 v10, v118, v119 offset1:16
	s_waitcnt vmcnt(3)
	v_lshrrev_b32_e32 v118, 4, v128
	v_and_b32_e32 v121, 0xf0f0f0f, v118
	v_add_co_u32_e32 v118, vcc, s14, v90
	v_addc_co_u32_e32 v119, vcc, v91, v107, vcc
	global_load_dword v123, v[118:119], off
	v_add_co_u32_e32 v118, vcc, s14, v88
	v_addc_co_u32_e32 v119, vcc, v89, v107, vcc
	global_load_dword v124, v[118:119], off
	s_waitcnt vmcnt(4)
	v_ashrrev_i32_e32 v122, v7, v129
	v_and_b32_e32 v120, 0xf0f0f0f, v128
	v_lshlrev_b32_e32 v118, 4, v122
	v_and_or_b32 v118, v118, s18, v120
	v_lshlrev_b16_e32 v120, 8, v118
	v_and_b32_e32 v119, 0x3f00, v118
	v_add_u16_e32 v120, 0xe000, v120
	v_or_b32_sdwa v119, v119, v120 dst_sel:DWORD dst_unused:UNUSED_PAD src0_sel:DWORD src1_sel:BYTE_1
	v_and_b32_sdwa v120, v118, s19 dst_sel:DWORD dst_unused:UNUSED_PAD src0_sel:WORD_1 src1_sel:DWORD
	v_lshlrev_b16_sdwa v118, v108, v118 dst_sel:DWORD dst_unused:UNUSED_PAD src0_sel:DWORD src1_sel:WORD_1
	v_add_u16_e32 v118, 0xe000, v118
	v_or_b32_sdwa v118, v120, v118 dst_sel:DWORD dst_unused:UNUSED_PAD src0_sel:DWORD src1_sel:BYTE_1
	v_add_u16_e32 v119, 0xe000, v119
	v_add_u16_sdwa v118, v118, s23 dst_sel:WORD_1 dst_unused:UNUSED_PAD src0_sel:DWORD src1_sel:DWORD
	v_or_b32_e32 v118, v119, v118
	v_and_or_b32 v119, v122, s18, v121
	v_lshlrev_b16_e32 v121, 8, v119
	v_and_b32_e32 v120, 0x3f00, v119
	v_add_u16_e32 v121, 0xe000, v121
	v_or_b32_sdwa v120, v120, v121 dst_sel:DWORD dst_unused:UNUSED_PAD src0_sel:DWORD src1_sel:BYTE_1
	v_and_b32_sdwa v121, v119, s19 dst_sel:DWORD dst_unused:UNUSED_PAD src0_sel:WORD_1 src1_sel:DWORD
	v_lshlrev_b16_sdwa v119, v108, v119 dst_sel:DWORD dst_unused:UNUSED_PAD src0_sel:DWORD src1_sel:WORD_1
	v_add_u16_e32 v119, 0xe000, v119
	v_or_b32_sdwa v119, v121, v119 dst_sel:DWORD dst_unused:UNUSED_PAD src0_sel:DWORD src1_sel:BYTE_1
	v_add_u16_e32 v120, 0xe000, v120
	v_add_u16_sdwa v119, v119, s23 dst_sel:WORD_1 dst_unused:UNUSED_PAD src0_sel:DWORD src1_sel:DWORD
	v_or_b32_e32 v119, v120, v119
	ds_write2_b32 v11, v118, v119 offset1:16
	s_waitcnt vmcnt(3)
	v_lshrrev_b32_e32 v119, 4, v125
	v_and_b32_e32 v118, 0xf0f0f0f, v125
	s_waitcnt vmcnt(2)
	v_ashrrev_i32_e32 v121, v7, v127
	v_and_b32_e32 v120, 0xf0f0f0f, v119
	v_lshlrev_b32_e32 v119, 4, v121
	v_and_or_b32 v122, v119, s18, v118
	v_lshlrev_b16_e32 v118, 8, v122
	v_add_u16_e32 v126, 0xe000, v118
	v_add_co_u32_e32 v118, vcc, s14, v1
	v_addc_co_u32_e32 v119, vcc, v94, v107, vcc
	global_load_dword v127, v[118:119], off
	v_add_co_u32_e32 v118, vcc, s14, v92
	v_addc_co_u32_e32 v119, vcc, v93, v107, vcc
	global_load_dword v128, v[118:119], off
	v_and_b32_e32 v125, 0x3f00, v122
	v_and_b32_sdwa v119, v122, s19 dst_sel:DWORD dst_unused:UNUSED_PAD src0_sel:WORD_1 src1_sel:DWORD
	v_lshlrev_b16_sdwa v122, v108, v122 dst_sel:DWORD dst_unused:UNUSED_PAD src0_sel:DWORD src1_sel:WORD_1
	v_add_u16_e32 v122, 0xe000, v122
	v_or_b32_sdwa v118, v125, v126 dst_sel:DWORD dst_unused:UNUSED_PAD src0_sel:DWORD src1_sel:BYTE_1
	v_or_b32_sdwa v119, v119, v122 dst_sel:DWORD dst_unused:UNUSED_PAD src0_sel:DWORD src1_sel:BYTE_1
	v_add_u16_e32 v118, 0xe000, v118
	v_add_u16_sdwa v119, v119, s23 dst_sel:WORD_1 dst_unused:UNUSED_PAD src0_sel:DWORD src1_sel:DWORD
	v_or_b32_e32 v122, v118, v119
	v_and_or_b32 v118, v121, s18, v120
	v_lshlrev_b16_e32 v120, 8, v118
	v_and_b32_e32 v119, 0x3f00, v118
	v_add_u16_e32 v120, 0xe000, v120
	v_or_b32_sdwa v119, v119, v120 dst_sel:DWORD dst_unused:UNUSED_PAD src0_sel:DWORD src1_sel:BYTE_1
	v_and_b32_sdwa v120, v118, s19 dst_sel:DWORD dst_unused:UNUSED_PAD src0_sel:WORD_1 src1_sel:DWORD
	v_lshlrev_b16_sdwa v118, v108, v118 dst_sel:DWORD dst_unused:UNUSED_PAD src0_sel:DWORD src1_sel:WORD_1
	v_add_u16_e32 v118, 0xe000, v118
	v_or_b32_sdwa v118, v120, v118 dst_sel:DWORD dst_unused:UNUSED_PAD src0_sel:DWORD src1_sel:BYTE_1
	v_add_u16_e32 v119, 0xe000, v119
	v_add_u16_sdwa v118, v118, s23 dst_sel:WORD_1 dst_unused:UNUSED_PAD src0_sel:DWORD src1_sel:DWORD
	v_or_b32_e32 v120, v119, v118
	v_add_co_u32_e32 v118, vcc, s14, v97
	v_addc_co_u32_e32 v119, vcc, v98, v107, vcc
	global_load_dword v121, v[118:119], off
	v_add_co_u32_e32 v118, vcc, s14, v95
	v_addc_co_u32_e32 v119, vcc, v96, v107, vcc
	global_load_dword v125, v[118:119], off
	ds_write2_b32 v12, v122, v120 offset1:16
	s_waitcnt vmcnt(5)
	v_lshrrev_b32_e32 v119, 4, v123
	s_waitcnt vmcnt(4)
	v_ashrrev_i32_e32 v122, v7, v124
	v_and_b32_e32 v118, 0xf0f0f0f, v123
	v_and_b32_e32 v120, 0xf0f0f0f, v119
	v_lshlrev_b32_e32 v119, 4, v122
	v_and_or_b32 v118, v119, s18, v118
	v_lshlrev_b16_e32 v123, 8, v118
	v_and_b32_e32 v119, 0x3f00, v118
	v_add_u16_e32 v123, 0xe000, v123
	v_or_b32_sdwa v119, v119, v123 dst_sel:DWORD dst_unused:UNUSED_PAD src0_sel:DWORD src1_sel:BYTE_1
	v_add_u16_e32 v123, 0xe000, v119
	v_and_b32_sdwa v119, v118, s19 dst_sel:DWORD dst_unused:UNUSED_PAD src0_sel:WORD_1 src1_sel:DWORD
	v_lshlrev_b16_sdwa v118, v108, v118 dst_sel:DWORD dst_unused:UNUSED_PAD src0_sel:DWORD src1_sel:WORD_1
	v_add_u16_e32 v118, 0xe000, v118
	v_or_b32_sdwa v118, v119, v118 dst_sel:DWORD dst_unused:UNUSED_PAD src0_sel:DWORD src1_sel:BYTE_1
	v_add_u16_sdwa v124, v118, s23 dst_sel:WORD_1 dst_unused:UNUSED_PAD src0_sel:DWORD src1_sel:DWORD
	v_add_co_u32_e32 v118, vcc, s14, v100
	v_addc_co_u32_e32 v119, vcc, v101, v107, vcc
	global_load_ushort v126, v[118:119], off
	v_add_co_u32_e32 v118, vcc, s14, v102
	v_addc_co_u32_e32 v119, vcc, v103, v107, vcc
	global_load_dword v129, v[118:119], off
	v_add_co_u32_e32 v118, vcc, s14, v105
	v_addc_co_u32_e32 v119, vcc, v106, v107, vcc
	global_load_dword v118, v[118:119], off
	v_and_or_b32 v120, v122, s18, v120
	v_or_b32_e32 v119, v123, v124
	v_lshlrev_b16_e32 v123, 8, v120
	v_and_b32_e32 v122, 0x3f00, v120
	v_add_u16_e32 v123, 0xe000, v123
	v_or_b32_sdwa v122, v122, v123 dst_sel:DWORD dst_unused:UNUSED_PAD src0_sel:DWORD src1_sel:BYTE_1
	v_and_b32_sdwa v123, v120, s19 dst_sel:DWORD dst_unused:UNUSED_PAD src0_sel:WORD_1 src1_sel:DWORD
	v_lshlrev_b16_sdwa v120, v108, v120 dst_sel:DWORD dst_unused:UNUSED_PAD src0_sel:DWORD src1_sel:WORD_1
	v_add_u16_e32 v120, 0xe000, v120
	v_or_b32_sdwa v120, v123, v120 dst_sel:DWORD dst_unused:UNUSED_PAD src0_sel:DWORD src1_sel:BYTE_1
	v_add_u16_e32 v122, 0xe000, v122
	v_add_u16_sdwa v120, v120, s23 dst_sel:WORD_1 dst_unused:UNUSED_PAD src0_sel:DWORD src1_sel:DWORD
	v_or_b32_e32 v120, v122, v120
	ds_write2_b32 v13, v119, v120 offset1:16
	s_waitcnt vmcnt(6)
	v_and_b32_e32 v119, 0xf0f0f0f, v127
	v_lshrrev_b32_e32 v120, 4, v127
	s_waitcnt vmcnt(5)
	v_ashrrev_i32_e32 v122, v7, v128
	v_lshlrev_b32_e32 v123, 4, v122
	v_and_or_b32 v119, v123, s18, v119
	v_lshlrev_b16_e32 v124, 8, v119
	v_and_b32_e32 v123, 0x3f00, v119
	v_add_u16_e32 v124, 0xe000, v124
	v_or_b32_sdwa v123, v123, v124 dst_sel:DWORD dst_unused:UNUSED_PAD src0_sel:DWORD src1_sel:BYTE_1
	v_and_b32_sdwa v124, v119, s19 dst_sel:DWORD dst_unused:UNUSED_PAD src0_sel:WORD_1 src1_sel:DWORD
	v_lshlrev_b16_sdwa v119, v108, v119 dst_sel:DWORD dst_unused:UNUSED_PAD src0_sel:DWORD src1_sel:WORD_1
	v_add_u16_e32 v119, 0xe000, v119
	v_and_b32_e32 v120, 0xf0f0f0f, v120
	v_or_b32_sdwa v119, v124, v119 dst_sel:DWORD dst_unused:UNUSED_PAD src0_sel:DWORD src1_sel:BYTE_1
	v_add_u16_e32 v123, 0xe000, v123
	v_add_u16_sdwa v119, v119, s23 dst_sel:WORD_1 dst_unused:UNUSED_PAD src0_sel:DWORD src1_sel:DWORD
	v_and_or_b32 v120, v122, s18, v120
	v_or_b32_e32 v119, v123, v119
	v_lshlrev_b16_e32 v123, 8, v120
	v_and_b32_e32 v122, 0x3f00, v120
	v_add_u16_e32 v123, 0xe000, v123
	v_or_b32_sdwa v122, v122, v123 dst_sel:DWORD dst_unused:UNUSED_PAD src0_sel:DWORD src1_sel:BYTE_1
	v_and_b32_sdwa v123, v120, s19 dst_sel:DWORD dst_unused:UNUSED_PAD src0_sel:WORD_1 src1_sel:DWORD
	v_lshlrev_b16_sdwa v120, v108, v120 dst_sel:DWORD dst_unused:UNUSED_PAD src0_sel:DWORD src1_sel:WORD_1
	v_add_u16_e32 v120, 0xe000, v120
	v_or_b32_sdwa v120, v123, v120 dst_sel:DWORD dst_unused:UNUSED_PAD src0_sel:DWORD src1_sel:BYTE_1
	v_add_u16_e32 v122, 0xe000, v122
	v_add_u16_sdwa v120, v120, s23 dst_sel:WORD_1 dst_unused:UNUSED_PAD src0_sel:DWORD src1_sel:DWORD
	v_or_b32_e32 v120, v122, v120
	ds_write2_b32 v14, v119, v120 offset1:16
	s_waitcnt vmcnt(4)
	v_and_b32_e32 v119, 0xf0f0f0f, v121
	v_lshrrev_b32_e32 v120, 4, v121
	v_and_b32_e32 v120, 0xf0f0f0f, v120
	s_waitcnt vmcnt(3)
	v_ashrrev_i32_e32 v121, v7, v125
	v_lshlrev_b32_e32 v122, 4, v121
	v_and_or_b32 v119, v122, s18, v119
	v_lshlrev_b16_e32 v123, 8, v119
	v_and_b32_e32 v122, 0x3f00, v119
	v_add_u16_e32 v123, 0xe000, v123
	v_or_b32_sdwa v122, v122, v123 dst_sel:DWORD dst_unused:UNUSED_PAD src0_sel:DWORD src1_sel:BYTE_1
	v_and_b32_sdwa v123, v119, s19 dst_sel:DWORD dst_unused:UNUSED_PAD src0_sel:WORD_1 src1_sel:DWORD
	v_lshlrev_b16_sdwa v119, v108, v119 dst_sel:DWORD dst_unused:UNUSED_PAD src0_sel:DWORD src1_sel:WORD_1
	v_add_u16_e32 v119, 0xe000, v119
	v_or_b32_sdwa v119, v123, v119 dst_sel:DWORD dst_unused:UNUSED_PAD src0_sel:DWORD src1_sel:BYTE_1
	v_add_u16_e32 v122, 0xe000, v122
	v_add_u16_sdwa v119, v119, s23 dst_sel:WORD_1 dst_unused:UNUSED_PAD src0_sel:DWORD src1_sel:DWORD
	v_and_or_b32 v120, v121, s18, v120
	v_or_b32_e32 v119, v122, v119
	v_lshlrev_b16_e32 v122, 8, v120
	v_and_b32_e32 v121, 0x3f00, v120
	v_add_u16_e32 v122, 0xe000, v122
	v_or_b32_sdwa v121, v121, v122 dst_sel:DWORD dst_unused:UNUSED_PAD src0_sel:DWORD src1_sel:BYTE_1
	v_and_b32_sdwa v122, v120, s19 dst_sel:DWORD dst_unused:UNUSED_PAD src0_sel:WORD_1 src1_sel:DWORD
	v_lshlrev_b16_sdwa v120, v108, v120 dst_sel:DWORD dst_unused:UNUSED_PAD src0_sel:DWORD src1_sel:WORD_1
	v_add_u16_e32 v120, 0xe000, v120
	v_or_b32_sdwa v120, v122, v120 dst_sel:DWORD dst_unused:UNUSED_PAD src0_sel:DWORD src1_sel:BYTE_1
	s_waitcnt vmcnt(2)
	v_cvt_f32_f16_e32 v122, v126
	v_add_u16_e32 v121, 0xe000, v121
	v_add_u16_sdwa v120, v120, s23 dst_sel:WORD_1 dst_unused:UNUSED_PAD src0_sel:DWORD src1_sel:DWORD
	v_or_b32_e32 v120, v121, v120
	ds_write2_b32 v15, v119, v120 offset1:16
	ds_write_b32 v16, v122
	s_waitcnt vmcnt(1)
	ds_write_b32 v17, v129
	s_waitcnt vmcnt(0)
	ds_write_b32 v18, v118
	s_cbranch_scc0 .LBB235_5
; %bb.7:                                ;   in Loop: Header=BB235_6 Depth=1
	v_cmp_gt_i32_e32 vcc, s9, v23
	s_and_b64 s[24:25], s[2:3], vcc
	s_and_saveexec_b64 s[4:5], s[24:25]
	s_cbranch_execz .LBB235_9
; %bb.8:                                ;   in Loop: Header=BB235_6 Depth=1
	v_add_u32_e32 v118, v34, v23
	v_mad_i64_i32 v[118:119], s[24:25], v118, 36, v[2:3]
	global_load_dword v118, v[118:119], off offset:4
	s_waitcnt vmcnt(0)
	ds_write_b32 v21, v118
.LBB235_9:                              ;   in Loop: Header=BB235_6 Depth=1
	s_or_b64 exec, exec, s[4:5]
	v_cmp_gt_i32_e32 vcc, s9, v117
	s_and_b64 s[24:25], s[16:17], vcc
	s_and_saveexec_b64 s[4:5], s[24:25]
	s_cbranch_execz .LBB235_11
; %bb.10:                               ;   in Loop: Header=BB235_6 Depth=1
	v_add_u32_e32 v118, v34, v117
	v_mad_i64_i32 v[118:119], s[24:25], v118, 36, s[6:7]
	global_load_dword v118, v[118:119], off
	v_add_u32_e32 v119, v19, v22
	s_waitcnt vmcnt(0)
	v_cvt_f32_f16_e32 v118, v118
	ds_write_b32 v119, v118
.LBB235_11:                             ;   in Loop: Header=BB235_6 Depth=1
	s_or_b64 exec, exec, s[4:5]
	s_waitcnt lgkmcnt(0)
	s_barrier
	ds_read_b128 v[120:123], v20
	ds_read_b128 v[124:127], v20 offset:16
	ds_read_b128 v[128:131], v20 offset:32
	;; [unrolled: 1-line block ×3, first 2 shown]
	ds_read_b32 v119, v26
	ds_read2_b32 v[136:137], v25 offset0:12 offset1:13
	ds_read2_b32 v[138:139], v25 offset0:6 offset1:7
	;; [unrolled: 1-line block ×4, first 2 shown]
	ds_read2_b32 v[144:145], v25 offset1:1
	ds_read2_b32 v[146:147], v25 offset0:14 offset1:15
	ds_read2_b32 v[148:149], v25 offset0:10 offset1:11
	;; [unrolled: 1-line block ×3, first 2 shown]
	s_waitcnt lgkmcnt(7)
	v_dot4_i32_i8 v118, v136, v132, 0
	v_dot4_i32_i8 v118, v137, v133, v118
	s_waitcnt lgkmcnt(2)
	v_dot4_i32_i8 v118, v146, v134, v118
	v_dot4_i32_i8 v160, v147, v135, v118
	;; [unrolled: 3-line block ×3, first 2 shown]
	v_dot4_i32_i8 v118, v148, v130, v118
	v_dot4_i32_i8 v161, v149, v131, v118
	;; [unrolled: 1-line block ×10, first 2 shown]
	v_add_u32_e32 v118, 0x2098, v25
	ds_read2_b32 v[136:137], v118 offset1:1
	v_add_u32_e32 v118, 0x2090, v25
	v_add_u32_e32 v140, 0x2088, v25
	;; [unrolled: 1-line block ×4, first 2 shown]
	ds_read2_b32 v[138:139], v118 offset1:1
	ds_read2_b32 v[140:141], v140 offset1:1
	;; [unrolled: 1-line block ×4, first 2 shown]
	v_add_u32_e32 v118, 0x20b0, v25
	ds_read2_b32 v[146:147], v118 offset1:1
	v_add_u32_e32 v118, 0x20a8, v25
	v_add_u32_e32 v150, 0x20a0, v25
	;; [unrolled: 1-line block ×3, first 2 shown]
	ds_read2_b32 v[148:149], v118 offset1:1
	ds_read2_b32 v[150:151], v150 offset1:1
	ds_read2_b32 v[152:153], v152 offset1:1
	s_waitcnt lgkmcnt(3)
	v_dot4_i32_i8 v118, v146, v132, 0
	v_dot4_i32_i8 v118, v147, v133, v118
	;; [unrolled: 1-line block ×4, first 2 shown]
	s_waitcnt lgkmcnt(1)
	v_dot4_i32_i8 v118, v150, v128, 0
	v_dot4_i32_i8 v118, v151, v129, v118
	;; [unrolled: 1-line block ×12, first 2 shown]
	v_add_u32_e32 v136, 0x4110, v25
	v_add_u32_e32 v138, 0x4108, v25
	;; [unrolled: 1-line block ×5, first 2 shown]
	ds_read_b32 v118, v33 offset:384
	ds_read2_b32 v[136:137], v136 offset1:1
	ds_read2_b32 v[138:139], v138 offset1:1
	;; [unrolled: 1-line block ×5, first 2 shown]
	v_add_u32_e32 v146, 0x4128, v25
	v_add_u32_e32 v148, 0x4120, v25
	;; [unrolled: 1-line block ×3, first 2 shown]
	ds_read2_b32 v[146:147], v146 offset1:1
	ds_read2_b32 v[148:149], v148 offset1:1
	;; [unrolled: 1-line block ×3, first 2 shown]
	s_waitcnt lgkmcnt(3)
	v_dot4_i32_i8 v144, v144, v132, 0
	v_dot4_i32_i8 v136, v136, v124, 0
	;; [unrolled: 1-line block ×7, first 2 shown]
	s_waitcnt lgkmcnt(1)
	v_dot4_i32_i8 v142, v148, v128, 0
	v_dot4_i32_i8 v170, v153, v127, v136
	;; [unrolled: 1-line block ×9, first 2 shown]
	v_add_u32_e32 v136, 0x6190, v25
	v_add_u32_e32 v138, 0x6188, v25
	;; [unrolled: 1-line block ×5, first 2 shown]
	ds_read2_b32 v[136:137], v136 offset1:1
	ds_read2_b32 v[138:139], v138 offset1:1
	;; [unrolled: 1-line block ×5, first 2 shown]
	v_add_u32_e32 v146, 0x61a8, v25
	v_add_u32_e32 v148, 0x61a0, v25
	v_add_u32_e32 v152, 0x61d8, v25
	ds_read2_b32 v[146:147], v146 offset1:1
	ds_read2_b32 v[148:149], v148 offset1:1
	ds_read2_b32 v[152:153], v152 offset1:1
	s_waitcnt lgkmcnt(3)
	v_dot4_i32_i8 v132, v144, v132, 0
	v_dot4_i32_i8 v124, v136, v124, 0
	;; [unrolled: 1-line block ×3, first 2 shown]
	s_waitcnt lgkmcnt(1)
	v_dot4_i32_i8 v128, v148, v128, 0
	v_dot4_i32_i8 v132, v145, v133, v132
	;; [unrolled: 1-line block ×13, first 2 shown]
	ds_read_b128 v[120:123], v20 offset:80
	ds_read_b128 v[124:127], v20 offset:64
	;; [unrolled: 1-line block ×4, first 2 shown]
	ds_read2_b32 v[136:137], v25 offset0:30 offset1:31
	ds_read2_b32 v[138:139], v25 offset0:28 offset1:29
	;; [unrolled: 1-line block ×7, first 2 shown]
	s_waitcnt lgkmcnt(5)
	v_dot4_i32_i8 v138, v138, v128, 0
	v_dot4_i32_i8 v138, v139, v129, v138
	;; [unrolled: 1-line block ×4, first 2 shown]
	s_waitcnt lgkmcnt(3)
	v_dot4_i32_i8 v136, v142, v120, 0
	v_dot4_i32_i8 v136, v143, v121, v136
	;; [unrolled: 1-line block ×4, first 2 shown]
	s_waitcnt lgkmcnt(1)
	v_dot4_i32_i8 v136, v146, v124, 0
	v_dot4_i32_i8 v136, v147, v125, v136
	;; [unrolled: 1-line block ×3, first 2 shown]
	v_add_u32_e32 v140, 0x61d0, v25
	v_add_u32_e32 v142, 0x61c8, v25
	;; [unrolled: 1-line block ×5, first 2 shown]
	v_dot4_i32_i8 v178, v145, v127, v136
	ds_read_b128 v[136:139], v22 offset:36944
	ds_read2_b32 v[140:141], v140 offset1:1
	ds_read2_b32 v[142:143], v142 offset1:1
	;; [unrolled: 1-line block ×5, first 2 shown]
	v_add_u32_e32 v154, 0x61e8, v25
	v_add_u32_e32 v156, 0x61e0, v25
	;; [unrolled: 1-line block ×3, first 2 shown]
	ds_read2_b32 v[154:155], v154 offset1:1
	ds_read2_b32 v[156:157], v156 offset1:1
	;; [unrolled: 1-line block ×3, first 2 shown]
	s_waitcnt lgkmcnt(3)
	v_dot4_i32_i8 v150, v150, v128, 0
	v_dot4_i32_i8 v150, v151, v129, v150
	;; [unrolled: 1-line block ×4, first 2 shown]
	s_waitcnt lgkmcnt(1)
	v_dot4_i32_i8 v146, v156, v132, 0
	v_dot4_i32_i8 v151, v157, v133, v146
	ds_read_b32 v179, v31 offset:256
	ds_read2_b32 v[146:147], v32 offset1:1
	v_dot4_i32_i8 v140, v140, v120, 0
	v_dot4_i32_i8 v140, v141, v121, v140
	v_dot4_i32_i8 v140, v152, v122, v140
	v_dot4_i32_i8 v140, v153, v123, v140
	s_waitcnt lgkmcnt(0)
	v_bfe_i32 v141, v146, 8, 8
	v_bfe_i32 v152, v147, 8, 8
	v_mul_lo_u32 v140, v140, v152
	v_mul_lo_u32 v141, v174, v141
	v_dot4_i32_i8 v144, v144, v124, 0
	v_dot4_i32_i8 v144, v145, v125, v144
	;; [unrolled: 1-line block ×4, first 2 shown]
	v_bfe_i32 v143, v147, 0, 8
	v_mad_u64_u32 v[142:143], s[4:5], v142, v143, v[140:141]
	v_bfe_i32 v144, v146, 0, 8
	v_add_u32_e32 v156, 0x20e0, v25
	v_mad_u64_u32 v[140:141], s[4:5], v175, v144, v[141:142]
	v_dot4_i32_i8 v141, v154, v134, v151
	v_dot4_i32_i8 v143, v155, v135, v141
	v_cvt_f32_i32_e32 v151, v140
	v_ashrrev_i32_e32 v140, 24, v147
	v_ashrrev_i32_e32 v141, 24, v146
	v_mul_lo_u32 v140, v150, v140
	v_mul_lo_u32 v141, v172, v141
	v_cvt_f32_i32_e32 v145, v142
	v_bfe_i32 v142, v147, 16, 8
	v_bfe_i32 v144, v146, 16, 8
	v_mad_u64_u32 v[142:143], s[4:5], v143, v142, v[140:141]
	v_fma_f32 v146, v136, v151, 0
	v_fma_f32 v172, v138, v145, 0
	v_mad_u64_u32 v[140:141], s[4:5], v173, v144, v[141:142]
	ds_read2_b32 v[143:144], v24 offset1:1
	v_cvt_f32_i32_e32 v142, v142
	v_cvt_f32_i32_e32 v147, v140
	ds_read2_b32 v[140:141], v25 offset0:24 offset1:25
	v_add_u32_e32 v150, 0x20f8, v25
	v_fmac_f32_e32 v172, v139, v142
	v_fmac_f32_e32 v146, v137, v147
	s_waitcnt lgkmcnt(1)
	v_bfe_i32 v142, v143, 0, 8
	s_waitcnt lgkmcnt(0)
	v_dot4_i32_i8 v140, v140, v132, 0
	v_dot4_i32_i8 v140, v141, v133, v140
	v_bfe_i32 v141, v143, 8, 8
	v_mul_lo_u32 v141, v162, v141
	v_dot4_i32_i8 v140, v148, v134, v140
	v_dot4_i32_i8 v147, v149, v135, v140
	v_bfe_i32 v140, v144, 8, 8
	v_mul_lo_u32 v140, v177, v140
	v_mad_u64_u32 v[141:142], s[4:5], v163, v142, v[141:142]
	v_bfe_i32 v145, v144, 0, 8
	v_fmac_f32_e32 v4, v118, v146
	v_mad_u64_u32 v[145:146], s[4:5], v178, v145, v[140:141]
	v_ashrrev_i32_e32 v140, 24, v144
	v_mul_lo_u32 v140, v176, v140
	v_bfe_i32 v148, v144, 16, 8
	v_ashrrev_i32_e32 v142, 24, v143
	v_bfe_i32 v146, v143, 16, 8
	v_mul_lo_u32 v142, v160, v142
	v_mad_u64_u32 v[143:144], s[4:5], v147, v148, v[140:141]
	v_cvt_f32_i32_e32 v140, v141
	v_cvt_f32_i32_e32 v141, v145
	v_mad_u64_u32 v[146:147], s[4:5], v161, v146, v[142:143]
	v_cvt_f32_i32_e32 v142, v143
	v_fma_f32 v144, v136, v140, 0
	v_cvt_f32_i32_e32 v143, v146
	v_fma_f32 v145, v138, v141, 0
	v_fmac_f32_e32 v145, v139, v142
	v_add_u32_e32 v146, 0x20c8, v25
	v_fmac_f32_e32 v144, v137, v143
	v_fmac_f32_e32 v6, v119, v144
	;; [unrolled: 1-line block ×3, first 2 shown]
	v_add_u32_e32 v119, 0x20d0, v25
	v_add_u32_e32 v148, 0x20c0, v25
	ds_read_b32 v162, v29 offset:128
	ds_read2_b32 v[140:141], v30 offset1:1
	ds_read2_b32 v[142:143], v28 offset1:1
	;; [unrolled: 1-line block ×6, first 2 shown]
	v_add_u32_e32 v119, 0x20f0, v25
	ds_read2_b32 v[152:153], v119 offset1:1
	v_add_u32_e32 v119, 0x20e8, v25
	v_add_u32_e32 v160, 0x4158, v25
	ds_read2_b32 v[154:155], v119 offset1:1
	ds_read2_b32 v[156:157], v156 offset1:1
	;; [unrolled: 1-line block ×3, first 2 shown]
	v_fmac_f32_e32 v4, v118, v172
	s_waitcnt lgkmcnt(3)
	v_dot4_i32_i8 v119, v152, v128, 0
	v_dot4_i32_i8 v119, v153, v129, v119
	;; [unrolled: 1-line block ×4, first 2 shown]
	s_waitcnt lgkmcnt(1)
	v_dot4_i32_i8 v119, v156, v132, 0
	v_dot4_i32_i8 v119, v157, v133, v119
	;; [unrolled: 1-line block ×11, first 2 shown]
	v_bfe_i32 v144, v142, 8, 8
	v_dot4_i32_i8 v119, v159, v123, v119
	v_bfe_i32 v145, v143, 8, 8
	v_mul_lo_u32 v144, v166, v144
	v_mul_lo_u32 v119, v119, v145
	v_bfe_i32 v145, v142, 0, 8
	v_bfe_i32 v147, v143, 0, 8
	v_mad_u64_u32 v[144:145], s[4:5], v167, v145, v[144:145]
	v_bfe_i32 v148, v142, 16, 8
	v_ashrrev_i32_e32 v142, 24, v142
	v_mad_u64_u32 v[145:146], s[4:5], v146, v147, v[119:120]
	v_ashrrev_i32_e32 v119, 24, v143
	v_mul_lo_u32 v142, v164, v142
	v_mul_lo_u32 v119, v150, v119
	v_bfe_i32 v146, v143, 16, 8
	v_add_u32_e32 v154, 0x4160, v25
	v_mad_u64_u32 v[142:143], s[4:5], v165, v148, v[142:143]
	v_mad_u64_u32 v[146:147], s[4:5], v151, v146, v[119:120]
	v_cvt_f32_i32_e32 v119, v144
	v_cvt_f32_i32_e32 v143, v145
	;; [unrolled: 1-line block ×4, first 2 shown]
	v_fma_f32 v119, v136, v119, 0
	v_fma_f32 v143, v138, v143, 0
	v_fmac_f32_e32 v119, v137, v142
	v_fmac_f32_e32 v143, v139, v144
	;; [unrolled: 1-line block ×3, first 2 shown]
	v_add_u32_e32 v119, 0x4150, v25
	v_add_u32_e32 v144, 0x4148, v25
	;; [unrolled: 1-line block ×4, first 2 shown]
	v_fmac_f32_e32 v104, v162, v143
	ds_read2_b32 v[142:143], v119 offset1:1
	ds_read2_b32 v[144:145], v144 offset1:1
	;; [unrolled: 1-line block ×4, first 2 shown]
	v_add_u32_e32 v119, 0x4170, v25
	ds_read2_b32 v[150:151], v119 offset1:1
	v_add_u32_e32 v119, 0x4168, v25
	ds_read2_b32 v[152:153], v119 offset1:1
	ds_read2_b32 v[154:155], v154 offset1:1
	s_cmp_ge_i32 s22, s15
	s_waitcnt lgkmcnt(0)
	v_dot4_i32_i8 v119, v150, v128, 0
	v_dot4_i32_i8 v119, v151, v129, v119
	;; [unrolled: 1-line block ×15, first 2 shown]
	v_bfe_i32 v120, v140, 8, 8
	v_mul_lo_u32 v120, v170, v120
	v_dot4_i32_i8 v119, v161, v123, v119
	v_bfe_i32 v121, v141, 8, 8
	v_mul_lo_u32 v119, v119, v121
	v_bfe_i32 v121, v140, 0, 8
	v_mad_u64_u32 v[120:121], s[4:5], v171, v121, v[120:121]
	v_bfe_i32 v123, v141, 0, 8
	v_bfe_i32 v125, v140, 16, 8
	v_mad_u64_u32 v[121:122], s[4:5], v122, v123, v[119:120]
	v_ashrrev_i32_e32 v119, 24, v141
	v_mul_lo_u32 v119, v128, v119
	v_bfe_i32 v123, v141, 16, 8
	v_ashrrev_i32_e32 v122, 24, v140
	v_mul_lo_u32 v122, v168, v122
	v_mad_u64_u32 v[123:124], s[4:5], v129, v123, v[119:120]
	v_cvt_f32_i32_e32 v119, v120
	v_cvt_f32_i32_e32 v120, v121
	v_mad_u64_u32 v[124:125], s[4:5], v169, v125, v[122:123]
	v_cvt_f32_i32_e32 v121, v123
	v_fma_f32 v119, v136, v119, 0
	v_cvt_f32_i32_e32 v122, v124
	v_fma_f32 v120, v138, v120, 0
	v_fmac_f32_e32 v120, v139, v121
	s_barrier
	v_fmac_f32_e32 v119, v137, v122
	v_fmac_f32_e32 v99, v179, v119
	;; [unrolled: 1-line block ×3, first 2 shown]
	s_cbranch_scc1 .LBB235_5
; %bb.12:                               ;   in Loop: Header=BB235_6 Depth=1
	v_cmp_gt_i32_e32 vcc, s9, v27
	s_and_b64 s[24:25], s[2:3], vcc
	s_and_saveexec_b64 s[4:5], s[24:25]
	s_cbranch_execz .LBB235_14
; %bb.13:                               ;   in Loop: Header=BB235_6 Depth=1
	v_add_u32_e32 v118, v34, v27
	v_mad_i64_i32 v[118:119], s[24:25], v118, 36, v[2:3]
	global_load_dword v118, v[118:119], off offset:4
	s_waitcnt vmcnt(0)
	ds_write_b32 v21, v118
.LBB235_14:                             ;   in Loop: Header=BB235_6 Depth=1
	s_or_b64 exec, exec, s[4:5]
	s_and_saveexec_b64 s[4:5], s[0:1]
	s_cbranch_execz .LBB235_4
; %bb.15:                               ;   in Loop: Header=BB235_6 Depth=1
	v_add_u32_e32 v118, 4, v117
	v_cmp_gt_i32_e32 vcc, s9, v118
	s_and_b64 s[24:25], s[2:3], vcc
	s_and_b64 exec, exec, s[24:25]
	s_cbranch_execz .LBB235_4
; %bb.16:                               ;   in Loop: Header=BB235_6 Depth=1
	v_ashrrev_i32_e32 v118, 31, v117
	v_add_co_u32_e32 v119, vcc, v34, v117
	v_addc_co_u32_e32 v120, vcc, v35, v118, vcc
	v_mad_u64_u32 v[118:119], s[24:25], v119, 36, s[6:7]
	v_mad_i32_i24 v119, v120, 36, v119
	global_load_dword v118, v[118:119], off offset:144
	v_add_u32_e32 v119, v19, v22
	s_waitcnt vmcnt(0)
	v_cvt_f32_f16_e32 v118, v118
	ds_write_b32 v119, v118
	s_branch .LBB235_4
.LBB235_17:
	s_mul_i32 s0, s11, s8
	s_waitcnt vmcnt(0)
	v_cmp_gt_i32_e32 vcc, s0, v5
	s_and_saveexec_b64 s[0:1], vcc
	s_cbranch_execz .LBB235_26
; %bb.18:
	v_mul_lo_u32 v1, v5, s10
	v_add_u32_e32 v0, s20, v0
	v_cmp_gt_u32_e32 vcc, s10, v0
	s_and_saveexec_b64 s[0:1], vcc
	s_cbranch_execz .LBB235_20
; %bb.19:
	v_bfe_u32 v2, v6, 16, 1
	s_movk_i32 s2, 0x7fff
	v_add3_u32 v2, v6, v2, s2
	v_cmp_o_f32_e32 vcc, v6, v6
	v_mov_b32_e32 v3, 0x7fc0
	v_cndmask_b32_sdwa v5, v3, v2, vcc dst_sel:DWORD dst_unused:UNUSED_PAD src0_sel:DWORD src1_sel:WORD_1
	v_add_u32_e32 v2, v1, v0
	v_mov_b32_e32 v3, 0
	v_lshlrev_b64 v[2:3], 1, v[2:3]
	v_mov_b32_e32 v6, s13
	v_add_co_u32_e32 v2, vcc, s12, v2
	v_addc_co_u32_e32 v3, vcc, v6, v3, vcc
	global_store_short v[2:3], v5, off
.LBB235_20:
	s_or_b64 exec, exec, s[0:1]
	v_add_u32_e32 v2, 32, v0
	v_cmp_gt_u32_e32 vcc, s10, v2
	s_and_saveexec_b64 s[0:1], vcc
	s_cbranch_execz .LBB235_22
; %bb.21:
	v_bfe_u32 v3, v104, 16, 1
	s_movk_i32 s2, 0x7fff
	v_add3_u32 v3, v104, v3, s2
	v_cmp_o_f32_e32 vcc, v104, v104
	v_mov_b32_e32 v5, 0x7fc0
	v_cndmask_b32_sdwa v5, v5, v3, vcc dst_sel:DWORD dst_unused:UNUSED_PAD src0_sel:DWORD src1_sel:WORD_1
	v_add_u32_e32 v2, v1, v2
	v_mov_b32_e32 v3, 0
	v_lshlrev_b64 v[2:3], 1, v[2:3]
	v_mov_b32_e32 v6, s13
	v_add_co_u32_e32 v2, vcc, s12, v2
	v_addc_co_u32_e32 v3, vcc, v6, v3, vcc
	global_store_short v[2:3], v5, off
.LBB235_22:
	s_or_b64 exec, exec, s[0:1]
	;; [unrolled: 20-line block ×3, first 2 shown]
	v_add_u32_e32 v0, 0x60, v0
	v_cmp_gt_u32_e32 vcc, s10, v0
	s_and_b64 exec, exec, vcc
	s_cbranch_execz .LBB235_26
; %bb.25:
	v_add_u32_e32 v0, v1, v0
	v_mov_b32_e32 v1, 0
	v_bfe_u32 v2, v4, 16, 1
	s_movk_i32 s0, 0x7fff
	v_lshlrev_b64 v[0:1], 1, v[0:1]
	v_add3_u32 v2, v4, v2, s0
	v_cmp_o_f32_e32 vcc, v4, v4
	v_mov_b32_e32 v3, 0x7fc0
	v_cndmask_b32_sdwa v2, v3, v2, vcc dst_sel:DWORD dst_unused:UNUSED_PAD src0_sel:DWORD src1_sel:WORD_1
	v_mov_b32_e32 v3, s13
	v_add_co_u32_e32 v0, vcc, s12, v0
	v_addc_co_u32_e32 v1, vcc, v3, v1, vcc
	global_store_short v[0:1], v2, off
.LBB235_26:
	s_endpgm
	.section	.rodata,"a",@progbits
	.p2align	6, 0x0
	.amdhsa_kernel _ZL8moe_q6_KIN3c108BFloat16ELb0EEvPKvS3_PT_PKiS7_S7_iiiiiii
		.amdhsa_group_segment_fixed_size 37072
		.amdhsa_private_segment_fixed_size 0
		.amdhsa_kernarg_size 76
		.amdhsa_user_sgpr_count 6
		.amdhsa_user_sgpr_private_segment_buffer 1
		.amdhsa_user_sgpr_dispatch_ptr 0
		.amdhsa_user_sgpr_queue_ptr 0
		.amdhsa_user_sgpr_kernarg_segment_ptr 1
		.amdhsa_user_sgpr_dispatch_id 0
		.amdhsa_user_sgpr_flat_scratch_init 0
		.amdhsa_user_sgpr_private_segment_size 0
		.amdhsa_uses_dynamic_stack 0
		.amdhsa_system_sgpr_private_segment_wavefront_offset 0
		.amdhsa_system_sgpr_workgroup_id_x 1
		.amdhsa_system_sgpr_workgroup_id_y 1
		.amdhsa_system_sgpr_workgroup_id_z 0
		.amdhsa_system_sgpr_workgroup_info 0
		.amdhsa_system_vgpr_workitem_id 1
		.amdhsa_next_free_vgpr 180
		.amdhsa_next_free_sgpr 98
		.amdhsa_reserve_vcc 1
		.amdhsa_reserve_flat_scratch 0
		.amdhsa_float_round_mode_32 0
		.amdhsa_float_round_mode_16_64 0
		.amdhsa_float_denorm_mode_32 3
		.amdhsa_float_denorm_mode_16_64 3
		.amdhsa_dx10_clamp 1
		.amdhsa_ieee_mode 1
		.amdhsa_fp16_overflow 0
		.amdhsa_exception_fp_ieee_invalid_op 0
		.amdhsa_exception_fp_denorm_src 0
		.amdhsa_exception_fp_ieee_div_zero 0
		.amdhsa_exception_fp_ieee_overflow 0
		.amdhsa_exception_fp_ieee_underflow 0
		.amdhsa_exception_fp_ieee_inexact 0
		.amdhsa_exception_int_div_zero 0
	.end_amdhsa_kernel
	.section	.text._ZL8moe_q6_KIN3c108BFloat16ELb0EEvPKvS3_PT_PKiS7_S7_iiiiiii,"axG",@progbits,_ZL8moe_q6_KIN3c108BFloat16ELb0EEvPKvS3_PT_PKiS7_S7_iiiiiii,comdat
.Lfunc_end235:
	.size	_ZL8moe_q6_KIN3c108BFloat16ELb0EEvPKvS3_PT_PKiS7_S7_iiiiiii, .Lfunc_end235-_ZL8moe_q6_KIN3c108BFloat16ELb0EEvPKvS3_PT_PKiS7_S7_iiiiiii
                                        ; -- End function
	.set _ZL8moe_q6_KIN3c108BFloat16ELb0EEvPKvS3_PT_PKiS7_S7_iiiiiii.num_vgpr, 180
	.set _ZL8moe_q6_KIN3c108BFloat16ELb0EEvPKvS3_PT_PKiS7_S7_iiiiiii.num_agpr, 0
	.set _ZL8moe_q6_KIN3c108BFloat16ELb0EEvPKvS3_PT_PKiS7_S7_iiiiiii.numbered_sgpr, 28
	.set _ZL8moe_q6_KIN3c108BFloat16ELb0EEvPKvS3_PT_PKiS7_S7_iiiiiii.num_named_barrier, 0
	.set _ZL8moe_q6_KIN3c108BFloat16ELb0EEvPKvS3_PT_PKiS7_S7_iiiiiii.private_seg_size, 0
	.set _ZL8moe_q6_KIN3c108BFloat16ELb0EEvPKvS3_PT_PKiS7_S7_iiiiiii.uses_vcc, 1
	.set _ZL8moe_q6_KIN3c108BFloat16ELb0EEvPKvS3_PT_PKiS7_S7_iiiiiii.uses_flat_scratch, 0
	.set _ZL8moe_q6_KIN3c108BFloat16ELb0EEvPKvS3_PT_PKiS7_S7_iiiiiii.has_dyn_sized_stack, 0
	.set _ZL8moe_q6_KIN3c108BFloat16ELb0EEvPKvS3_PT_PKiS7_S7_iiiiiii.has_recursion, 0
	.set _ZL8moe_q6_KIN3c108BFloat16ELb0EEvPKvS3_PT_PKiS7_S7_iiiiiii.has_indirect_call, 0
	.section	.AMDGPU.csdata,"",@progbits
; Kernel info:
; codeLenInByte = 13048
; TotalNumSgprs: 32
; NumVgprs: 180
; ScratchSize: 0
; MemoryBound: 0
; FloatMode: 240
; IeeeMode: 1
; LDSByteSize: 37072 bytes/workgroup (compile time only)
; SGPRBlocks: 12
; VGPRBlocks: 44
; NumSGPRsForWavesPerEU: 102
; NumVGPRsForWavesPerEU: 180
; Occupancy: 1
; WaveLimiterHint : 1
; COMPUTE_PGM_RSRC2:SCRATCH_EN: 0
; COMPUTE_PGM_RSRC2:USER_SGPR: 6
; COMPUTE_PGM_RSRC2:TRAP_HANDLER: 0
; COMPUTE_PGM_RSRC2:TGID_X_EN: 1
; COMPUTE_PGM_RSRC2:TGID_Y_EN: 1
; COMPUTE_PGM_RSRC2:TGID_Z_EN: 0
; COMPUTE_PGM_RSRC2:TIDIG_COMP_CNT: 1
	.section	.text._ZL8moe_q6_KIN3c108BFloat16ELb1EEvPKvS3_PT_PKiS7_S7_iiiiiii,"axG",@progbits,_ZL8moe_q6_KIN3c108BFloat16ELb1EEvPKvS3_PT_PKiS7_S7_iiiiiii,comdat
	.globl	_ZL8moe_q6_KIN3c108BFloat16ELb1EEvPKvS3_PT_PKiS7_S7_iiiiiii ; -- Begin function _ZL8moe_q6_KIN3c108BFloat16ELb1EEvPKvS3_PT_PKiS7_S7_iiiiiii
	.p2align	8
	.type	_ZL8moe_q6_KIN3c108BFloat16ELb1EEvPKvS3_PT_PKiS7_S7_iiiiiii,@function
_ZL8moe_q6_KIN3c108BFloat16ELb1EEvPKvS3_PT_PKiS7_S7_iiiiiii: ; @_ZL8moe_q6_KIN3c108BFloat16ELb1EEvPKvS3_PT_PKiS7_S7_iiiiiii
; %bb.0:
	s_load_dwordx4 s[0:3], s[4:5], 0x18
	s_mov_b32 s8, s7
	s_mov_b32 s9, 0
	s_lshl_b64 s[10:11], s[8:9], 2
	s_waitcnt lgkmcnt(0)
	s_add_u32 s2, s2, s10
	s_addc_u32 s3, s3, s11
	s_load_dword s2, s[2:3], 0x0
	s_waitcnt lgkmcnt(0)
	s_cmpk_gt_u32 s2, 0xff
	s_cbranch_scc1 .LBB236_26
; %bb.1:
	s_load_dwordx2 s[10:11], s[4:5], 0x28
	s_lshl_b32 s3, s8, 3
	s_waitcnt lgkmcnt(0)
	s_load_dword s7, s[10:11], 0x0
	s_waitcnt lgkmcnt(0)
	s_cmp_gt_u32 s3, s7
	s_cbranch_scc1 .LBB236_26
; %bb.2:
	v_add_u32_e32 v19, s3, v1
	v_mov_b32_e32 v20, 0
	v_lshlrev_b64 v[2:3], 2, v[19:20]
	v_mov_b32_e32 v4, s1
	v_add_co_u32_e32 v2, vcc, s0, v2
	v_addc_co_u32_e32 v3, vcc, v4, v3, vcc
	global_load_dword v21, v[2:3], off
	s_load_dwordx8 s[8:15], s[4:5], 0x30
	s_load_dwordx2 s[16:17], s[4:5], 0x10
	s_waitcnt lgkmcnt(0)
	s_lshl_b32 s15, s6, 7
	v_mov_b32_e32 v104, v20
	v_mov_b32_e32 v108, v20
	s_cmpk_lt_i32 s9, 0x100
	v_mov_b32_e32 v22, v20
	s_cbranch_scc1 .LBB236_17
; %bb.3:
	s_ashr_i32 s0, s9, 31
	s_lshr_b32 s0, s0, 24
	s_add_i32 s0, s9, s0
	s_ashr_i32 s22, s0, 8
	s_ashr_i32 s0, s12, 31
	s_lshr_b32 s0, s0, 27
	v_and_b32_e32 v2, 31, v0
	s_add_i32 s0, s12, s0
	v_add_u16_e32 v4, -16, v2
	v_cmp_gt_u32_e32 vcc, 16, v2
	s_ashr_i32 s12, s0, 5
	s_not_b32 s0, s15
	v_lshlrev_b32_e32 v3, 1, v2
	v_lshlrev_b32_e32 v20, 2, v2
	v_cndmask_b32_e32 v2, v4, v2, vcc
	s_mul_i32 s8, s2, s8
	s_add_i32 s2, s10, s0
	v_cmp_lt_u16_e64 s[0:1], 7, v2
	v_add_u32_e32 v2, 0xe0, v3
	v_cndmask_b32_e32 v2, v2, v3, vcc
	v_and_b32_e32 v2, 0xfe, v2
	v_sub_u32_e32 v2, v3, v2
	v_and_b32_e32 v3, 15, v0
	v_min_i32_e32 v4, s2, v1
	v_add_lshl_u32 v18, v2, v3, 2
	s_movk_i32 s3, 0x104
	v_cndmask_b32_e64 v23, 0, 2, s[0:1]
	v_mad_u64_u32 v[2:3], s[0:1], v4, s3, v[18:19]
	v_add_u32_e32 v3, 8, v1
	v_min_i32_e32 v3, s2, v3
	v_mul_lo_u32 v43, v4, s22
	v_mul_lo_u32 v46, v3, s22
	v_mad_u64_u32 v[3:4], s[0:1], v3, s3, v[18:19]
	v_add_u32_e32 v4, 16, v1
	v_min_i32_e32 v4, s2, v4
	v_mul_lo_u32 v49, v4, s22
	v_mad_u64_u32 v[4:5], s[0:1], v4, s3, v[18:19]
	v_add_u32_e32 v5, 24, v1
	v_min_i32_e32 v5, s2, v5
	;; [unrolled: 4-line block ×14, first 2 shown]
	v_mul_lo_u32 v103, v17, s22
	v_mad_u64_u32 v[17:18], s[0:1], v17, s3, v[18:19]
	v_lshl_add_u32 v18, v1, 5, v0
	v_and_b32_e32 v18, 0x7f, v18
	v_min_i32_e32 v18, s2, v18
	v_ashrrev_i32_e32 v19, 31, v18
	v_lshrrev_b32_e32 v19, 27, v19
	v_add_u32_e32 v19, v18, v19
	v_ashrrev_i32_e32 v19, 5, v19
	v_mul_lo_u32 v108, v18, s22
	v_lshlrev_b32_e32 v19, 2, v19
	v_lshlrev_b32_e32 v18, 2, v18
	s_mov_b32 s3, 0x8e40
	v_add3_u32 v24, v19, v18, s3
	v_lshrrev_b32_e32 v18, 2, v0
	v_lshl_add_u32 v18, v1, 3, v18
	v_and_b32_e32 v19, 3, v0
	v_and_b32_e32 v18, 0x7f, v18
	v_lshlrev_b32_e32 v113, 2, v19
	v_min_i32_e32 v19, s2, v18
	v_xor_b32_e32 v18, 64, v18
	v_min_i32_e32 v18, s2, v18
	s_abs_i32 s2, s14
	v_cvt_f32_u32_e32 v35, s2
	v_add_u32_e32 v36, 64, v0
	v_lshrrev_b32_e32 v37, 3, v36
	s_mov_b32 s10, 0x8200
	v_rcp_iflag_f32_e32 v35, v35
	v_lshlrev_b32_e32 v38, 2, v37
	v_lshlrev_b32_e32 v36, 4, v36
	s_sub_i32 s19, 0, s2
	v_mul_f32_e32 v35, 0x4f7ffffe, v35
	v_cvt_u32_f32_e32 v39, v35
	v_add3_u32 v35, v36, v38, s10
	v_and_b32_e32 v36, 60, v37
	s_waitcnt vmcnt(0)
	v_sub_u32_e32 v44, 0, v21
	v_mul_lo_u32 v37, s19, v39
	v_max_i32_e32 v44, v21, v44
	v_add_u32_e32 v38, 0x60, v0
	v_lshrrev_b32_e32 v40, 3, v38
	v_mul_hi_u32 v37, v39, v37
	v_lshlrev_b32_e32 v41, 2, v40
	v_ashrrev_i32_e32 v25, 31, v19
	v_lshrrev_b32_e32 v25, 29, v25
	v_add_u32_e32 v37, v39, v37
	v_mul_hi_u32 v39, v44, v37
	v_lshlrev_b32_e32 v37, 4, v38
	v_and_b32_e32 v38, 60, v40
	v_mul_lo_u32 v109, v19, s22
	v_mul_lo_u32 v40, v39, s2
	v_add_u32_e32 v25, v19, v25
	v_lshlrev_b32_e32 v115, 4, v19
	v_ashrrev_i32_e32 v19, 31, v18
	v_lshrrev_b32_e32 v19, 29, v19
	v_add_u32_e32 v33, 32, v0
	v_sub_u32_e32 v40, v44, v40
	v_add_u32_e32 v19, v18, v19
	v_lshrrev_b32_e32 v32, 3, v33
	v_add3_u32 v37, v37, v41, s10
	v_add_u32_e32 v41, 1, v39
	v_cmp_le_u32_e32 vcc, s2, v40
	s_load_dwordx4 s[4:7], s[4:5], 0x0
	v_lshrrev_b32_e32 v42, 5, v0
	v_ashrrev_i32_e32 v25, 3, v25
	v_ashrrev_i32_e32 v19, 3, v19
	v_lshlrev_b32_e32 v34, 2, v32
	v_lshlrev_b32_e32 v33, 4, v33
	v_cndmask_b32_e32 v39, v39, v41, vcc
	v_subrev_u32_e32 v41, s2, v40
	v_lshlrev_b32_e32 v25, 2, v25
	v_mul_lo_u32 v110, v18, s22
	v_lshlrev_b32_e32 v19, 2, v19
	v_lshlrev_b32_e32 v117, 4, v18
	;; [unrolled: 1-line block ×4, first 2 shown]
	v_add3_u32 v33, v33, v34, s10
	v_and_b32_e32 v34, 60, v32
	v_cndmask_b32_e32 v40, v40, v41, vcc
	v_add3_u32 v114, v25, v113, s10
	v_add3_u32 v116, v19, v113, s10
	v_add_u32_e32 v25, 0x9050, v18
	v_and_b32_e32 v19, 28, v18
	v_add3_u32 v31, v18, v31, s3
	v_add3_u32 v34, v18, v34, s3
	;; [unrolled: 1-line block ×4, first 2 shown]
	v_xor_b32_e32 v18, s14, v21
	v_add_u32_e32 v41, 1, v39
	v_cmp_le_u32_e32 vcc, s2, v40
	v_ashrrev_i32_e32 v18, 31, v18
	v_cndmask_b32_e32 v39, v39, v41, vcc
	s_mul_i32 s18, s22, s15
	v_xor_b32_e32 v39, v39, v18
	v_sub_u32_e32 v39, v39, v18
	s_waitcnt lgkmcnt(0)
	v_mov_b32_e32 v40, s7
	v_add_co_u32_e32 v18, vcc, s6, v19
	s_mul_hi_i32 s21, s18, 0xd2
	v_addc_co_u32_e32 v19, vcc, 0, v40, vcc
	s_mul_i32 s20, s18, 0xd2
	v_mov_b32_e32 v41, s21
	s_movk_i32 s23, 0xd2
	v_mov_b32_e32 v40, s20
	v_mad_u64_u32 v[99:100], s[18:19], v42, s23, v[40:41]
	v_and_b32_e32 v45, 7, v0
	v_lshlrev_b32_e32 v41, 1, v0
	v_mad_i64_i32 v[43:44], s[26:27], v43, s23, v[99:100]
	v_lshlrev_b32_e32 v42, 2, v45
	v_and_or_b32 v105, v41, 32, v42
	v_add_co_u32_e32 v41, vcc, v43, v105
	v_lshrrev_b32_e32 v28, 3, v0
	v_addc_co_u32_e32 v42, vcc, 0, v44, vcc
	v_lshlrev_b32_e32 v29, 2, v28
	v_lshlrev_b32_e32 v30, 4, v0
	v_mov_b32_e32 v45, s5
	v_add_co_u32_e32 v41, vcc, s4, v41
	v_add3_u32 v29, v30, v29, s10
	v_addc_co_u32_e32 v42, vcc, v45, v42, vcc
	s_movk_i32 s10, 0x80
	v_add_co_u32_e32 v41, vcc, s10, v41
	v_addc_co_u32_e32 v42, vcc, 0, v42, vcc
	v_add_co_u32_e32 v43, vcc, v43, v20
	v_mad_i64_i32 v[47:48], s[26:27], v46, s23, v[99:100]
	v_addc_co_u32_e32 v44, vcc, 0, v44, vcc
	v_add_co_u32_e32 v43, vcc, s4, v43
	v_addc_co_u32_e32 v44, vcc, v45, v44, vcc
	v_add_co_u32_e32 v45, vcc, v47, v105
	v_addc_co_u32_e32 v46, vcc, 0, v48, vcc
	v_mov_b32_e32 v50, s5
	v_add_co_u32_e32 v45, vcc, s4, v45
	v_addc_co_u32_e32 v46, vcc, v50, v46, vcc
	v_add_co_u32_e32 v45, vcc, s10, v45
	v_addc_co_u32_e32 v46, vcc, 0, v46, vcc
	v_add_co_u32_e32 v47, vcc, v47, v20
	v_mad_i64_i32 v[51:52], s[26:27], v49, s23, v[99:100]
	v_addc_co_u32_e32 v48, vcc, 0, v48, vcc
	v_add_co_u32_e32 v47, vcc, s4, v47
	v_addc_co_u32_e32 v48, vcc, v50, v48, vcc
	v_add_co_u32_e32 v49, vcc, v51, v105
	v_addc_co_u32_e32 v50, vcc, 0, v52, vcc
	v_mov_b32_e32 v54, s5
	v_add_co_u32_e32 v49, vcc, s4, v49
	v_addc_co_u32_e32 v50, vcc, v54, v50, vcc
	;; [unrolled: 12-line block ×14, first 2 shown]
	v_add_co_u32_e32 v97, vcc, s10, v97
	v_addc_co_u32_e32 v98, vcc, 0, v98, vcc
	v_add_co_u32_e32 v101, vcc, v101, v20
	v_mad_i64_i32 v[103:104], s[26:27], v103, s23, v[99:100]
	v_addc_co_u32_e32 v102, vcc, 0, v102, vcc
	v_mov_b32_e32 v106, s5
	v_add_co_u32_e32 v99, vcc, s4, v101
	v_addc_co_u32_e32 v100, vcc, v106, v102, vcc
	v_cmp_gt_u32_e64 s[0:1], 4, v0
	v_cmp_gt_i32_e64 s[2:3], s11, v39
	v_add_co_u32_e32 v101, vcc, v103, v105
	s_ashr_i32 s24, s8, 31
	s_and_b64 s[18:19], s[0:1], s[2:3]
	v_addc_co_u32_e32 v102, vcc, 0, v104, vcc
	v_mov_b32_e32 v105, s5
	v_add_co_u32_e32 v101, vcc, s4, v101
	s_add_u32 s26, s4, s20
	v_addc_co_u32_e32 v102, vcc, v105, v102, vcc
	s_addc_u32 s27, s5, s21
	v_mov_b32_e32 v26, 0x8a40
	v_add_co_u32_e32 v101, vcc, s10, v101
	v_mov_b32_e32 v107, s27
	v_lshl_add_u32 v26, v1, 7, v26
	v_addc_co_u32_e32 v102, vcc, 0, v102, vcc
	v_mov_b32_e32 v106, s26
	v_add_u32_e32 v27, v26, v20
	v_add_co_u32_e32 v20, vcc, v103, v20
	v_mad_i64_i32 v[106:107], s[26:27], v108, s23, v[106:107]
	v_addc_co_u32_e32 v104, vcc, 0, v104, vcc
	v_add_co_u32_e32 v103, vcc, s4, v20
	v_mad_i64_i32 v[108:109], s[26:27], v109, s23, 0
	v_addc_co_u32_e32 v105, vcc, v105, v104, vcc
	s_movk_i32 s25, 0xd0
	v_add_co_u32_e32 v106, vcc, s25, v106
	v_addc_co_u32_e32 v107, vcc, 0, v107, vcc
	v_mov_b32_e32 v20, s21
	v_add_co_u32_e32 v104, vcc, s20, v108
	v_addc_co_u32_e32 v20, vcc, v20, v109, vcc
	v_add_co_u32_e32 v104, vcc, v104, v113
	v_addc_co_u32_e32 v20, vcc, 0, v20, vcc
	v_mov_b32_e32 v108, s5
	v_add_co_u32_e32 v104, vcc, s4, v104
	v_mad_i64_i32 v[111:112], s[26:27], v110, s23, 0
	v_addc_co_u32_e32 v20, vcc, v108, v20, vcc
	s_movk_i32 s25, 0xc0
	v_add_co_u32_e32 v109, vcc, s25, v104
	v_addc_co_u32_e32 v110, vcc, 0, v20, vcc
	v_mov_b32_e32 v20, s21
	v_add_co_u32_e32 v104, vcc, s20, v111
	v_addc_co_u32_e32 v20, vcc, v20, v112, vcc
	v_add_co_u32_e32 v104, vcc, v104, v113
	v_mul_lo_u32 v39, v39, s12
	v_addc_co_u32_e32 v20, vcc, 0, v20, vcc
	v_add_co_u32_e32 v104, vcc, s4, v104
	v_addc_co_u32_e32 v20, vcc, v108, v20, vcc
	v_add_co_u32_e32 v111, vcc, s25, v104
	v_mov_b32_e32 v22, 0
	v_lshlrev_b32_e32 v1, 4, v1
	v_mul_u32_u24_e32 v30, 0x104, v0
	v_ashrrev_i32_e32 v40, 31, v39
	v_addc_co_u32_e32 v112, vcc, 0, v20, vcc
	s_mov_b32 s20, 0x30303030
	s_movk_i32 s21, 0x3f00
	s_movk_i32 s23, 0xe000
	v_add_u32_e32 v113, v114, v115
	v_add_u32_e32 v114, v116, v117
	v_mov_b32_e32 v115, s24
	v_mov_b32_e32 v116, 8
	v_mov_b32_e32 v117, v0
	v_mov_b32_e32 v108, 0
	v_mov_b32_e32 v104, 0
	v_mov_b32_e32 v20, 0
	s_branch .LBB236_6
.LBB236_4:                              ;   in Loop: Header=BB236_6 Depth=1
	s_or_b64 exec, exec, s[4:5]
	s_waitcnt lgkmcnt(0)
	s_barrier
	ds_read_b128 v[120:123], v26
	ds_read_b128 v[124:127], v26 offset:16
	ds_read_b128 v[128:131], v26 offset:32
	;; [unrolled: 1-line block ×3, first 2 shown]
	ds_read_b32 v119, v31
	ds_read2_b32 v[136:137], v30 offset0:44 offset1:45
	ds_read2_b32 v[138:139], v30 offset0:38 offset1:39
	;; [unrolled: 1-line block ×8, first 2 shown]
	s_waitcnt lgkmcnt(7)
	v_dot4_i32_i8 v118, v136, v132, 0
	v_dot4_i32_i8 v118, v137, v133, v118
	s_waitcnt lgkmcnt(2)
	v_dot4_i32_i8 v118, v146, v134, v118
	v_dot4_i32_i8 v160, v147, v135, v118
	;; [unrolled: 3-line block ×3, first 2 shown]
	v_dot4_i32_i8 v118, v148, v130, v118
	v_dot4_i32_i8 v161, v149, v131, v118
	;; [unrolled: 1-line block ×10, first 2 shown]
	v_add_u32_e32 v118, 0x2118, v30
	ds_read2_b32 v[136:137], v118 offset1:1
	v_add_u32_e32 v118, 0x2110, v30
	v_add_u32_e32 v140, 0x2108, v30
	;; [unrolled: 1-line block ×4, first 2 shown]
	ds_read2_b32 v[138:139], v118 offset1:1
	ds_read2_b32 v[140:141], v140 offset1:1
	;; [unrolled: 1-line block ×4, first 2 shown]
	v_add_u32_e32 v118, 0x2130, v30
	ds_read2_b32 v[146:147], v118 offset1:1
	v_add_u32_e32 v118, 0x2128, v30
	v_add_u32_e32 v150, 0x2120, v30
	;; [unrolled: 1-line block ×3, first 2 shown]
	ds_read2_b32 v[148:149], v118 offset1:1
	ds_read2_b32 v[150:151], v150 offset1:1
	;; [unrolled: 1-line block ×3, first 2 shown]
	s_waitcnt lgkmcnt(3)
	v_dot4_i32_i8 v118, v146, v132, 0
	v_dot4_i32_i8 v118, v147, v133, v118
	;; [unrolled: 1-line block ×4, first 2 shown]
	s_waitcnt lgkmcnt(1)
	v_dot4_i32_i8 v118, v150, v128, 0
	v_dot4_i32_i8 v118, v151, v129, v118
	;; [unrolled: 1-line block ×12, first 2 shown]
	v_add_u32_e32 v136, 0x4190, v30
	v_add_u32_e32 v138, 0x4188, v30
	;; [unrolled: 1-line block ×5, first 2 shown]
	ds_read_b32 v118, v38 offset:384
	ds_read2_b32 v[136:137], v136 offset1:1
	ds_read2_b32 v[138:139], v138 offset1:1
	;; [unrolled: 1-line block ×5, first 2 shown]
	v_add_u32_e32 v146, 0x41a8, v30
	v_add_u32_e32 v148, 0x41a0, v30
	;; [unrolled: 1-line block ×3, first 2 shown]
	ds_read2_b32 v[146:147], v146 offset1:1
	ds_read2_b32 v[148:149], v148 offset1:1
	;; [unrolled: 1-line block ×3, first 2 shown]
	s_waitcnt lgkmcnt(3)
	v_dot4_i32_i8 v144, v144, v132, 0
	v_dot4_i32_i8 v136, v136, v124, 0
	;; [unrolled: 1-line block ×7, first 2 shown]
	s_waitcnt lgkmcnt(1)
	v_dot4_i32_i8 v142, v148, v128, 0
	v_dot4_i32_i8 v170, v153, v127, v136
	;; [unrolled: 1-line block ×9, first 2 shown]
	v_add_u32_e32 v136, 0x6210, v30
	v_add_u32_e32 v138, 0x6208, v30
	;; [unrolled: 1-line block ×5, first 2 shown]
	ds_read2_b32 v[136:137], v136 offset1:1
	ds_read2_b32 v[138:139], v138 offset1:1
	;; [unrolled: 1-line block ×5, first 2 shown]
	v_add_u32_e32 v146, 0x6228, v30
	v_add_u32_e32 v148, 0x6220, v30
	;; [unrolled: 1-line block ×3, first 2 shown]
	ds_read2_b32 v[146:147], v146 offset1:1
	ds_read2_b32 v[148:149], v148 offset1:1
	;; [unrolled: 1-line block ×3, first 2 shown]
	s_waitcnt lgkmcnt(3)
	v_dot4_i32_i8 v132, v144, v132, 0
	v_dot4_i32_i8 v124, v136, v124, 0
	;; [unrolled: 1-line block ×3, first 2 shown]
	s_waitcnt lgkmcnt(1)
	v_dot4_i32_i8 v128, v148, v128, 0
	v_dot4_i32_i8 v132, v145, v133, v132
	;; [unrolled: 1-line block ×13, first 2 shown]
	ds_read_b128 v[120:123], v26 offset:80
	ds_read_b128 v[124:127], v26 offset:64
	ds_read_b128 v[128:131], v26 offset:112
	ds_read_b128 v[132:135], v26 offset:96
	ds_read2_b32 v[136:137], v30 offset0:62 offset1:63
	ds_read2_b32 v[138:139], v30 offset0:60 offset1:61
	;; [unrolled: 1-line block ×7, first 2 shown]
	s_waitcnt lgkmcnt(5)
	v_dot4_i32_i8 v138, v138, v128, 0
	v_dot4_i32_i8 v138, v139, v129, v138
	;; [unrolled: 1-line block ×4, first 2 shown]
	s_waitcnt lgkmcnt(3)
	v_dot4_i32_i8 v136, v142, v120, 0
	v_dot4_i32_i8 v136, v143, v121, v136
	;; [unrolled: 1-line block ×4, first 2 shown]
	s_waitcnt lgkmcnt(1)
	v_dot4_i32_i8 v136, v146, v124, 0
	v_dot4_i32_i8 v136, v147, v125, v136
	v_dot4_i32_i8 v136, v144, v126, v136
	v_add_u32_e32 v140, 0x6250, v30
	v_add_u32_e32 v142, 0x6248, v30
	;; [unrolled: 1-line block ×5, first 2 shown]
	v_dot4_i32_i8 v178, v145, v127, v136
	ds_read_b128 v[136:139], v1 offset:36944
	ds_read2_b32 v[140:141], v140 offset1:1
	ds_read2_b32 v[142:143], v142 offset1:1
	;; [unrolled: 1-line block ×5, first 2 shown]
	v_add_u32_e32 v154, 0x6268, v30
	v_add_u32_e32 v156, 0x6260, v30
	;; [unrolled: 1-line block ×3, first 2 shown]
	ds_read2_b32 v[154:155], v154 offset1:1
	ds_read2_b32 v[156:157], v156 offset1:1
	;; [unrolled: 1-line block ×3, first 2 shown]
	s_waitcnt lgkmcnt(3)
	v_dot4_i32_i8 v150, v150, v128, 0
	v_dot4_i32_i8 v150, v151, v129, v150
	v_dot4_i32_i8 v146, v146, v130, v150
	v_dot4_i32_i8 v150, v147, v131, v146
	s_waitcnt lgkmcnt(1)
	v_dot4_i32_i8 v146, v156, v132, 0
	v_dot4_i32_i8 v151, v157, v133, v146
	ds_read_b32 v179, v36 offset:256
	ds_read2_b32 v[146:147], v37 offset0:2 offset1:3
	v_dot4_i32_i8 v140, v140, v120, 0
	v_dot4_i32_i8 v140, v141, v121, v140
	;; [unrolled: 1-line block ×4, first 2 shown]
	s_waitcnt lgkmcnt(0)
	v_bfe_i32 v141, v146, 8, 8
	v_bfe_i32 v152, v147, 8, 8
	v_mul_lo_u32 v140, v140, v152
	v_mul_lo_u32 v141, v174, v141
	v_dot4_i32_i8 v144, v144, v124, 0
	v_dot4_i32_i8 v144, v145, v125, v144
	;; [unrolled: 1-line block ×4, first 2 shown]
	v_bfe_i32 v143, v147, 0, 8
	v_mad_u64_u32 v[142:143], s[4:5], v142, v143, v[140:141]
	v_bfe_i32 v144, v146, 0, 8
	v_add_u32_e32 v156, 0x2160, v30
	v_mad_u64_u32 v[140:141], s[4:5], v175, v144, v[141:142]
	v_dot4_i32_i8 v141, v154, v134, v151
	v_dot4_i32_i8 v143, v155, v135, v141
	v_cvt_f32_i32_e32 v151, v140
	v_ashrrev_i32_e32 v140, 24, v147
	v_ashrrev_i32_e32 v141, 24, v146
	v_mul_lo_u32 v140, v150, v140
	v_mul_lo_u32 v141, v172, v141
	v_cvt_f32_i32_e32 v145, v142
	v_bfe_i32 v142, v147, 16, 8
	v_bfe_i32 v144, v146, 16, 8
	v_mad_u64_u32 v[142:143], s[4:5], v143, v142, v[140:141]
	v_fma_f32 v146, v136, v151, 0
	v_fma_f32 v172, v138, v145, 0
	v_mad_u64_u32 v[140:141], s[4:5], v173, v144, v[141:142]
	ds_read2_b32 v[143:144], v29 offset0:2 offset1:3
	v_cvt_f32_i32_e32 v142, v142
	v_cvt_f32_i32_e32 v147, v140
	ds_read2_b32 v[140:141], v30 offset0:56 offset1:57
	v_add_u32_e32 v150, 0x2178, v30
	v_fmac_f32_e32 v172, v139, v142
	v_fmac_f32_e32 v146, v137, v147
	s_waitcnt lgkmcnt(1)
	v_bfe_i32 v142, v143, 0, 8
	s_waitcnt lgkmcnt(0)
	v_dot4_i32_i8 v140, v140, v132, 0
	v_dot4_i32_i8 v140, v141, v133, v140
	v_bfe_i32 v141, v143, 8, 8
	v_mul_lo_u32 v141, v162, v141
	v_dot4_i32_i8 v140, v148, v134, v140
	v_dot4_i32_i8 v147, v149, v135, v140
	v_bfe_i32 v140, v144, 8, 8
	v_mul_lo_u32 v140, v177, v140
	v_mad_u64_u32 v[141:142], s[4:5], v163, v142, v[141:142]
	v_bfe_i32 v145, v144, 0, 8
	v_fmac_f32_e32 v20, v118, v146
	v_mad_u64_u32 v[145:146], s[4:5], v178, v145, v[140:141]
	v_ashrrev_i32_e32 v140, 24, v144
	v_mul_lo_u32 v140, v176, v140
	v_bfe_i32 v148, v144, 16, 8
	v_ashrrev_i32_e32 v142, 24, v143
	v_bfe_i32 v146, v143, 16, 8
	v_mul_lo_u32 v142, v160, v142
	v_mad_u64_u32 v[143:144], s[4:5], v147, v148, v[140:141]
	v_cvt_f32_i32_e32 v140, v141
	v_cvt_f32_i32_e32 v141, v145
	v_mad_u64_u32 v[146:147], s[4:5], v161, v146, v[142:143]
	v_cvt_f32_i32_e32 v142, v143
	v_fma_f32 v144, v136, v140, 0
	v_cvt_f32_i32_e32 v143, v146
	v_fma_f32 v145, v138, v141, 0
	v_fmac_f32_e32 v145, v139, v142
	v_add_u32_e32 v146, 0x2148, v30
	v_fmac_f32_e32 v144, v137, v143
	v_fmac_f32_e32 v22, v119, v144
	;; [unrolled: 1-line block ×3, first 2 shown]
	v_add_u32_e32 v119, 0x2150, v30
	v_add_u32_e32 v148, 0x2140, v30
	ds_read_b32 v162, v34 offset:128
	ds_read2_b32 v[140:141], v35 offset0:2 offset1:3
	ds_read2_b32 v[142:143], v33 offset0:2 offset1:3
	ds_read2_b32 v[144:145], v119 offset1:1
	ds_read2_b32 v[146:147], v146 offset1:1
	;; [unrolled: 1-line block ×4, first 2 shown]
	v_add_u32_e32 v119, 0x2170, v30
	ds_read2_b32 v[152:153], v119 offset1:1
	v_add_u32_e32 v119, 0x2168, v30
	v_add_u32_e32 v160, 0x41d8, v30
	ds_read2_b32 v[154:155], v119 offset1:1
	ds_read2_b32 v[156:157], v156 offset1:1
	;; [unrolled: 1-line block ×3, first 2 shown]
	v_fmac_f32_e32 v20, v118, v172
	s_waitcnt lgkmcnt(3)
	v_dot4_i32_i8 v119, v152, v128, 0
	v_dot4_i32_i8 v119, v153, v129, v119
	;; [unrolled: 1-line block ×4, first 2 shown]
	s_waitcnt lgkmcnt(1)
	v_dot4_i32_i8 v119, v156, v132, 0
	v_dot4_i32_i8 v119, v157, v133, v119
	;; [unrolled: 1-line block ×11, first 2 shown]
	v_bfe_i32 v144, v142, 8, 8
	v_dot4_i32_i8 v119, v159, v123, v119
	v_bfe_i32 v145, v143, 8, 8
	v_mul_lo_u32 v144, v166, v144
	v_mul_lo_u32 v119, v119, v145
	v_bfe_i32 v145, v142, 0, 8
	v_bfe_i32 v147, v143, 0, 8
	v_mad_u64_u32 v[144:145], s[4:5], v167, v145, v[144:145]
	v_bfe_i32 v148, v142, 16, 8
	v_ashrrev_i32_e32 v142, 24, v142
	v_mad_u64_u32 v[145:146], s[4:5], v146, v147, v[119:120]
	v_ashrrev_i32_e32 v119, 24, v143
	v_mul_lo_u32 v142, v164, v142
	v_mul_lo_u32 v119, v150, v119
	v_bfe_i32 v146, v143, 16, 8
	v_add_u32_e32 v154, 0x41e0, v30
	v_mad_u64_u32 v[142:143], s[4:5], v165, v148, v[142:143]
	v_mad_u64_u32 v[146:147], s[4:5], v151, v146, v[119:120]
	v_cvt_f32_i32_e32 v119, v144
	v_cvt_f32_i32_e32 v143, v145
	;; [unrolled: 1-line block ×4, first 2 shown]
	v_fma_f32 v119, v136, v119, 0
	v_fma_f32 v143, v138, v143, 0
	v_fmac_f32_e32 v119, v137, v142
	v_fmac_f32_e32 v143, v139, v144
	;; [unrolled: 1-line block ×3, first 2 shown]
	v_add_u32_e32 v119, 0x41d0, v30
	v_add_u32_e32 v144, 0x41c8, v30
	;; [unrolled: 1-line block ×4, first 2 shown]
	v_fmac_f32_e32 v108, v162, v143
	ds_read2_b32 v[142:143], v119 offset1:1
	ds_read2_b32 v[144:145], v144 offset1:1
	;; [unrolled: 1-line block ×4, first 2 shown]
	v_add_u32_e32 v119, 0x41f0, v30
	ds_read2_b32 v[150:151], v119 offset1:1
	v_add_u32_e32 v119, 0x41e8, v30
	ds_read2_b32 v[152:153], v119 offset1:1
	ds_read2_b32 v[154:155], v154 offset1:1
	s_waitcnt lgkmcnt(0)
	s_barrier
	v_dot4_i32_i8 v119, v150, v128, 0
	v_dot4_i32_i8 v119, v151, v129, v119
	;; [unrolled: 1-line block ×15, first 2 shown]
	v_bfe_i32 v120, v140, 8, 8
	v_mul_lo_u32 v120, v170, v120
	v_dot4_i32_i8 v119, v161, v123, v119
	v_bfe_i32 v121, v141, 8, 8
	v_mul_lo_u32 v119, v119, v121
	v_bfe_i32 v121, v140, 0, 8
	v_mad_u64_u32 v[120:121], s[4:5], v171, v121, v[120:121]
	v_bfe_i32 v123, v141, 0, 8
	v_bfe_i32 v125, v140, 16, 8
	v_mad_u64_u32 v[121:122], s[4:5], v122, v123, v[119:120]
	v_ashrrev_i32_e32 v119, 24, v141
	v_mul_lo_u32 v119, v128, v119
	v_bfe_i32 v123, v141, 16, 8
	v_ashrrev_i32_e32 v122, 24, v140
	v_mul_lo_u32 v122, v168, v122
	v_mad_u64_u32 v[123:124], s[4:5], v129, v123, v[119:120]
	v_cvt_f32_i32_e32 v119, v120
	v_cvt_f32_i32_e32 v120, v121
	v_mad_u64_u32 v[124:125], s[4:5], v169, v125, v[122:123]
	v_cvt_f32_i32_e32 v121, v123
	v_fma_f32 v119, v136, v119, 0
	v_cvt_f32_i32_e32 v122, v124
	v_fma_f32 v120, v138, v120, 0
	v_fmac_f32_e32 v120, v139, v121
	v_fmac_f32_e32 v119, v137, v122
	;; [unrolled: 1-line block ×4, first 2 shown]
.LBB236_5:                              ;   in Loop: Header=BB236_6 Depth=1
	v_add_co_u32_e32 v41, vcc, 0xd2, v41
	v_addc_co_u32_e32 v42, vcc, 0, v42, vcc
	v_add_co_u32_e32 v43, vcc, 0xd2, v43
	v_addc_co_u32_e32 v44, vcc, 0, v44, vcc
	;; [unrolled: 2-line block ×34, first 2 shown]
	s_add_i32 s22, s22, -1
	s_addk_i32 s10, 0x100
	v_add_co_u32_e32 v111, vcc, 0xd2, v111
	v_add_u32_e32 v32, 8, v32
	v_add_u32_e32 v28, 8, v28
	v_add_u32_e32 v117, 8, v117
	s_cmp_eq_u32 s22, 0
	v_addc_co_u32_e32 v112, vcc, 0, v112, vcc
	s_cbranch_scc1 .LBB236_17
.LBB236_6:                              ; =>This Inner Loop Header: Depth=1
	v_add_co_u32_e32 v118, vcc, s8, v43
	v_addc_co_u32_e32 v119, vcc, v44, v115, vcc
	global_load_dword v122, v[118:119], off
	v_add_co_u32_e32 v118, vcc, s8, v41
	v_addc_co_u32_e32 v119, vcc, v42, v115, vcc
	global_load_dword v123, v[118:119], off
	;; [unrolled: 3-line block ×4, first 2 shown]
	v_add_co_u32_e32 v118, vcc, s8, v51
	v_addc_co_u32_e32 v119, vcc, v52, v115, vcc
	v_add_co_u32_e32 v120, vcc, s8, v49
	v_addc_co_u32_e32 v121, vcc, v50, v115, vcc
	global_load_dword v127, v[120:121], off
	global_load_dword v126, v[118:119], off
	v_add_co_u32_e32 v118, vcc, s8, v55
	v_addc_co_u32_e32 v119, vcc, v56, v115, vcc
	v_add_co_u32_e32 v120, vcc, s8, v53
	v_addc_co_u32_e32 v121, vcc, v54, v115, vcc
	global_load_dword v128, v[118:119], off
	s_nop 0
	global_load_dword v120, v[120:121], off
	s_add_i32 s4, s10, 0xffffff80
	s_cmp_lt_i32 s4, s9
	s_waitcnt vmcnt(7)
	v_lshrrev_b32_e32 v119, 4, v122
	v_and_b32_e32 v118, 0xf0f0f0f, v122
	v_and_b32_e32 v119, 0xf0f0f0f, v119
	s_waitcnt vmcnt(6)
	v_ashrrev_i32_e32 v121, v23, v123
	v_and_or_b32 v119, v121, s20, v119
	v_lshlrev_b16_e32 v130, 8, v119
	v_and_b32_sdwa v131, v119, s21 dst_sel:DWORD dst_unused:UNUSED_PAD src0_sel:WORD_1 src1_sel:DWORD
	v_add_u16_e32 v130, 0xe000, v130
	s_waitcnt vmcnt(5)
	v_and_b32_e32 v122, 0xf0f0f0f, v124
	v_lshrrev_b32_e32 v123, 4, v124
	v_and_b32_e32 v123, 0xf0f0f0f, v123
	s_waitcnt vmcnt(4)
	v_ashrrev_i32_e32 v124, v23, v125
	v_lshlrev_b32_e32 v125, 4, v121
	v_lshlrev_b32_e32 v129, 4, v124
	v_and_or_b32 v118, v125, s20, v118
	v_and_or_b32 v121, v129, s20, v122
	v_and_or_b32 v122, v124, s20, v123
	v_and_b32_e32 v123, 0x3f00, v118
	v_lshlrev_b16_e32 v124, 8, v118
	v_and_b32_sdwa v125, v118, s21 dst_sel:DWORD dst_unused:UNUSED_PAD src0_sel:WORD_1 src1_sel:DWORD
	v_lshlrev_b16_sdwa v118, v116, v118 dst_sel:DWORD dst_unused:UNUSED_PAD src0_sel:DWORD src1_sel:WORD_1
	v_and_b32_e32 v129, 0x3f00, v119
	v_lshlrev_b16_sdwa v119, v116, v119 dst_sel:DWORD dst_unused:UNUSED_PAD src0_sel:DWORD src1_sel:WORD_1
	v_add_u16_e32 v124, 0xe000, v124
	v_add_u16_e32 v118, 0xe000, v118
	v_add_u16_e32 v119, 0xe000, v119
	v_or_b32_sdwa v123, v123, v124 dst_sel:DWORD dst_unused:UNUSED_PAD src0_sel:DWORD src1_sel:BYTE_1
	v_or_b32_sdwa v118, v125, v118 dst_sel:DWORD dst_unused:UNUSED_PAD src0_sel:DWORD src1_sel:BYTE_1
	;; [unrolled: 1-line block ×4, first 2 shown]
	v_add_u16_e32 v123, 0xe000, v123
	v_add_u16_sdwa v118, v118, s23 dst_sel:WORD_1 dst_unused:UNUSED_PAD src0_sel:DWORD src1_sel:DWORD
	v_add_u16_e32 v124, 0xe000, v124
	v_add_u16_sdwa v119, v119, s23 dst_sel:WORD_1 dst_unused:UNUSED_PAD src0_sel:DWORD src1_sel:DWORD
	v_lshlrev_b16_e32 v136, 8, v122
	v_or_b32_e32 v118, v123, v118
	v_or_b32_e32 v119, v124, v119
	v_and_b32_e32 v132, 0x3f00, v121
	v_lshlrev_b16_e32 v133, 8, v121
	v_and_b32_sdwa v134, v121, s21 dst_sel:DWORD dst_unused:UNUSED_PAD src0_sel:WORD_1 src1_sel:DWORD
	v_lshlrev_b16_sdwa v121, v116, v121 dst_sel:DWORD dst_unused:UNUSED_PAD src0_sel:DWORD src1_sel:WORD_1
	v_and_b32_e32 v135, 0x3f00, v122
	ds_write2_b32 v2, v118, v119 offset1:16
	v_add_u16_e32 v118, 0xe000, v136
	v_add_u16_e32 v133, 0xe000, v133
	;; [unrolled: 1-line block ×3, first 2 shown]
	v_or_b32_sdwa v118, v135, v118 dst_sel:DWORD dst_unused:UNUSED_PAD src0_sel:DWORD src1_sel:BYTE_1
	v_or_b32_sdwa v125, v132, v133 dst_sel:DWORD dst_unused:UNUSED_PAD src0_sel:DWORD src1_sel:BYTE_1
	;; [unrolled: 1-line block ×3, first 2 shown]
	v_add_u16_e32 v123, 0xe000, v118
	v_add_co_u32_e32 v118, vcc, s8, v59
	v_add_u16_e32 v125, 0xe000, v125
	v_add_u16_sdwa v121, v121, s23 dst_sel:WORD_1 dst_unused:UNUSED_PAD src0_sel:DWORD src1_sel:DWORD
	v_addc_co_u32_e32 v119, vcc, v60, v115, vcc
	v_or_b32_e32 v121, v125, v121
	global_load_dword v125, v[118:119], off
	v_add_co_u32_e32 v118, vcc, s8, v57
	v_addc_co_u32_e32 v119, vcc, v58, v115, vcc
	global_load_dword v129, v[118:119], off
	v_lshlrev_b16_sdwa v118, v116, v122 dst_sel:DWORD dst_unused:UNUSED_PAD src0_sel:DWORD src1_sel:WORD_1
	v_and_b32_sdwa v124, v122, s21 dst_sel:DWORD dst_unused:UNUSED_PAD src0_sel:WORD_1 src1_sel:DWORD
	v_add_u16_e32 v118, 0xe000, v118
	v_or_b32_sdwa v118, v124, v118 dst_sel:DWORD dst_unused:UNUSED_PAD src0_sel:DWORD src1_sel:BYTE_1
	v_add_u16_sdwa v118, v118, s23 dst_sel:WORD_1 dst_unused:UNUSED_PAD src0_sel:DWORD src1_sel:DWORD
	v_or_b32_e32 v118, v123, v118
	ds_write2_b32 v3, v121, v118 offset1:16
	s_waitcnt vmcnt(5)
	v_ashrrev_i32_e32 v121, v23, v127
	s_waitcnt vmcnt(4)
	v_and_b32_e32 v118, 0xf0f0f0f, v126
	v_lshlrev_b32_e32 v122, 4, v121
	v_and_or_b32 v118, v122, s20, v118
	v_lshlrev_b16_e32 v123, 8, v118
	v_and_b32_e32 v122, 0x3f00, v118
	v_add_u16_e32 v123, 0xe000, v123
	v_or_b32_sdwa v122, v122, v123 dst_sel:DWORD dst_unused:UNUSED_PAD src0_sel:DWORD src1_sel:BYTE_1
	v_and_b32_sdwa v123, v118, s21 dst_sel:DWORD dst_unused:UNUSED_PAD src0_sel:WORD_1 src1_sel:DWORD
	v_lshlrev_b16_sdwa v118, v116, v118 dst_sel:DWORD dst_unused:UNUSED_PAD src0_sel:DWORD src1_sel:WORD_1
	v_lshrrev_b32_e32 v119, 4, v126
	v_add_u16_e32 v118, 0xe000, v118
	v_and_b32_e32 v119, 0xf0f0f0f, v119
	v_or_b32_sdwa v118, v123, v118 dst_sel:DWORD dst_unused:UNUSED_PAD src0_sel:DWORD src1_sel:BYTE_1
	v_add_u16_e32 v122, 0xe000, v122
	v_add_u16_sdwa v118, v118, s23 dst_sel:WORD_1 dst_unused:UNUSED_PAD src0_sel:DWORD src1_sel:DWORD
	v_and_or_b32 v119, v121, s20, v119
	v_or_b32_e32 v118, v122, v118
	v_lshlrev_b16_e32 v122, 8, v119
	v_and_b32_e32 v121, 0x3f00, v119
	v_add_u16_e32 v122, 0xe000, v122
	v_or_b32_sdwa v121, v121, v122 dst_sel:DWORD dst_unused:UNUSED_PAD src0_sel:DWORD src1_sel:BYTE_1
	v_and_b32_sdwa v122, v119, s21 dst_sel:DWORD dst_unused:UNUSED_PAD src0_sel:WORD_1 src1_sel:DWORD
	v_lshlrev_b16_sdwa v119, v116, v119 dst_sel:DWORD dst_unused:UNUSED_PAD src0_sel:DWORD src1_sel:WORD_1
	v_add_u16_e32 v119, 0xe000, v119
	v_or_b32_sdwa v119, v122, v119 dst_sel:DWORD dst_unused:UNUSED_PAD src0_sel:DWORD src1_sel:BYTE_1
	v_add_u16_e32 v121, 0xe000, v121
	v_add_u16_sdwa v119, v119, s23 dst_sel:WORD_1 dst_unused:UNUSED_PAD src0_sel:DWORD src1_sel:DWORD
	v_or_b32_e32 v119, v121, v119
	ds_write2_b32 v4, v118, v119 offset1:16
	s_waitcnt vmcnt(3)
	v_lshrrev_b32_e32 v118, 4, v128
	v_and_b32_e32 v122, 0xf0f0f0f, v118
	v_add_co_u32_e32 v118, vcc, s8, v63
	v_addc_co_u32_e32 v119, vcc, v64, v115, vcc
	global_load_dword v123, v[118:119], off
	v_add_co_u32_e32 v118, vcc, s8, v61
	v_addc_co_u32_e32 v119, vcc, v62, v115, vcc
	global_load_dword v124, v[118:119], off
	s_waitcnt vmcnt(4)
	v_ashrrev_i32_e32 v120, v23, v120
	v_and_b32_e32 v121, 0xf0f0f0f, v128
	v_lshlrev_b32_e32 v118, 4, v120
	v_and_or_b32 v118, v118, s20, v121
	v_lshlrev_b16_e32 v121, 8, v118
	v_and_b32_e32 v119, 0x3f00, v118
	v_add_u16_e32 v121, 0xe000, v121
	v_or_b32_sdwa v119, v119, v121 dst_sel:DWORD dst_unused:UNUSED_PAD src0_sel:DWORD src1_sel:BYTE_1
	v_and_b32_sdwa v121, v118, s21 dst_sel:DWORD dst_unused:UNUSED_PAD src0_sel:WORD_1 src1_sel:DWORD
	v_lshlrev_b16_sdwa v118, v116, v118 dst_sel:DWORD dst_unused:UNUSED_PAD src0_sel:DWORD src1_sel:WORD_1
	v_add_u16_e32 v118, 0xe000, v118
	v_or_b32_sdwa v118, v121, v118 dst_sel:DWORD dst_unused:UNUSED_PAD src0_sel:DWORD src1_sel:BYTE_1
	v_add_u16_e32 v119, 0xe000, v119
	v_add_u16_sdwa v118, v118, s23 dst_sel:WORD_1 dst_unused:UNUSED_PAD src0_sel:DWORD src1_sel:DWORD
	v_or_b32_e32 v118, v119, v118
	v_and_or_b32 v119, v120, s20, v122
	v_lshlrev_b16_e32 v121, 8, v119
	v_and_b32_e32 v120, 0x3f00, v119
	v_add_u16_e32 v121, 0xe000, v121
	v_or_b32_sdwa v120, v120, v121 dst_sel:DWORD dst_unused:UNUSED_PAD src0_sel:DWORD src1_sel:BYTE_1
	v_and_b32_sdwa v121, v119, s21 dst_sel:DWORD dst_unused:UNUSED_PAD src0_sel:WORD_1 src1_sel:DWORD
	v_lshlrev_b16_sdwa v119, v116, v119 dst_sel:DWORD dst_unused:UNUSED_PAD src0_sel:DWORD src1_sel:WORD_1
	v_add_u16_e32 v119, 0xe000, v119
	v_or_b32_sdwa v119, v121, v119 dst_sel:DWORD dst_unused:UNUSED_PAD src0_sel:DWORD src1_sel:BYTE_1
	v_add_u16_e32 v120, 0xe000, v120
	v_add_u16_sdwa v119, v119, s23 dst_sel:WORD_1 dst_unused:UNUSED_PAD src0_sel:DWORD src1_sel:DWORD
	v_or_b32_e32 v119, v120, v119
	ds_write2_b32 v5, v118, v119 offset1:16
	s_waitcnt vmcnt(3)
	v_lshrrev_b32_e32 v118, 4, v125
	v_and_b32_e32 v121, 0xf0f0f0f, v118
	v_add_co_u32_e32 v118, vcc, s8, v67
	v_addc_co_u32_e32 v119, vcc, v68, v115, vcc
	v_and_b32_e32 v120, 0xf0f0f0f, v125
	global_load_dword v125, v[118:119], off
	v_add_co_u32_e32 v118, vcc, s8, v65
	v_addc_co_u32_e32 v119, vcc, v66, v115, vcc
	global_load_dword v126, v[118:119], off
	s_waitcnt vmcnt(4)
	v_ashrrev_i32_e32 v122, v23, v129
	v_lshlrev_b32_e32 v118, 4, v122
	v_and_or_b32 v118, v118, s20, v120
	v_lshlrev_b16_e32 v120, 8, v118
	v_and_b32_e32 v119, 0x3f00, v118
	v_add_u16_e32 v120, 0xe000, v120
	v_or_b32_sdwa v119, v119, v120 dst_sel:DWORD dst_unused:UNUSED_PAD src0_sel:DWORD src1_sel:BYTE_1
	v_and_b32_sdwa v120, v118, s21 dst_sel:DWORD dst_unused:UNUSED_PAD src0_sel:WORD_1 src1_sel:DWORD
	v_lshlrev_b16_sdwa v118, v116, v118 dst_sel:DWORD dst_unused:UNUSED_PAD src0_sel:DWORD src1_sel:WORD_1
	v_add_u16_e32 v118, 0xe000, v118
	v_or_b32_sdwa v118, v120, v118 dst_sel:DWORD dst_unused:UNUSED_PAD src0_sel:DWORD src1_sel:BYTE_1
	v_add_u16_e32 v119, 0xe000, v119
	v_add_u16_sdwa v118, v118, s23 dst_sel:WORD_1 dst_unused:UNUSED_PAD src0_sel:DWORD src1_sel:DWORD
	v_and_or_b32 v121, v122, s20, v121
	v_or_b32_e32 v120, v119, v118
	v_lshlrev_b16_e32 v119, 8, v121
	v_and_b32_e32 v118, 0x3f00, v121
	v_add_u16_e32 v119, 0xe000, v119
	v_or_b32_sdwa v118, v118, v119 dst_sel:DWORD dst_unused:UNUSED_PAD src0_sel:DWORD src1_sel:BYTE_1
	v_add_u16_e32 v122, 0xe000, v118
	v_add_co_u32_e32 v118, vcc, s8, v71
	v_addc_co_u32_e32 v119, vcc, v72, v115, vcc
	global_load_dword v128, v[118:119], off
	v_add_co_u32_e32 v118, vcc, s8, v69
	v_addc_co_u32_e32 v119, vcc, v70, v115, vcc
	global_load_dword v129, v[118:119], off
	v_lshlrev_b16_sdwa v118, v116, v121 dst_sel:DWORD dst_unused:UNUSED_PAD src0_sel:DWORD src1_sel:WORD_1
	v_and_b32_sdwa v127, v121, s21 dst_sel:DWORD dst_unused:UNUSED_PAD src0_sel:WORD_1 src1_sel:DWORD
	v_add_u16_e32 v118, 0xe000, v118
	v_or_b32_sdwa v118, v127, v118 dst_sel:DWORD dst_unused:UNUSED_PAD src0_sel:DWORD src1_sel:BYTE_1
	v_add_u16_sdwa v118, v118, s23 dst_sel:WORD_1 dst_unused:UNUSED_PAD src0_sel:DWORD src1_sel:DWORD
	v_or_b32_e32 v118, v122, v118
	ds_write2_b32 v6, v120, v118 offset1:16
	s_waitcnt vmcnt(5)
	v_and_b32_e32 v118, 0xf0f0f0f, v123
	s_waitcnt vmcnt(4)
	v_ashrrev_i32_e32 v120, v23, v124
	v_lshlrev_b32_e32 v121, 4, v120
	v_and_or_b32 v118, v121, s20, v118
	v_lshlrev_b16_e32 v122, 8, v118
	v_and_b32_e32 v121, 0x3f00, v118
	v_add_u16_e32 v122, 0xe000, v122
	v_lshrrev_b32_e32 v119, 4, v123
	v_or_b32_sdwa v121, v121, v122 dst_sel:DWORD dst_unused:UNUSED_PAD src0_sel:DWORD src1_sel:BYTE_1
	v_and_b32_sdwa v122, v118, s21 dst_sel:DWORD dst_unused:UNUSED_PAD src0_sel:WORD_1 src1_sel:DWORD
	v_lshlrev_b16_sdwa v118, v116, v118 dst_sel:DWORD dst_unused:UNUSED_PAD src0_sel:DWORD src1_sel:WORD_1
	v_and_b32_e32 v119, 0xf0f0f0f, v119
	v_add_u16_e32 v118, 0xe000, v118
	v_or_b32_sdwa v118, v122, v118 dst_sel:DWORD dst_unused:UNUSED_PAD src0_sel:DWORD src1_sel:BYTE_1
	v_and_or_b32 v120, v120, s20, v119
	v_add_u16_e32 v121, 0xe000, v121
	v_add_u16_sdwa v118, v118, s23 dst_sel:WORD_1 dst_unused:UNUSED_PAD src0_sel:DWORD src1_sel:DWORD
	v_lshlrev_b16_e32 v119, 8, v120
	v_or_b32_e32 v121, v121, v118
	v_and_b32_e32 v118, 0x3f00, v120
	v_add_u16_e32 v119, 0xe000, v119
	v_or_b32_sdwa v118, v118, v119 dst_sel:DWORD dst_unused:UNUSED_PAD src0_sel:DWORD src1_sel:BYTE_1
	v_add_u16_e32 v122, 0xe000, v118
	v_add_co_u32_e32 v118, vcc, s8, v75
	v_addc_co_u32_e32 v119, vcc, v76, v115, vcc
	global_load_dword v124, v[118:119], off
	v_add_co_u32_e32 v118, vcc, s8, v73
	v_addc_co_u32_e32 v119, vcc, v74, v115, vcc
	global_load_dword v127, v[118:119], off
	v_lshlrev_b16_sdwa v118, v116, v120 dst_sel:DWORD dst_unused:UNUSED_PAD src0_sel:DWORD src1_sel:WORD_1
	v_and_b32_sdwa v123, v120, s21 dst_sel:DWORD dst_unused:UNUSED_PAD src0_sel:WORD_1 src1_sel:DWORD
	v_add_u16_e32 v118, 0xe000, v118
	v_or_b32_sdwa v118, v123, v118 dst_sel:DWORD dst_unused:UNUSED_PAD src0_sel:DWORD src1_sel:BYTE_1
	v_add_u16_sdwa v118, v118, s23 dst_sel:WORD_1 dst_unused:UNUSED_PAD src0_sel:DWORD src1_sel:DWORD
	v_or_b32_e32 v118, v122, v118
	ds_write2_b32 v7, v121, v118 offset1:16
	s_waitcnt vmcnt(5)
	v_and_b32_e32 v118, 0xf0f0f0f, v125
	v_lshrrev_b32_e32 v119, 4, v125
	s_waitcnt vmcnt(4)
	v_ashrrev_i32_e32 v120, v23, v126
	v_lshlrev_b32_e32 v121, 4, v120
	v_and_or_b32 v118, v121, s20, v118
	v_lshlrev_b16_e32 v122, 8, v118
	v_and_b32_e32 v121, 0x3f00, v118
	v_add_u16_e32 v122, 0xe000, v122
	v_or_b32_sdwa v121, v121, v122 dst_sel:DWORD dst_unused:UNUSED_PAD src0_sel:DWORD src1_sel:BYTE_1
	v_and_b32_sdwa v122, v118, s21 dst_sel:DWORD dst_unused:UNUSED_PAD src0_sel:WORD_1 src1_sel:DWORD
	v_lshlrev_b16_sdwa v118, v116, v118 dst_sel:DWORD dst_unused:UNUSED_PAD src0_sel:DWORD src1_sel:WORD_1
	v_add_u16_e32 v118, 0xe000, v118
	v_and_b32_e32 v119, 0xf0f0f0f, v119
	v_or_b32_sdwa v118, v122, v118 dst_sel:DWORD dst_unused:UNUSED_PAD src0_sel:DWORD src1_sel:BYTE_1
	v_add_u16_e32 v121, 0xe000, v121
	v_add_u16_sdwa v118, v118, s23 dst_sel:WORD_1 dst_unused:UNUSED_PAD src0_sel:DWORD src1_sel:DWORD
	v_and_or_b32 v119, v120, s20, v119
	v_or_b32_e32 v118, v121, v118
	v_lshlrev_b16_e32 v121, 8, v119
	v_and_b32_e32 v120, 0x3f00, v119
	v_add_u16_e32 v121, 0xe000, v121
	v_or_b32_sdwa v120, v120, v121 dst_sel:DWORD dst_unused:UNUSED_PAD src0_sel:DWORD src1_sel:BYTE_1
	v_and_b32_sdwa v121, v119, s21 dst_sel:DWORD dst_unused:UNUSED_PAD src0_sel:WORD_1 src1_sel:DWORD
	v_lshlrev_b16_sdwa v119, v116, v119 dst_sel:DWORD dst_unused:UNUSED_PAD src0_sel:DWORD src1_sel:WORD_1
	v_add_u16_e32 v119, 0xe000, v119
	v_or_b32_sdwa v119, v121, v119 dst_sel:DWORD dst_unused:UNUSED_PAD src0_sel:DWORD src1_sel:BYTE_1
	v_add_u16_e32 v120, 0xe000, v120
	v_add_u16_sdwa v119, v119, s23 dst_sel:WORD_1 dst_unused:UNUSED_PAD src0_sel:DWORD src1_sel:DWORD
	v_or_b32_e32 v119, v120, v119
	ds_write2_b32 v8, v118, v119 offset1:16
	s_waitcnt vmcnt(3)
	v_lshrrev_b32_e32 v118, 4, v128
	v_and_b32_e32 v121, 0xf0f0f0f, v118
	v_add_co_u32_e32 v118, vcc, s8, v79
	v_addc_co_u32_e32 v119, vcc, v80, v115, vcc
	global_load_dword v123, v[118:119], off
	v_add_co_u32_e32 v118, vcc, s8, v77
	s_waitcnt vmcnt(3)
	v_ashrrev_i32_e32 v122, v23, v129
	v_addc_co_u32_e32 v119, vcc, v78, v115, vcc
	v_and_b32_e32 v120, 0xf0f0f0f, v128
	global_load_dword v125, v[118:119], off
	v_lshlrev_b32_e32 v118, 4, v122
	v_and_or_b32 v118, v118, s20, v120
	v_lshlrev_b16_e32 v120, 8, v118
	v_and_b32_e32 v119, 0x3f00, v118
	v_add_u16_e32 v120, 0xe000, v120
	v_or_b32_sdwa v119, v119, v120 dst_sel:DWORD dst_unused:UNUSED_PAD src0_sel:DWORD src1_sel:BYTE_1
	v_and_b32_sdwa v120, v118, s21 dst_sel:DWORD dst_unused:UNUSED_PAD src0_sel:WORD_1 src1_sel:DWORD
	v_lshlrev_b16_sdwa v118, v116, v118 dst_sel:DWORD dst_unused:UNUSED_PAD src0_sel:DWORD src1_sel:WORD_1
	v_add_u16_e32 v118, 0xe000, v118
	v_or_b32_sdwa v118, v120, v118 dst_sel:DWORD dst_unused:UNUSED_PAD src0_sel:DWORD src1_sel:BYTE_1
	v_add_u16_e32 v119, 0xe000, v119
	v_add_u16_sdwa v118, v118, s23 dst_sel:WORD_1 dst_unused:UNUSED_PAD src0_sel:DWORD src1_sel:DWORD
	v_or_b32_e32 v118, v119, v118
	v_and_or_b32 v119, v122, s20, v121
	v_lshlrev_b16_e32 v121, 8, v119
	v_and_b32_e32 v120, 0x3f00, v119
	v_add_u16_e32 v121, 0xe000, v121
	v_or_b32_sdwa v120, v120, v121 dst_sel:DWORD dst_unused:UNUSED_PAD src0_sel:DWORD src1_sel:BYTE_1
	v_and_b32_sdwa v121, v119, s21 dst_sel:DWORD dst_unused:UNUSED_PAD src0_sel:WORD_1 src1_sel:DWORD
	v_lshlrev_b16_sdwa v119, v116, v119 dst_sel:DWORD dst_unused:UNUSED_PAD src0_sel:DWORD src1_sel:WORD_1
	v_add_u16_e32 v119, 0xe000, v119
	v_or_b32_sdwa v119, v121, v119 dst_sel:DWORD dst_unused:UNUSED_PAD src0_sel:DWORD src1_sel:BYTE_1
	v_add_u16_e32 v120, 0xe000, v120
	v_add_u16_sdwa v119, v119, s23 dst_sel:WORD_1 dst_unused:UNUSED_PAD src0_sel:DWORD src1_sel:DWORD
	v_or_b32_e32 v119, v120, v119
	ds_write2_b32 v9, v118, v119 offset1:16
	s_waitcnt vmcnt(3)
	v_lshrrev_b32_e32 v118, 4, v124
	v_and_b32_e32 v121, 0xf0f0f0f, v118
	v_add_co_u32_e32 v118, vcc, s8, v83
	v_addc_co_u32_e32 v119, vcc, v84, v115, vcc
	v_and_b32_e32 v120, 0xf0f0f0f, v124
	global_load_dword v124, v[118:119], off
	v_add_co_u32_e32 v118, vcc, s8, v81
	v_addc_co_u32_e32 v119, vcc, v82, v115, vcc
	global_load_dword v126, v[118:119], off
	s_waitcnt vmcnt(4)
	v_ashrrev_i32_e32 v122, v23, v127
	v_lshlrev_b32_e32 v118, 4, v122
	v_and_or_b32 v118, v118, s20, v120
	v_lshlrev_b16_e32 v120, 8, v118
	v_and_b32_e32 v119, 0x3f00, v118
	v_add_u16_e32 v120, 0xe000, v120
	v_or_b32_sdwa v119, v119, v120 dst_sel:DWORD dst_unused:UNUSED_PAD src0_sel:DWORD src1_sel:BYTE_1
	v_and_b32_sdwa v120, v118, s21 dst_sel:DWORD dst_unused:UNUSED_PAD src0_sel:WORD_1 src1_sel:DWORD
	v_lshlrev_b16_sdwa v118, v116, v118 dst_sel:DWORD dst_unused:UNUSED_PAD src0_sel:DWORD src1_sel:WORD_1
	v_add_u16_e32 v118, 0xe000, v118
	v_or_b32_sdwa v118, v120, v118 dst_sel:DWORD dst_unused:UNUSED_PAD src0_sel:DWORD src1_sel:BYTE_1
	v_add_u16_e32 v119, 0xe000, v119
	v_add_u16_sdwa v118, v118, s23 dst_sel:WORD_1 dst_unused:UNUSED_PAD src0_sel:DWORD src1_sel:DWORD
	v_and_or_b32 v121, v122, s20, v121
	v_or_b32_e32 v120, v119, v118
	v_lshlrev_b16_e32 v119, 8, v121
	v_and_b32_e32 v118, 0x3f00, v121
	v_add_u16_e32 v119, 0xe000, v119
	v_or_b32_sdwa v118, v118, v119 dst_sel:DWORD dst_unused:UNUSED_PAD src0_sel:DWORD src1_sel:BYTE_1
	v_add_u16_e32 v122, 0xe000, v118
	v_add_co_u32_e32 v118, vcc, s8, v87
	v_addc_co_u32_e32 v119, vcc, v88, v115, vcc
	global_load_dword v128, v[118:119], off
	v_add_co_u32_e32 v118, vcc, s8, v85
	v_addc_co_u32_e32 v119, vcc, v86, v115, vcc
	global_load_dword v129, v[118:119], off
	v_lshlrev_b16_sdwa v118, v116, v121 dst_sel:DWORD dst_unused:UNUSED_PAD src0_sel:DWORD src1_sel:WORD_1
	v_and_b32_sdwa v127, v121, s21 dst_sel:DWORD dst_unused:UNUSED_PAD src0_sel:WORD_1 src1_sel:DWORD
	v_add_u16_e32 v118, 0xe000, v118
	v_or_b32_sdwa v118, v127, v118 dst_sel:DWORD dst_unused:UNUSED_PAD src0_sel:DWORD src1_sel:BYTE_1
	v_add_u16_sdwa v118, v118, s23 dst_sel:WORD_1 dst_unused:UNUSED_PAD src0_sel:DWORD src1_sel:DWORD
	v_or_b32_e32 v118, v122, v118
	ds_write2_b32 v10, v120, v118 offset1:16
	s_waitcnt vmcnt(5)
	v_and_b32_e32 v118, 0xf0f0f0f, v123
	v_lshrrev_b32_e32 v119, 4, v123
	v_and_b32_e32 v119, 0xf0f0f0f, v119
	s_waitcnt vmcnt(4)
	v_ashrrev_i32_e32 v120, v23, v125
	v_lshlrev_b32_e32 v121, 4, v120
	v_and_or_b32 v118, v121, s20, v118
	v_lshlrev_b16_e32 v122, 8, v118
	v_and_b32_e32 v121, 0x3f00, v118
	v_add_u16_e32 v122, 0xe000, v122
	v_or_b32_sdwa v121, v121, v122 dst_sel:DWORD dst_unused:UNUSED_PAD src0_sel:DWORD src1_sel:BYTE_1
	v_and_b32_sdwa v122, v118, s21 dst_sel:DWORD dst_unused:UNUSED_PAD src0_sel:WORD_1 src1_sel:DWORD
	v_lshlrev_b16_sdwa v118, v116, v118 dst_sel:DWORD dst_unused:UNUSED_PAD src0_sel:DWORD src1_sel:WORD_1
	v_add_u16_e32 v118, 0xe000, v118
	v_or_b32_sdwa v118, v122, v118 dst_sel:DWORD dst_unused:UNUSED_PAD src0_sel:DWORD src1_sel:BYTE_1
	v_and_or_b32 v120, v120, s20, v119
	v_add_u16_e32 v121, 0xe000, v121
	v_add_u16_sdwa v118, v118, s23 dst_sel:WORD_1 dst_unused:UNUSED_PAD src0_sel:DWORD src1_sel:DWORD
	v_lshlrev_b16_e32 v119, 8, v120
	v_or_b32_e32 v121, v121, v118
	v_and_b32_e32 v118, 0x3f00, v120
	v_add_u16_e32 v119, 0xe000, v119
	v_or_b32_sdwa v118, v118, v119 dst_sel:DWORD dst_unused:UNUSED_PAD src0_sel:DWORD src1_sel:BYTE_1
	v_add_u16_e32 v122, 0xe000, v118
	v_add_co_u32_e32 v118, vcc, s8, v91
	v_addc_co_u32_e32 v119, vcc, v92, v115, vcc
	global_load_dword v125, v[118:119], off
	v_add_co_u32_e32 v118, vcc, s8, v89
	v_addc_co_u32_e32 v119, vcc, v90, v115, vcc
	global_load_dword v127, v[118:119], off
	v_lshlrev_b16_sdwa v118, v116, v120 dst_sel:DWORD dst_unused:UNUSED_PAD src0_sel:DWORD src1_sel:WORD_1
	v_and_b32_sdwa v123, v120, s21 dst_sel:DWORD dst_unused:UNUSED_PAD src0_sel:WORD_1 src1_sel:DWORD
	v_add_u16_e32 v118, 0xe000, v118
	v_or_b32_sdwa v118, v123, v118 dst_sel:DWORD dst_unused:UNUSED_PAD src0_sel:DWORD src1_sel:BYTE_1
	v_add_u16_sdwa v118, v118, s23 dst_sel:WORD_1 dst_unused:UNUSED_PAD src0_sel:DWORD src1_sel:DWORD
	v_or_b32_e32 v118, v122, v118
	ds_write2_b32 v11, v121, v118 offset1:16
	s_waitcnt vmcnt(5)
	v_and_b32_e32 v118, 0xf0f0f0f, v124
	v_lshrrev_b32_e32 v119, 4, v124
	s_waitcnt vmcnt(4)
	v_ashrrev_i32_e32 v120, v23, v126
	v_lshlrev_b32_e32 v121, 4, v120
	v_and_or_b32 v118, v121, s20, v118
	v_lshlrev_b16_e32 v122, 8, v118
	v_and_b32_e32 v121, 0x3f00, v118
	v_add_u16_e32 v122, 0xe000, v122
	v_or_b32_sdwa v121, v121, v122 dst_sel:DWORD dst_unused:UNUSED_PAD src0_sel:DWORD src1_sel:BYTE_1
	v_and_b32_sdwa v122, v118, s21 dst_sel:DWORD dst_unused:UNUSED_PAD src0_sel:WORD_1 src1_sel:DWORD
	v_lshlrev_b16_sdwa v118, v116, v118 dst_sel:DWORD dst_unused:UNUSED_PAD src0_sel:DWORD src1_sel:WORD_1
	v_add_u16_e32 v118, 0xe000, v118
	v_and_b32_e32 v119, 0xf0f0f0f, v119
	v_or_b32_sdwa v118, v122, v118 dst_sel:DWORD dst_unused:UNUSED_PAD src0_sel:DWORD src1_sel:BYTE_1
	v_add_u16_e32 v121, 0xe000, v121
	v_add_u16_sdwa v118, v118, s23 dst_sel:WORD_1 dst_unused:UNUSED_PAD src0_sel:DWORD src1_sel:DWORD
	v_and_or_b32 v119, v120, s20, v119
	v_or_b32_e32 v118, v121, v118
	v_lshlrev_b16_e32 v121, 8, v119
	v_and_b32_e32 v120, 0x3f00, v119
	v_add_u16_e32 v121, 0xe000, v121
	v_or_b32_sdwa v120, v120, v121 dst_sel:DWORD dst_unused:UNUSED_PAD src0_sel:DWORD src1_sel:BYTE_1
	v_and_b32_sdwa v121, v119, s21 dst_sel:DWORD dst_unused:UNUSED_PAD src0_sel:WORD_1 src1_sel:DWORD
	v_lshlrev_b16_sdwa v119, v116, v119 dst_sel:DWORD dst_unused:UNUSED_PAD src0_sel:DWORD src1_sel:WORD_1
	v_add_u16_e32 v119, 0xe000, v119
	v_or_b32_sdwa v119, v121, v119 dst_sel:DWORD dst_unused:UNUSED_PAD src0_sel:DWORD src1_sel:BYTE_1
	v_add_u16_e32 v120, 0xe000, v120
	v_add_u16_sdwa v119, v119, s23 dst_sel:WORD_1 dst_unused:UNUSED_PAD src0_sel:DWORD src1_sel:DWORD
	v_or_b32_e32 v119, v120, v119
	ds_write2_b32 v12, v118, v119 offset1:16
	s_waitcnt vmcnt(3)
	v_lshrrev_b32_e32 v118, 4, v128
	v_and_b32_e32 v121, 0xf0f0f0f, v118
	v_add_co_u32_e32 v118, vcc, s8, v95
	v_addc_co_u32_e32 v119, vcc, v96, v115, vcc
	global_load_dword v123, v[118:119], off
	v_add_co_u32_e32 v118, vcc, s8, v93
	v_addc_co_u32_e32 v119, vcc, v94, v115, vcc
	global_load_dword v124, v[118:119], off
	s_waitcnt vmcnt(4)
	v_ashrrev_i32_e32 v122, v23, v129
	v_and_b32_e32 v120, 0xf0f0f0f, v128
	v_lshlrev_b32_e32 v118, 4, v122
	v_and_or_b32 v118, v118, s20, v120
	v_lshlrev_b16_e32 v120, 8, v118
	v_and_b32_e32 v119, 0x3f00, v118
	v_add_u16_e32 v120, 0xe000, v120
	v_or_b32_sdwa v119, v119, v120 dst_sel:DWORD dst_unused:UNUSED_PAD src0_sel:DWORD src1_sel:BYTE_1
	v_and_b32_sdwa v120, v118, s21 dst_sel:DWORD dst_unused:UNUSED_PAD src0_sel:WORD_1 src1_sel:DWORD
	v_lshlrev_b16_sdwa v118, v116, v118 dst_sel:DWORD dst_unused:UNUSED_PAD src0_sel:DWORD src1_sel:WORD_1
	v_add_u16_e32 v118, 0xe000, v118
	v_or_b32_sdwa v118, v120, v118 dst_sel:DWORD dst_unused:UNUSED_PAD src0_sel:DWORD src1_sel:BYTE_1
	v_add_u16_e32 v119, 0xe000, v119
	v_add_u16_sdwa v118, v118, s23 dst_sel:WORD_1 dst_unused:UNUSED_PAD src0_sel:DWORD src1_sel:DWORD
	v_or_b32_e32 v118, v119, v118
	v_and_or_b32 v119, v122, s20, v121
	v_lshlrev_b16_e32 v121, 8, v119
	v_and_b32_e32 v120, 0x3f00, v119
	v_add_u16_e32 v121, 0xe000, v121
	v_or_b32_sdwa v120, v120, v121 dst_sel:DWORD dst_unused:UNUSED_PAD src0_sel:DWORD src1_sel:BYTE_1
	v_and_b32_sdwa v121, v119, s21 dst_sel:DWORD dst_unused:UNUSED_PAD src0_sel:WORD_1 src1_sel:DWORD
	v_lshlrev_b16_sdwa v119, v116, v119 dst_sel:DWORD dst_unused:UNUSED_PAD src0_sel:DWORD src1_sel:WORD_1
	v_add_u16_e32 v119, 0xe000, v119
	v_or_b32_sdwa v119, v121, v119 dst_sel:DWORD dst_unused:UNUSED_PAD src0_sel:DWORD src1_sel:BYTE_1
	v_add_u16_e32 v120, 0xe000, v120
	v_add_u16_sdwa v119, v119, s23 dst_sel:WORD_1 dst_unused:UNUSED_PAD src0_sel:DWORD src1_sel:DWORD
	v_or_b32_e32 v119, v120, v119
	ds_write2_b32 v13, v118, v119 offset1:16
	s_waitcnt vmcnt(3)
	v_lshrrev_b32_e32 v119, 4, v125
	v_and_b32_e32 v118, 0xf0f0f0f, v125
	s_waitcnt vmcnt(2)
	v_ashrrev_i32_e32 v121, v23, v127
	v_and_b32_e32 v120, 0xf0f0f0f, v119
	v_lshlrev_b32_e32 v119, 4, v121
	v_and_or_b32 v122, v119, s20, v118
	v_lshlrev_b16_e32 v118, 8, v122
	v_add_u16_e32 v126, 0xe000, v118
	v_add_co_u32_e32 v118, vcc, s8, v99
	v_addc_co_u32_e32 v119, vcc, v100, v115, vcc
	global_load_dword v127, v[118:119], off
	v_add_co_u32_e32 v118, vcc, s8, v97
	v_addc_co_u32_e32 v119, vcc, v98, v115, vcc
	global_load_dword v128, v[118:119], off
	v_and_b32_e32 v125, 0x3f00, v122
	v_and_b32_sdwa v119, v122, s21 dst_sel:DWORD dst_unused:UNUSED_PAD src0_sel:WORD_1 src1_sel:DWORD
	v_lshlrev_b16_sdwa v122, v116, v122 dst_sel:DWORD dst_unused:UNUSED_PAD src0_sel:DWORD src1_sel:WORD_1
	v_add_u16_e32 v122, 0xe000, v122
	v_or_b32_sdwa v118, v125, v126 dst_sel:DWORD dst_unused:UNUSED_PAD src0_sel:DWORD src1_sel:BYTE_1
	v_or_b32_sdwa v119, v119, v122 dst_sel:DWORD dst_unused:UNUSED_PAD src0_sel:DWORD src1_sel:BYTE_1
	v_add_u16_e32 v118, 0xe000, v118
	v_add_u16_sdwa v119, v119, s23 dst_sel:WORD_1 dst_unused:UNUSED_PAD src0_sel:DWORD src1_sel:DWORD
	v_or_b32_e32 v122, v118, v119
	v_and_or_b32 v118, v121, s20, v120
	v_lshlrev_b16_e32 v120, 8, v118
	v_and_b32_e32 v119, 0x3f00, v118
	v_add_u16_e32 v120, 0xe000, v120
	v_or_b32_sdwa v119, v119, v120 dst_sel:DWORD dst_unused:UNUSED_PAD src0_sel:DWORD src1_sel:BYTE_1
	v_and_b32_sdwa v120, v118, s21 dst_sel:DWORD dst_unused:UNUSED_PAD src0_sel:WORD_1 src1_sel:DWORD
	v_lshlrev_b16_sdwa v118, v116, v118 dst_sel:DWORD dst_unused:UNUSED_PAD src0_sel:DWORD src1_sel:WORD_1
	v_add_u16_e32 v118, 0xe000, v118
	v_or_b32_sdwa v118, v120, v118 dst_sel:DWORD dst_unused:UNUSED_PAD src0_sel:DWORD src1_sel:BYTE_1
	v_add_u16_e32 v119, 0xe000, v119
	v_add_u16_sdwa v118, v118, s23 dst_sel:WORD_1 dst_unused:UNUSED_PAD src0_sel:DWORD src1_sel:DWORD
	v_or_b32_e32 v120, v119, v118
	v_add_co_u32_e32 v118, vcc, s8, v103
	v_addc_co_u32_e32 v119, vcc, v105, v115, vcc
	global_load_dword v121, v[118:119], off
	v_add_co_u32_e32 v118, vcc, s8, v101
	v_addc_co_u32_e32 v119, vcc, v102, v115, vcc
	global_load_dword v125, v[118:119], off
	ds_write2_b32 v14, v122, v120 offset1:16
	s_waitcnt vmcnt(5)
	v_lshrrev_b32_e32 v119, 4, v123
	s_waitcnt vmcnt(4)
	v_ashrrev_i32_e32 v122, v23, v124
	v_and_b32_e32 v118, 0xf0f0f0f, v123
	v_and_b32_e32 v120, 0xf0f0f0f, v119
	v_lshlrev_b32_e32 v119, 4, v122
	v_and_or_b32 v118, v119, s20, v118
	v_lshlrev_b16_e32 v123, 8, v118
	v_and_b32_e32 v119, 0x3f00, v118
	v_add_u16_e32 v123, 0xe000, v123
	v_or_b32_sdwa v119, v119, v123 dst_sel:DWORD dst_unused:UNUSED_PAD src0_sel:DWORD src1_sel:BYTE_1
	v_add_u16_e32 v123, 0xe000, v119
	v_and_b32_sdwa v119, v118, s21 dst_sel:DWORD dst_unused:UNUSED_PAD src0_sel:WORD_1 src1_sel:DWORD
	v_lshlrev_b16_sdwa v118, v116, v118 dst_sel:DWORD dst_unused:UNUSED_PAD src0_sel:DWORD src1_sel:WORD_1
	v_add_u16_e32 v118, 0xe000, v118
	v_or_b32_sdwa v118, v119, v118 dst_sel:DWORD dst_unused:UNUSED_PAD src0_sel:DWORD src1_sel:BYTE_1
	v_add_u16_sdwa v124, v118, s23 dst_sel:WORD_1 dst_unused:UNUSED_PAD src0_sel:DWORD src1_sel:DWORD
	v_add_co_u32_e32 v118, vcc, s8, v106
	v_addc_co_u32_e32 v119, vcc, v107, v115, vcc
	global_load_ushort v126, v[118:119], off
	v_add_co_u32_e32 v118, vcc, s8, v109
	v_addc_co_u32_e32 v119, vcc, v110, v115, vcc
	global_load_dword v129, v[118:119], off
	v_add_co_u32_e32 v118, vcc, s8, v111
	v_addc_co_u32_e32 v119, vcc, v112, v115, vcc
	global_load_dword v118, v[118:119], off
	v_and_or_b32 v120, v122, s20, v120
	v_or_b32_e32 v119, v123, v124
	v_lshlrev_b16_e32 v123, 8, v120
	v_and_b32_e32 v122, 0x3f00, v120
	v_add_u16_e32 v123, 0xe000, v123
	v_or_b32_sdwa v122, v122, v123 dst_sel:DWORD dst_unused:UNUSED_PAD src0_sel:DWORD src1_sel:BYTE_1
	v_and_b32_sdwa v123, v120, s21 dst_sel:DWORD dst_unused:UNUSED_PAD src0_sel:WORD_1 src1_sel:DWORD
	v_lshlrev_b16_sdwa v120, v116, v120 dst_sel:DWORD dst_unused:UNUSED_PAD src0_sel:DWORD src1_sel:WORD_1
	v_add_u16_e32 v120, 0xe000, v120
	v_or_b32_sdwa v120, v123, v120 dst_sel:DWORD dst_unused:UNUSED_PAD src0_sel:DWORD src1_sel:BYTE_1
	v_add_u16_e32 v122, 0xe000, v122
	v_add_u16_sdwa v120, v120, s23 dst_sel:WORD_1 dst_unused:UNUSED_PAD src0_sel:DWORD src1_sel:DWORD
	v_or_b32_e32 v120, v122, v120
	ds_write2_b32 v15, v119, v120 offset1:16
	s_waitcnt vmcnt(6)
	v_and_b32_e32 v119, 0xf0f0f0f, v127
	v_lshrrev_b32_e32 v120, 4, v127
	s_waitcnt vmcnt(5)
	v_ashrrev_i32_e32 v122, v23, v128
	v_lshlrev_b32_e32 v123, 4, v122
	v_and_or_b32 v119, v123, s20, v119
	v_lshlrev_b16_e32 v124, 8, v119
	v_and_b32_e32 v123, 0x3f00, v119
	v_add_u16_e32 v124, 0xe000, v124
	v_or_b32_sdwa v123, v123, v124 dst_sel:DWORD dst_unused:UNUSED_PAD src0_sel:DWORD src1_sel:BYTE_1
	v_and_b32_sdwa v124, v119, s21 dst_sel:DWORD dst_unused:UNUSED_PAD src0_sel:WORD_1 src1_sel:DWORD
	v_lshlrev_b16_sdwa v119, v116, v119 dst_sel:DWORD dst_unused:UNUSED_PAD src0_sel:DWORD src1_sel:WORD_1
	v_add_u16_e32 v119, 0xe000, v119
	v_and_b32_e32 v120, 0xf0f0f0f, v120
	v_or_b32_sdwa v119, v124, v119 dst_sel:DWORD dst_unused:UNUSED_PAD src0_sel:DWORD src1_sel:BYTE_1
	v_add_u16_e32 v123, 0xe000, v123
	v_add_u16_sdwa v119, v119, s23 dst_sel:WORD_1 dst_unused:UNUSED_PAD src0_sel:DWORD src1_sel:DWORD
	v_and_or_b32 v120, v122, s20, v120
	v_or_b32_e32 v119, v123, v119
	v_lshlrev_b16_e32 v123, 8, v120
	v_and_b32_e32 v122, 0x3f00, v120
	v_add_u16_e32 v123, 0xe000, v123
	v_or_b32_sdwa v122, v122, v123 dst_sel:DWORD dst_unused:UNUSED_PAD src0_sel:DWORD src1_sel:BYTE_1
	v_and_b32_sdwa v123, v120, s21 dst_sel:DWORD dst_unused:UNUSED_PAD src0_sel:WORD_1 src1_sel:DWORD
	v_lshlrev_b16_sdwa v120, v116, v120 dst_sel:DWORD dst_unused:UNUSED_PAD src0_sel:DWORD src1_sel:WORD_1
	v_add_u16_e32 v120, 0xe000, v120
	v_or_b32_sdwa v120, v123, v120 dst_sel:DWORD dst_unused:UNUSED_PAD src0_sel:DWORD src1_sel:BYTE_1
	v_add_u16_e32 v122, 0xe000, v122
	v_add_u16_sdwa v120, v120, s23 dst_sel:WORD_1 dst_unused:UNUSED_PAD src0_sel:DWORD src1_sel:DWORD
	v_or_b32_e32 v120, v122, v120
	ds_write2_b32 v16, v119, v120 offset1:16
	s_waitcnt vmcnt(4)
	v_and_b32_e32 v119, 0xf0f0f0f, v121
	v_lshrrev_b32_e32 v120, 4, v121
	v_and_b32_e32 v120, 0xf0f0f0f, v120
	s_waitcnt vmcnt(3)
	v_ashrrev_i32_e32 v121, v23, v125
	v_lshlrev_b32_e32 v122, 4, v121
	v_and_or_b32 v119, v122, s20, v119
	v_lshlrev_b16_e32 v123, 8, v119
	v_and_b32_e32 v122, 0x3f00, v119
	v_add_u16_e32 v123, 0xe000, v123
	v_or_b32_sdwa v122, v122, v123 dst_sel:DWORD dst_unused:UNUSED_PAD src0_sel:DWORD src1_sel:BYTE_1
	v_and_b32_sdwa v123, v119, s21 dst_sel:DWORD dst_unused:UNUSED_PAD src0_sel:WORD_1 src1_sel:DWORD
	v_lshlrev_b16_sdwa v119, v116, v119 dst_sel:DWORD dst_unused:UNUSED_PAD src0_sel:DWORD src1_sel:WORD_1
	v_add_u16_e32 v119, 0xe000, v119
	v_or_b32_sdwa v119, v123, v119 dst_sel:DWORD dst_unused:UNUSED_PAD src0_sel:DWORD src1_sel:BYTE_1
	v_add_u16_e32 v122, 0xe000, v122
	v_add_u16_sdwa v119, v119, s23 dst_sel:WORD_1 dst_unused:UNUSED_PAD src0_sel:DWORD src1_sel:DWORD
	v_and_or_b32 v120, v121, s20, v120
	v_or_b32_e32 v119, v122, v119
	v_lshlrev_b16_e32 v122, 8, v120
	v_and_b32_e32 v121, 0x3f00, v120
	v_add_u16_e32 v122, 0xe000, v122
	v_or_b32_sdwa v121, v121, v122 dst_sel:DWORD dst_unused:UNUSED_PAD src0_sel:DWORD src1_sel:BYTE_1
	v_and_b32_sdwa v122, v120, s21 dst_sel:DWORD dst_unused:UNUSED_PAD src0_sel:WORD_1 src1_sel:DWORD
	v_lshlrev_b16_sdwa v120, v116, v120 dst_sel:DWORD dst_unused:UNUSED_PAD src0_sel:DWORD src1_sel:WORD_1
	v_add_u16_e32 v120, 0xe000, v120
	v_or_b32_sdwa v120, v122, v120 dst_sel:DWORD dst_unused:UNUSED_PAD src0_sel:DWORD src1_sel:BYTE_1
	s_waitcnt vmcnt(2)
	v_cvt_f32_f16_e32 v122, v126
	v_add_u16_e32 v121, 0xe000, v121
	v_add_u16_sdwa v120, v120, s23 dst_sel:WORD_1 dst_unused:UNUSED_PAD src0_sel:DWORD src1_sel:DWORD
	v_or_b32_e32 v120, v121, v120
	ds_write2_b32 v17, v119, v120 offset1:16
	ds_write_b32 v24, v122
	s_waitcnt vmcnt(1)
	ds_write_b32 v113, v129
	s_waitcnt vmcnt(0)
	ds_write_b32 v114, v118
	s_cbranch_scc0 .LBB236_5
; %bb.7:                                ;   in Loop: Header=BB236_6 Depth=1
	v_cmp_gt_i32_e32 vcc, s12, v28
	s_and_b64 s[24:25], s[2:3], vcc
	s_and_saveexec_b64 s[4:5], s[24:25]
	s_cbranch_execz .LBB236_9
; %bb.8:                                ;   in Loop: Header=BB236_6 Depth=1
	v_add_u32_e32 v118, v39, v28
	v_mad_i64_i32 v[118:119], s[24:25], v118, 36, v[18:19]
	global_load_dword v118, v[118:119], off offset:4
	s_waitcnt vmcnt(0)
	ds_write_b32 v27, v118
.LBB236_9:                              ;   in Loop: Header=BB236_6 Depth=1
	s_or_b64 exec, exec, s[4:5]
	v_cmp_gt_i32_e32 vcc, s12, v117
	s_and_b64 s[24:25], s[18:19], vcc
	s_and_saveexec_b64 s[4:5], s[24:25]
	s_cbranch_execz .LBB236_11
; %bb.10:                               ;   in Loop: Header=BB236_6 Depth=1
	v_add_u32_e32 v118, v39, v117
	v_mad_i64_i32 v[118:119], s[24:25], v118, 36, s[6:7]
	global_load_dword v118, v[118:119], off
	v_add_u32_e32 v119, v25, v1
	s_waitcnt vmcnt(0)
	v_cvt_f32_f16_e32 v118, v118
	ds_write_b32 v119, v118
.LBB236_11:                             ;   in Loop: Header=BB236_6 Depth=1
	s_or_b64 exec, exec, s[4:5]
	s_waitcnt lgkmcnt(0)
	s_barrier
	ds_read_b128 v[120:123], v26
	ds_read_b128 v[124:127], v26 offset:16
	ds_read_b128 v[128:131], v26 offset:32
	;; [unrolled: 1-line block ×3, first 2 shown]
	ds_read_b32 v119, v31
	ds_read2_b32 v[136:137], v30 offset0:12 offset1:13
	ds_read2_b32 v[138:139], v30 offset0:6 offset1:7
	;; [unrolled: 1-line block ×4, first 2 shown]
	ds_read2_b32 v[144:145], v30 offset1:1
	ds_read2_b32 v[146:147], v30 offset0:14 offset1:15
	ds_read2_b32 v[148:149], v30 offset0:10 offset1:11
	;; [unrolled: 1-line block ×3, first 2 shown]
	s_waitcnt lgkmcnt(7)
	v_dot4_i32_i8 v118, v136, v132, 0
	v_dot4_i32_i8 v118, v137, v133, v118
	s_waitcnt lgkmcnt(2)
	v_dot4_i32_i8 v118, v146, v134, v118
	v_dot4_i32_i8 v160, v147, v135, v118
	;; [unrolled: 3-line block ×3, first 2 shown]
	v_dot4_i32_i8 v118, v148, v130, v118
	v_dot4_i32_i8 v161, v149, v131, v118
	;; [unrolled: 1-line block ×10, first 2 shown]
	v_add_u32_e32 v118, 0x2098, v30
	ds_read2_b32 v[136:137], v118 offset1:1
	v_add_u32_e32 v118, 0x2090, v30
	v_add_u32_e32 v140, 0x2088, v30
	;; [unrolled: 1-line block ×4, first 2 shown]
	ds_read2_b32 v[138:139], v118 offset1:1
	ds_read2_b32 v[140:141], v140 offset1:1
	;; [unrolled: 1-line block ×4, first 2 shown]
	v_add_u32_e32 v118, 0x20b0, v30
	ds_read2_b32 v[146:147], v118 offset1:1
	v_add_u32_e32 v118, 0x20a8, v30
	v_add_u32_e32 v150, 0x20a0, v30
	;; [unrolled: 1-line block ×3, first 2 shown]
	ds_read2_b32 v[148:149], v118 offset1:1
	ds_read2_b32 v[150:151], v150 offset1:1
	;; [unrolled: 1-line block ×3, first 2 shown]
	s_waitcnt lgkmcnt(3)
	v_dot4_i32_i8 v118, v146, v132, 0
	v_dot4_i32_i8 v118, v147, v133, v118
	;; [unrolled: 1-line block ×4, first 2 shown]
	s_waitcnt lgkmcnt(1)
	v_dot4_i32_i8 v118, v150, v128, 0
	v_dot4_i32_i8 v118, v151, v129, v118
	;; [unrolled: 1-line block ×12, first 2 shown]
	v_add_u32_e32 v136, 0x4110, v30
	v_add_u32_e32 v138, 0x4108, v30
	;; [unrolled: 1-line block ×5, first 2 shown]
	ds_read_b32 v118, v38 offset:384
	ds_read2_b32 v[136:137], v136 offset1:1
	ds_read2_b32 v[138:139], v138 offset1:1
	;; [unrolled: 1-line block ×5, first 2 shown]
	v_add_u32_e32 v146, 0x4128, v30
	v_add_u32_e32 v148, 0x4120, v30
	;; [unrolled: 1-line block ×3, first 2 shown]
	ds_read2_b32 v[146:147], v146 offset1:1
	ds_read2_b32 v[148:149], v148 offset1:1
	;; [unrolled: 1-line block ×3, first 2 shown]
	s_waitcnt lgkmcnt(3)
	v_dot4_i32_i8 v144, v144, v132, 0
	v_dot4_i32_i8 v136, v136, v124, 0
	;; [unrolled: 1-line block ×7, first 2 shown]
	s_waitcnt lgkmcnt(1)
	v_dot4_i32_i8 v142, v148, v128, 0
	v_dot4_i32_i8 v170, v153, v127, v136
	;; [unrolled: 1-line block ×9, first 2 shown]
	v_add_u32_e32 v136, 0x6190, v30
	v_add_u32_e32 v138, 0x6188, v30
	;; [unrolled: 1-line block ×5, first 2 shown]
	ds_read2_b32 v[136:137], v136 offset1:1
	ds_read2_b32 v[138:139], v138 offset1:1
	;; [unrolled: 1-line block ×5, first 2 shown]
	v_add_u32_e32 v146, 0x61a8, v30
	v_add_u32_e32 v148, 0x61a0, v30
	;; [unrolled: 1-line block ×3, first 2 shown]
	ds_read2_b32 v[146:147], v146 offset1:1
	ds_read2_b32 v[148:149], v148 offset1:1
	;; [unrolled: 1-line block ×3, first 2 shown]
	s_waitcnt lgkmcnt(3)
	v_dot4_i32_i8 v132, v144, v132, 0
	v_dot4_i32_i8 v124, v136, v124, 0
	v_dot4_i32_i8 v120, v140, v120, 0
	s_waitcnt lgkmcnt(1)
	v_dot4_i32_i8 v128, v148, v128, 0
	v_dot4_i32_i8 v132, v145, v133, v132
	;; [unrolled: 1-line block ×13, first 2 shown]
	ds_read_b128 v[120:123], v26 offset:80
	ds_read_b128 v[124:127], v26 offset:64
	;; [unrolled: 1-line block ×4, first 2 shown]
	ds_read2_b32 v[136:137], v30 offset0:30 offset1:31
	ds_read2_b32 v[138:139], v30 offset0:28 offset1:29
	ds_read2_b32 v[140:141], v30 offset0:22 offset1:23
	ds_read2_b32 v[142:143], v30 offset0:20 offset1:21
	ds_read2_b32 v[144:145], v30 offset0:18 offset1:19
	ds_read2_b32 v[146:147], v30 offset0:16 offset1:17
	ds_read2_b32 v[148:149], v30 offset0:26 offset1:27
	s_waitcnt lgkmcnt(5)
	v_dot4_i32_i8 v138, v138, v128, 0
	v_dot4_i32_i8 v138, v139, v129, v138
	;; [unrolled: 1-line block ×4, first 2 shown]
	s_waitcnt lgkmcnt(3)
	v_dot4_i32_i8 v136, v142, v120, 0
	v_dot4_i32_i8 v136, v143, v121, v136
	;; [unrolled: 1-line block ×4, first 2 shown]
	s_waitcnt lgkmcnt(1)
	v_dot4_i32_i8 v136, v146, v124, 0
	v_dot4_i32_i8 v136, v147, v125, v136
	;; [unrolled: 1-line block ×3, first 2 shown]
	v_add_u32_e32 v140, 0x61d0, v30
	v_add_u32_e32 v142, 0x61c8, v30
	;; [unrolled: 1-line block ×5, first 2 shown]
	v_dot4_i32_i8 v178, v145, v127, v136
	ds_read_b128 v[136:139], v1 offset:36944
	ds_read2_b32 v[140:141], v140 offset1:1
	ds_read2_b32 v[142:143], v142 offset1:1
	;; [unrolled: 1-line block ×5, first 2 shown]
	v_add_u32_e32 v154, 0x61e8, v30
	v_add_u32_e32 v156, 0x61e0, v30
	;; [unrolled: 1-line block ×3, first 2 shown]
	ds_read2_b32 v[154:155], v154 offset1:1
	ds_read2_b32 v[156:157], v156 offset1:1
	;; [unrolled: 1-line block ×3, first 2 shown]
	s_waitcnt lgkmcnt(3)
	v_dot4_i32_i8 v150, v150, v128, 0
	v_dot4_i32_i8 v150, v151, v129, v150
	v_dot4_i32_i8 v146, v146, v130, v150
	v_dot4_i32_i8 v150, v147, v131, v146
	s_waitcnt lgkmcnt(1)
	v_dot4_i32_i8 v146, v156, v132, 0
	v_dot4_i32_i8 v151, v157, v133, v146
	ds_read_b32 v179, v36 offset:256
	ds_read2_b32 v[146:147], v37 offset1:1
	v_dot4_i32_i8 v140, v140, v120, 0
	v_dot4_i32_i8 v140, v141, v121, v140
	;; [unrolled: 1-line block ×4, first 2 shown]
	s_waitcnt lgkmcnt(0)
	v_bfe_i32 v141, v146, 8, 8
	v_bfe_i32 v152, v147, 8, 8
	v_mul_lo_u32 v140, v140, v152
	v_mul_lo_u32 v141, v174, v141
	v_dot4_i32_i8 v144, v144, v124, 0
	v_dot4_i32_i8 v144, v145, v125, v144
	v_dot4_i32_i8 v142, v142, v126, v144
	v_dot4_i32_i8 v142, v143, v127, v142
	v_bfe_i32 v143, v147, 0, 8
	v_mad_u64_u32 v[142:143], s[4:5], v142, v143, v[140:141]
	v_bfe_i32 v144, v146, 0, 8
	v_add_u32_e32 v156, 0x20e0, v30
	v_mad_u64_u32 v[140:141], s[4:5], v175, v144, v[141:142]
	v_dot4_i32_i8 v141, v154, v134, v151
	v_dot4_i32_i8 v143, v155, v135, v141
	v_cvt_f32_i32_e32 v151, v140
	v_ashrrev_i32_e32 v140, 24, v147
	v_ashrrev_i32_e32 v141, 24, v146
	v_mul_lo_u32 v140, v150, v140
	v_mul_lo_u32 v141, v172, v141
	v_cvt_f32_i32_e32 v145, v142
	v_bfe_i32 v142, v147, 16, 8
	v_bfe_i32 v144, v146, 16, 8
	v_mad_u64_u32 v[142:143], s[4:5], v143, v142, v[140:141]
	v_fma_f32 v146, v136, v151, 0
	v_fma_f32 v172, v138, v145, 0
	v_mad_u64_u32 v[140:141], s[4:5], v173, v144, v[141:142]
	ds_read2_b32 v[143:144], v29 offset1:1
	v_cvt_f32_i32_e32 v142, v142
	v_cvt_f32_i32_e32 v147, v140
	ds_read2_b32 v[140:141], v30 offset0:24 offset1:25
	v_add_u32_e32 v150, 0x20f8, v30
	v_fmac_f32_e32 v172, v139, v142
	v_fmac_f32_e32 v146, v137, v147
	s_waitcnt lgkmcnt(1)
	v_bfe_i32 v142, v143, 0, 8
	s_waitcnt lgkmcnt(0)
	v_dot4_i32_i8 v140, v140, v132, 0
	v_dot4_i32_i8 v140, v141, v133, v140
	v_bfe_i32 v141, v143, 8, 8
	v_mul_lo_u32 v141, v162, v141
	v_dot4_i32_i8 v140, v148, v134, v140
	v_dot4_i32_i8 v147, v149, v135, v140
	v_bfe_i32 v140, v144, 8, 8
	v_mul_lo_u32 v140, v177, v140
	v_mad_u64_u32 v[141:142], s[4:5], v163, v142, v[141:142]
	v_bfe_i32 v145, v144, 0, 8
	v_fmac_f32_e32 v20, v118, v146
	v_mad_u64_u32 v[145:146], s[4:5], v178, v145, v[140:141]
	v_ashrrev_i32_e32 v140, 24, v144
	v_mul_lo_u32 v140, v176, v140
	v_bfe_i32 v148, v144, 16, 8
	v_ashrrev_i32_e32 v142, 24, v143
	v_bfe_i32 v146, v143, 16, 8
	v_mul_lo_u32 v142, v160, v142
	v_mad_u64_u32 v[143:144], s[4:5], v147, v148, v[140:141]
	v_cvt_f32_i32_e32 v140, v141
	v_cvt_f32_i32_e32 v141, v145
	v_mad_u64_u32 v[146:147], s[4:5], v161, v146, v[142:143]
	v_cvt_f32_i32_e32 v142, v143
	v_fma_f32 v144, v136, v140, 0
	v_cvt_f32_i32_e32 v143, v146
	v_fma_f32 v145, v138, v141, 0
	v_fmac_f32_e32 v145, v139, v142
	v_add_u32_e32 v146, 0x20c8, v30
	v_fmac_f32_e32 v144, v137, v143
	v_fmac_f32_e32 v22, v119, v144
	;; [unrolled: 1-line block ×3, first 2 shown]
	v_add_u32_e32 v119, 0x20d0, v30
	v_add_u32_e32 v148, 0x20c0, v30
	ds_read_b32 v162, v34 offset:128
	ds_read2_b32 v[140:141], v35 offset1:1
	ds_read2_b32 v[142:143], v33 offset1:1
	;; [unrolled: 1-line block ×6, first 2 shown]
	v_add_u32_e32 v119, 0x20f0, v30
	ds_read2_b32 v[152:153], v119 offset1:1
	v_add_u32_e32 v119, 0x20e8, v30
	v_add_u32_e32 v160, 0x4158, v30
	ds_read2_b32 v[154:155], v119 offset1:1
	ds_read2_b32 v[156:157], v156 offset1:1
	;; [unrolled: 1-line block ×3, first 2 shown]
	v_fmac_f32_e32 v20, v118, v172
	s_waitcnt lgkmcnt(3)
	v_dot4_i32_i8 v119, v152, v128, 0
	v_dot4_i32_i8 v119, v153, v129, v119
	;; [unrolled: 1-line block ×4, first 2 shown]
	s_waitcnt lgkmcnt(1)
	v_dot4_i32_i8 v119, v156, v132, 0
	v_dot4_i32_i8 v119, v157, v133, v119
	;; [unrolled: 1-line block ×11, first 2 shown]
	v_bfe_i32 v144, v142, 8, 8
	v_dot4_i32_i8 v119, v159, v123, v119
	v_bfe_i32 v145, v143, 8, 8
	v_mul_lo_u32 v144, v166, v144
	v_mul_lo_u32 v119, v119, v145
	v_bfe_i32 v145, v142, 0, 8
	v_bfe_i32 v147, v143, 0, 8
	v_mad_u64_u32 v[144:145], s[4:5], v167, v145, v[144:145]
	v_bfe_i32 v148, v142, 16, 8
	v_ashrrev_i32_e32 v142, 24, v142
	v_mad_u64_u32 v[145:146], s[4:5], v146, v147, v[119:120]
	v_ashrrev_i32_e32 v119, 24, v143
	v_mul_lo_u32 v142, v164, v142
	v_mul_lo_u32 v119, v150, v119
	v_bfe_i32 v146, v143, 16, 8
	v_add_u32_e32 v154, 0x4160, v30
	v_mad_u64_u32 v[142:143], s[4:5], v165, v148, v[142:143]
	v_mad_u64_u32 v[146:147], s[4:5], v151, v146, v[119:120]
	v_cvt_f32_i32_e32 v119, v144
	v_cvt_f32_i32_e32 v143, v145
	;; [unrolled: 1-line block ×4, first 2 shown]
	v_fma_f32 v119, v136, v119, 0
	v_fma_f32 v143, v138, v143, 0
	v_fmac_f32_e32 v119, v137, v142
	v_fmac_f32_e32 v143, v139, v144
	;; [unrolled: 1-line block ×3, first 2 shown]
	v_add_u32_e32 v119, 0x4150, v30
	v_add_u32_e32 v144, 0x4148, v30
	;; [unrolled: 1-line block ×4, first 2 shown]
	v_fmac_f32_e32 v108, v162, v143
	ds_read2_b32 v[142:143], v119 offset1:1
	ds_read2_b32 v[144:145], v144 offset1:1
	ds_read2_b32 v[146:147], v146 offset1:1
	ds_read2_b32 v[148:149], v148 offset1:1
	v_add_u32_e32 v119, 0x4170, v30
	ds_read2_b32 v[150:151], v119 offset1:1
	v_add_u32_e32 v119, 0x4168, v30
	ds_read2_b32 v[152:153], v119 offset1:1
	ds_read2_b32 v[154:155], v154 offset1:1
	s_cmp_ge_i32 s10, s9
	s_waitcnt lgkmcnt(0)
	v_dot4_i32_i8 v119, v150, v128, 0
	v_dot4_i32_i8 v119, v151, v129, v119
	;; [unrolled: 1-line block ×15, first 2 shown]
	v_bfe_i32 v120, v140, 8, 8
	v_mul_lo_u32 v120, v170, v120
	v_dot4_i32_i8 v119, v161, v123, v119
	v_bfe_i32 v121, v141, 8, 8
	v_mul_lo_u32 v119, v119, v121
	v_bfe_i32 v121, v140, 0, 8
	v_mad_u64_u32 v[120:121], s[4:5], v171, v121, v[120:121]
	v_bfe_i32 v123, v141, 0, 8
	v_bfe_i32 v125, v140, 16, 8
	v_mad_u64_u32 v[121:122], s[4:5], v122, v123, v[119:120]
	v_ashrrev_i32_e32 v119, 24, v141
	v_mul_lo_u32 v119, v128, v119
	v_bfe_i32 v123, v141, 16, 8
	v_ashrrev_i32_e32 v122, 24, v140
	v_mul_lo_u32 v122, v168, v122
	v_mad_u64_u32 v[123:124], s[4:5], v129, v123, v[119:120]
	v_cvt_f32_i32_e32 v119, v120
	v_cvt_f32_i32_e32 v120, v121
	v_mad_u64_u32 v[124:125], s[4:5], v169, v125, v[122:123]
	v_cvt_f32_i32_e32 v121, v123
	v_fma_f32 v119, v136, v119, 0
	v_cvt_f32_i32_e32 v122, v124
	v_fma_f32 v120, v138, v120, 0
	v_fmac_f32_e32 v120, v139, v121
	s_barrier
	v_fmac_f32_e32 v119, v137, v122
	v_fmac_f32_e32 v104, v179, v119
	v_fmac_f32_e32 v104, v179, v120
	s_cbranch_scc1 .LBB236_5
; %bb.12:                               ;   in Loop: Header=BB236_6 Depth=1
	v_cmp_gt_i32_e32 vcc, s12, v32
	s_and_b64 s[24:25], s[2:3], vcc
	s_and_saveexec_b64 s[4:5], s[24:25]
	s_cbranch_execz .LBB236_14
; %bb.13:                               ;   in Loop: Header=BB236_6 Depth=1
	v_add_u32_e32 v118, v39, v32
	v_mad_i64_i32 v[118:119], s[24:25], v118, 36, v[18:19]
	global_load_dword v118, v[118:119], off offset:4
	s_waitcnt vmcnt(0)
	ds_write_b32 v27, v118
.LBB236_14:                             ;   in Loop: Header=BB236_6 Depth=1
	s_or_b64 exec, exec, s[4:5]
	s_and_saveexec_b64 s[4:5], s[0:1]
	s_cbranch_execz .LBB236_4
; %bb.15:                               ;   in Loop: Header=BB236_6 Depth=1
	v_add_u32_e32 v118, 4, v117
	v_cmp_gt_i32_e32 vcc, s12, v118
	s_and_b64 s[24:25], s[2:3], vcc
	s_and_b64 exec, exec, s[24:25]
	s_cbranch_execz .LBB236_4
; %bb.16:                               ;   in Loop: Header=BB236_6 Depth=1
	v_ashrrev_i32_e32 v118, 31, v117
	v_add_co_u32_e32 v119, vcc, v39, v117
	v_addc_co_u32_e32 v120, vcc, v40, v118, vcc
	v_mad_u64_u32 v[118:119], s[24:25], v119, 36, s[6:7]
	v_mad_i32_i24 v119, v120, 36, v119
	global_load_dword v118, v[118:119], off offset:144
	v_add_u32_e32 v119, v25, v1
	s_waitcnt vmcnt(0)
	v_cvt_f32_f16_e32 v118, v118
	ds_write_b32 v119, v118
	s_branch .LBB236_4
.LBB236_17:
	s_mul_i32 s0, s14, s11
	s_waitcnt vmcnt(0)
	v_cmp_gt_i32_e32 vcc, s0, v21
	s_and_saveexec_b64 s[0:1], vcc
	s_cbranch_execz .LBB236_26
; %bb.18:
	v_mul_lo_u32 v1, v21, s13
	v_add_u32_e32 v0, s15, v0
	v_cmp_gt_u32_e32 vcc, s13, v0
	s_and_saveexec_b64 s[0:1], vcc
	s_cbranch_execz .LBB236_20
; %bb.19:
	v_bfe_u32 v2, v22, 16, 1
	s_movk_i32 s2, 0x7fff
	v_add3_u32 v2, v22, v2, s2
	v_cmp_o_f32_e32 vcc, v22, v22
	v_mov_b32_e32 v3, 0x7fc0
	v_cndmask_b32_sdwa v4, v3, v2, vcc dst_sel:DWORD dst_unused:UNUSED_PAD src0_sel:DWORD src1_sel:WORD_1
	v_add_u32_e32 v2, v1, v0
	v_mov_b32_e32 v3, 0
	v_lshlrev_b64 v[2:3], 1, v[2:3]
	v_mov_b32_e32 v5, s17
	v_add_co_u32_e32 v2, vcc, s16, v2
	v_addc_co_u32_e32 v3, vcc, v5, v3, vcc
	global_store_short v[2:3], v4, off
.LBB236_20:
	s_or_b64 exec, exec, s[0:1]
	v_add_u32_e32 v2, 32, v0
	v_cmp_gt_u32_e32 vcc, s13, v2
	s_and_saveexec_b64 s[0:1], vcc
	s_cbranch_execz .LBB236_22
; %bb.21:
	v_bfe_u32 v3, v108, 16, 1
	s_movk_i32 s2, 0x7fff
	v_add3_u32 v3, v108, v3, s2
	v_cmp_o_f32_e32 vcc, v108, v108
	v_mov_b32_e32 v4, 0x7fc0
	v_cndmask_b32_sdwa v4, v4, v3, vcc dst_sel:DWORD dst_unused:UNUSED_PAD src0_sel:DWORD src1_sel:WORD_1
	v_add_u32_e32 v2, v1, v2
	v_mov_b32_e32 v3, 0
	v_lshlrev_b64 v[2:3], 1, v[2:3]
	v_mov_b32_e32 v5, s17
	v_add_co_u32_e32 v2, vcc, s16, v2
	v_addc_co_u32_e32 v3, vcc, v5, v3, vcc
	global_store_short v[2:3], v4, off
.LBB236_22:
	s_or_b64 exec, exec, s[0:1]
	;; [unrolled: 20-line block ×3, first 2 shown]
	v_add_u32_e32 v0, 0x60, v0
	v_cmp_gt_u32_e32 vcc, s13, v0
	s_and_b64 exec, exec, vcc
	s_cbranch_execz .LBB236_26
; %bb.25:
	v_add_u32_e32 v0, v1, v0
	v_mov_b32_e32 v1, 0
	v_bfe_u32 v2, v20, 16, 1
	s_movk_i32 s0, 0x7fff
	v_lshlrev_b64 v[0:1], 1, v[0:1]
	v_add3_u32 v2, v20, v2, s0
	v_cmp_o_f32_e32 vcc, v20, v20
	v_mov_b32_e32 v3, 0x7fc0
	v_cndmask_b32_sdwa v2, v3, v2, vcc dst_sel:DWORD dst_unused:UNUSED_PAD src0_sel:DWORD src1_sel:WORD_1
	v_mov_b32_e32 v3, s17
	v_add_co_u32_e32 v0, vcc, s16, v0
	v_addc_co_u32_e32 v1, vcc, v3, v1, vcc
	global_store_short v[0:1], v2, off
.LBB236_26:
	s_endpgm
	.section	.rodata,"a",@progbits
	.p2align	6, 0x0
	.amdhsa_kernel _ZL8moe_q6_KIN3c108BFloat16ELb1EEvPKvS3_PT_PKiS7_S7_iiiiiii
		.amdhsa_group_segment_fixed_size 37072
		.amdhsa_private_segment_fixed_size 0
		.amdhsa_kernarg_size 76
		.amdhsa_user_sgpr_count 6
		.amdhsa_user_sgpr_private_segment_buffer 1
		.amdhsa_user_sgpr_dispatch_ptr 0
		.amdhsa_user_sgpr_queue_ptr 0
		.amdhsa_user_sgpr_kernarg_segment_ptr 1
		.amdhsa_user_sgpr_dispatch_id 0
		.amdhsa_user_sgpr_flat_scratch_init 0
		.amdhsa_user_sgpr_private_segment_size 0
		.amdhsa_uses_dynamic_stack 0
		.amdhsa_system_sgpr_private_segment_wavefront_offset 0
		.amdhsa_system_sgpr_workgroup_id_x 1
		.amdhsa_system_sgpr_workgroup_id_y 1
		.amdhsa_system_sgpr_workgroup_id_z 0
		.amdhsa_system_sgpr_workgroup_info 0
		.amdhsa_system_vgpr_workitem_id 1
		.amdhsa_next_free_vgpr 180
		.amdhsa_next_free_sgpr 98
		.amdhsa_reserve_vcc 1
		.amdhsa_reserve_flat_scratch 0
		.amdhsa_float_round_mode_32 0
		.amdhsa_float_round_mode_16_64 0
		.amdhsa_float_denorm_mode_32 3
		.amdhsa_float_denorm_mode_16_64 3
		.amdhsa_dx10_clamp 1
		.amdhsa_ieee_mode 1
		.amdhsa_fp16_overflow 0
		.amdhsa_exception_fp_ieee_invalid_op 0
		.amdhsa_exception_fp_denorm_src 0
		.amdhsa_exception_fp_ieee_div_zero 0
		.amdhsa_exception_fp_ieee_overflow 0
		.amdhsa_exception_fp_ieee_underflow 0
		.amdhsa_exception_fp_ieee_inexact 0
		.amdhsa_exception_int_div_zero 0
	.end_amdhsa_kernel
	.section	.text._ZL8moe_q6_KIN3c108BFloat16ELb1EEvPKvS3_PT_PKiS7_S7_iiiiiii,"axG",@progbits,_ZL8moe_q6_KIN3c108BFloat16ELb1EEvPKvS3_PT_PKiS7_S7_iiiiiii,comdat
.Lfunc_end236:
	.size	_ZL8moe_q6_KIN3c108BFloat16ELb1EEvPKvS3_PT_PKiS7_S7_iiiiiii, .Lfunc_end236-_ZL8moe_q6_KIN3c108BFloat16ELb1EEvPKvS3_PT_PKiS7_S7_iiiiiii
                                        ; -- End function
	.set _ZL8moe_q6_KIN3c108BFloat16ELb1EEvPKvS3_PT_PKiS7_S7_iiiiiii.num_vgpr, 180
	.set _ZL8moe_q6_KIN3c108BFloat16ELb1EEvPKvS3_PT_PKiS7_S7_iiiiiii.num_agpr, 0
	.set _ZL8moe_q6_KIN3c108BFloat16ELb1EEvPKvS3_PT_PKiS7_S7_iiiiiii.numbered_sgpr, 28
	.set _ZL8moe_q6_KIN3c108BFloat16ELb1EEvPKvS3_PT_PKiS7_S7_iiiiiii.num_named_barrier, 0
	.set _ZL8moe_q6_KIN3c108BFloat16ELb1EEvPKvS3_PT_PKiS7_S7_iiiiiii.private_seg_size, 0
	.set _ZL8moe_q6_KIN3c108BFloat16ELb1EEvPKvS3_PT_PKiS7_S7_iiiiiii.uses_vcc, 1
	.set _ZL8moe_q6_KIN3c108BFloat16ELb1EEvPKvS3_PT_PKiS7_S7_iiiiiii.uses_flat_scratch, 0
	.set _ZL8moe_q6_KIN3c108BFloat16ELb1EEvPKvS3_PT_PKiS7_S7_iiiiiii.has_dyn_sized_stack, 0
	.set _ZL8moe_q6_KIN3c108BFloat16ELb1EEvPKvS3_PT_PKiS7_S7_iiiiiii.has_recursion, 0
	.set _ZL8moe_q6_KIN3c108BFloat16ELb1EEvPKvS3_PT_PKiS7_S7_iiiiiii.has_indirect_call, 0
	.section	.AMDGPU.csdata,"",@progbits
; Kernel info:
; codeLenInByte = 13276
; TotalNumSgprs: 32
; NumVgprs: 180
; ScratchSize: 0
; MemoryBound: 0
; FloatMode: 240
; IeeeMode: 1
; LDSByteSize: 37072 bytes/workgroup (compile time only)
; SGPRBlocks: 12
; VGPRBlocks: 44
; NumSGPRsForWavesPerEU: 102
; NumVGPRsForWavesPerEU: 180
; Occupancy: 1
; WaveLimiterHint : 1
; COMPUTE_PGM_RSRC2:SCRATCH_EN: 0
; COMPUTE_PGM_RSRC2:USER_SGPR: 6
; COMPUTE_PGM_RSRC2:TRAP_HANDLER: 0
; COMPUTE_PGM_RSRC2:TGID_X_EN: 1
; COMPUTE_PGM_RSRC2:TGID_Y_EN: 1
; COMPUTE_PGM_RSRC2:TGID_Z_EN: 0
; COMPUTE_PGM_RSRC2:TIDIG_COMP_CNT: 1
	.section	.text._ZL9moe_vec_qIfLi32ELi4E10block_q4_0Li2EXadL_ZL17vec_dot_q4_0_q8_1PKvPK10block_q8_1RKiEEEvS2_S2_PT_PS6_iiii,"axG",@progbits,_ZL9moe_vec_qIfLi32ELi4E10block_q4_0Li2EXadL_ZL17vec_dot_q4_0_q8_1PKvPK10block_q8_1RKiEEEvS2_S2_PT_PS6_iiii,comdat
	.globl	_ZL9moe_vec_qIfLi32ELi4E10block_q4_0Li2EXadL_ZL17vec_dot_q4_0_q8_1PKvPK10block_q8_1RKiEEEvS2_S2_PT_PS6_iiii ; -- Begin function _ZL9moe_vec_qIfLi32ELi4E10block_q4_0Li2EXadL_ZL17vec_dot_q4_0_q8_1PKvPK10block_q8_1RKiEEEvS2_S2_PT_PS6_iiii
	.p2align	8
	.type	_ZL9moe_vec_qIfLi32ELi4E10block_q4_0Li2EXadL_ZL17vec_dot_q4_0_q8_1PKvPK10block_q8_1RKiEEEvS2_S2_PT_PS6_iiii,@function
_ZL9moe_vec_qIfLi32ELi4E10block_q4_0Li2EXadL_ZL17vec_dot_q4_0_q8_1PKvPK10block_q8_1RKiEEEvS2_S2_PT_PS6_iiii: ; @_ZL9moe_vec_qIfLi32ELi4E10block_q4_0Li2EXadL_ZL17vec_dot_q4_0_q8_1PKvPK10block_q8_1RKiEEEvS2_S2_PT_PS6_iiii
; %bb.0:
	s_mov_b32 s8, s7
	s_load_dword s7, s[4:5], 0x3c
	s_load_dwordx4 s[0:3], s[4:5], 0x20
	s_waitcnt lgkmcnt(0)
	s_lshr_b32 s7, s7, 16
	s_mul_i32 s6, s6, s7
	v_add_u32_e32 v1, s6, v1
	v_cmp_gt_u32_e32 vcc, s2, v1
	s_and_saveexec_b64 s[6:7], vcc
	s_cbranch_execz .LBB237_7
; %bb.1:
	v_cvt_f32_u32_e32 v2, s0
	s_load_dwordx2 s[6:7], s[4:5], 0x10
	s_ashr_i32 s9, s1, 31
	s_lshr_b32 s9, s9, 27
	v_rcp_iflag_f32_e32 v3, v2
	s_add_i32 s1, s1, s9
	v_lshrrev_b32_e32 v2, 1, v0
	s_ashr_i32 s14, s1, 5
	v_mul_f32_e32 v3, 0x4f7ffffe, v3
	v_cvt_u32_f32_e32 v3, v3
	v_cmp_gt_u32_e32 vcc, s14, v2
	v_readfirstlane_b32 s1, v3
	v_mov_b32_e32 v3, 0
	s_and_saveexec_b64 s[10:11], vcc
	s_cbranch_execz .LBB237_5
; %bb.2:
	s_sub_i32 s12, 0, s0
	s_mul_i32 s15, s12, s1
	s_load_dwordx4 s[16:19], s[4:5], 0x0
	s_load_dwordx2 s[12:13], s[4:5], 0x18
	s_mov_b32 s9, 0
	s_mul_hi_u32 s4, s1, s15
	s_add_i32 s1, s1, s4
	s_lshl_b64 s[4:5], s[8:9], 2
	s_waitcnt lgkmcnt(0)
	s_add_u32 s4, s12, s4
	s_mul_hi_u32 s1, s8, s1
	s_addc_u32 s5, s13, s5
	s_load_dword s4, s[4:5], 0x0
	s_mul_i32 s5, s1, s0
	s_sub_i32 s5, s8, s5
	s_add_i32 s12, s1, 1
	s_sub_i32 s13, s5, s0
	s_cmp_ge_u32 s5, s0
	s_cselect_b32 s1, s12, s1
	s_cselect_b32 s5, s13, s5
	s_add_i32 s12, s1, 1
	s_cmp_ge_u32 s5, s0
	s_mul_i32 s0, s14, s2
	s_waitcnt lgkmcnt(0)
	s_mul_i32 s0, s0, s4
	s_cselect_b32 s5, s12, s1
	s_mul_hi_i32 s1, s0, 18
	s_mul_i32 s0, s0, 18
	s_add_u32 s0, s16, s0
	s_mul_i32 s4, s5, s3
	s_mov_b32 s5, s9
	v_mul_lo_u32 v4, v1, s14
	s_addc_u32 s1, s17, s1
	s_lshl_b64 s[4:5], s[4:5], 2
	s_add_u32 s4, s18, s4
	v_lshlrev_b32_e32 v3, 3, v0
	s_addc_u32 s5, s19, s5
	v_and_b32_e32 v5, 8, v3
	v_mov_b32_e32 v3, 0
	s_mov_b64 s[12:13], 0
.LBB237_3:                              ; =>This Inner Loop Header: Depth=1
	v_mad_i64_i32 v[6:7], s[16:17], v2, 36, s[4:5]
	v_add_u32_e32 v8, v4, v2
	v_mad_i64_i32 v[8:9], s[16:17], v8, 18, s[0:1]
	v_add_co_u32_e32 v10, vcc, v6, v5
	v_addc_co_u32_e32 v11, vcc, 0, v7, vcc
	v_add_co_u32_e32 v12, vcc, v8, v5
	v_addc_co_u32_e32 v13, vcc, 0, v9, vcc
	global_load_dwordx2 v[14:15], v[10:11], off offset:4
	global_load_dwordx2 v[16:17], v[10:11], off offset:20
	;; [unrolled: 1-line block ×3, first 2 shown]
	global_load_dword v20, v[6:7], off
	global_load_ushort v21, v[8:9], off
	v_add_u32_e32 v2, 32, v2
	v_cmp_le_u32_e32 vcc, s14, v2
	s_or_b64 s[12:13], vcc, s[12:13]
	s_waitcnt vmcnt(2)
	v_and_b32_e32 v7, 0xf0f0f0f, v18
	v_lshrrev_b32_e32 v8, 4, v18
	v_and_b32_e32 v8, 0xf0f0f0f, v8
	v_dot4_i32_i8 v7, v7, v14, 0
	v_and_b32_e32 v9, 0xf0f0f0f, v19
	v_lshrrev_b32_e32 v10, 4, v19
	v_dot4_i32_i8 v7, v8, v16, v7
	v_and_b32_e32 v10, 0xf0f0f0f, v10
	v_dot4_i32_i8 v7, v9, v15, v7
	s_waitcnt vmcnt(1)
	v_cvt_f32_f16_sdwa v6, v20 dst_sel:DWORD dst_unused:UNUSED_PAD src0_sel:WORD_1
	v_dot4_i32_i8 v7, v10, v17, v7
	v_cvt_f32_i32_e32 v7, v7
	v_mul_f32_e32 v6, -4.0, v6
	v_fma_mix_f32 v6, v7, v20, v6 op_sel_hi:[0,1,0]
	s_waitcnt vmcnt(0)
	v_fma_mix_f32 v3, v6, v21, v3 op_sel_hi:[0,1,0]
	s_andn2_b64 exec, exec, s[12:13]
	s_cbranch_execnz .LBB237_3
; %bb.4:
	s_or_b64 exec, exec, s[12:13]
.LBB237_5:
	s_or_b64 exec, exec, s[10:11]
	v_mbcnt_lo_u32_b32 v2, -1, 0
	v_mbcnt_hi_u32_b32 v4, -1, v2
	v_and_b32_e32 v2, 64, v4
	v_add_u32_e32 v5, 64, v2
	v_xor_b32_e32 v2, 32, v4
	v_cmp_lt_i32_e32 vcc, v2, v5
	v_cndmask_b32_e32 v2, v4, v2, vcc
	v_lshlrev_b32_e32 v2, 2, v2
	ds_bpermute_b32 v2, v2, v3
	v_xor_b32_e32 v6, 16, v4
	v_cmp_lt_i32_e32 vcc, v6, v5
	s_waitcnt lgkmcnt(0)
	v_add_f32_e32 v2, v3, v2
	v_cndmask_b32_e32 v3, v4, v6, vcc
	v_lshlrev_b32_e32 v3, 2, v3
	ds_bpermute_b32 v3, v3, v2
	v_xor_b32_e32 v6, 8, v4
	v_cmp_lt_i32_e32 vcc, v6, v5
	s_waitcnt lgkmcnt(0)
	v_add_f32_e32 v2, v2, v3
	;; [unrolled: 7-line block ×5, first 2 shown]
	v_cndmask_b32_e32 v3, v4, v6, vcc
	v_lshlrev_b32_e32 v3, 2, v3
	ds_bpermute_b32 v3, v3, v2
	v_cmp_eq_u32_e32 vcc, 0, v0
	s_and_b64 exec, exec, vcc
	s_cbranch_execz .LBB237_7
; %bb.6:
	s_mul_i32 s0, s2, s8
	v_add_u32_e32 v0, s0, v1
	v_mov_b32_e32 v1, 0
	v_lshlrev_b64 v[0:1], 2, v[0:1]
	s_waitcnt lgkmcnt(0)
	v_add_f32_e32 v2, v2, v3
	v_mov_b32_e32 v3, s7
	v_add_co_u32_e32 v0, vcc, s6, v0
	v_addc_co_u32_e32 v1, vcc, v3, v1, vcc
	global_store_dword v[0:1], v2, off
.LBB237_7:
	s_endpgm
	.section	.rodata,"a",@progbits
	.p2align	6, 0x0
	.amdhsa_kernel _ZL9moe_vec_qIfLi32ELi4E10block_q4_0Li2EXadL_ZL17vec_dot_q4_0_q8_1PKvPK10block_q8_1RKiEEEvS2_S2_PT_PS6_iiii
		.amdhsa_group_segment_fixed_size 0
		.amdhsa_private_segment_fixed_size 0
		.amdhsa_kernarg_size 304
		.amdhsa_user_sgpr_count 6
		.amdhsa_user_sgpr_private_segment_buffer 1
		.amdhsa_user_sgpr_dispatch_ptr 0
		.amdhsa_user_sgpr_queue_ptr 0
		.amdhsa_user_sgpr_kernarg_segment_ptr 1
		.amdhsa_user_sgpr_dispatch_id 0
		.amdhsa_user_sgpr_flat_scratch_init 0
		.amdhsa_user_sgpr_private_segment_size 0
		.amdhsa_uses_dynamic_stack 0
		.amdhsa_system_sgpr_private_segment_wavefront_offset 0
		.amdhsa_system_sgpr_workgroup_id_x 1
		.amdhsa_system_sgpr_workgroup_id_y 0
		.amdhsa_system_sgpr_workgroup_id_z 1
		.amdhsa_system_sgpr_workgroup_info 0
		.amdhsa_system_vgpr_workitem_id 1
		.amdhsa_next_free_vgpr 22
		.amdhsa_next_free_sgpr 20
		.amdhsa_reserve_vcc 1
		.amdhsa_reserve_flat_scratch 0
		.amdhsa_float_round_mode_32 0
		.amdhsa_float_round_mode_16_64 0
		.amdhsa_float_denorm_mode_32 3
		.amdhsa_float_denorm_mode_16_64 3
		.amdhsa_dx10_clamp 1
		.amdhsa_ieee_mode 1
		.amdhsa_fp16_overflow 0
		.amdhsa_exception_fp_ieee_invalid_op 0
		.amdhsa_exception_fp_denorm_src 0
		.amdhsa_exception_fp_ieee_div_zero 0
		.amdhsa_exception_fp_ieee_overflow 0
		.amdhsa_exception_fp_ieee_underflow 0
		.amdhsa_exception_fp_ieee_inexact 0
		.amdhsa_exception_int_div_zero 0
	.end_amdhsa_kernel
	.section	.text._ZL9moe_vec_qIfLi32ELi4E10block_q4_0Li2EXadL_ZL17vec_dot_q4_0_q8_1PKvPK10block_q8_1RKiEEEvS2_S2_PT_PS6_iiii,"axG",@progbits,_ZL9moe_vec_qIfLi32ELi4E10block_q4_0Li2EXadL_ZL17vec_dot_q4_0_q8_1PKvPK10block_q8_1RKiEEEvS2_S2_PT_PS6_iiii,comdat
.Lfunc_end237:
	.size	_ZL9moe_vec_qIfLi32ELi4E10block_q4_0Li2EXadL_ZL17vec_dot_q4_0_q8_1PKvPK10block_q8_1RKiEEEvS2_S2_PT_PS6_iiii, .Lfunc_end237-_ZL9moe_vec_qIfLi32ELi4E10block_q4_0Li2EXadL_ZL17vec_dot_q4_0_q8_1PKvPK10block_q8_1RKiEEEvS2_S2_PT_PS6_iiii
                                        ; -- End function
	.set _ZL9moe_vec_qIfLi32ELi4E10block_q4_0Li2EXadL_ZL17vec_dot_q4_0_q8_1PKvPK10block_q8_1RKiEEEvS2_S2_PT_PS6_iiii.num_vgpr, 22
	.set _ZL9moe_vec_qIfLi32ELi4E10block_q4_0Li2EXadL_ZL17vec_dot_q4_0_q8_1PKvPK10block_q8_1RKiEEEvS2_S2_PT_PS6_iiii.num_agpr, 0
	.set _ZL9moe_vec_qIfLi32ELi4E10block_q4_0Li2EXadL_ZL17vec_dot_q4_0_q8_1PKvPK10block_q8_1RKiEEEvS2_S2_PT_PS6_iiii.numbered_sgpr, 20
	.set _ZL9moe_vec_qIfLi32ELi4E10block_q4_0Li2EXadL_ZL17vec_dot_q4_0_q8_1PKvPK10block_q8_1RKiEEEvS2_S2_PT_PS6_iiii.num_named_barrier, 0
	.set _ZL9moe_vec_qIfLi32ELi4E10block_q4_0Li2EXadL_ZL17vec_dot_q4_0_q8_1PKvPK10block_q8_1RKiEEEvS2_S2_PT_PS6_iiii.private_seg_size, 0
	.set _ZL9moe_vec_qIfLi32ELi4E10block_q4_0Li2EXadL_ZL17vec_dot_q4_0_q8_1PKvPK10block_q8_1RKiEEEvS2_S2_PT_PS6_iiii.uses_vcc, 1
	.set _ZL9moe_vec_qIfLi32ELi4E10block_q4_0Li2EXadL_ZL17vec_dot_q4_0_q8_1PKvPK10block_q8_1RKiEEEvS2_S2_PT_PS6_iiii.uses_flat_scratch, 0
	.set _ZL9moe_vec_qIfLi32ELi4E10block_q4_0Li2EXadL_ZL17vec_dot_q4_0_q8_1PKvPK10block_q8_1RKiEEEvS2_S2_PT_PS6_iiii.has_dyn_sized_stack, 0
	.set _ZL9moe_vec_qIfLi32ELi4E10block_q4_0Li2EXadL_ZL17vec_dot_q4_0_q8_1PKvPK10block_q8_1RKiEEEvS2_S2_PT_PS6_iiii.has_recursion, 0
	.set _ZL9moe_vec_qIfLi32ELi4E10block_q4_0Li2EXadL_ZL17vec_dot_q4_0_q8_1PKvPK10block_q8_1RKiEEEvS2_S2_PT_PS6_iiii.has_indirect_call, 0
	.section	.AMDGPU.csdata,"",@progbits
; Kernel info:
; codeLenInByte = 784
; TotalNumSgprs: 24
; NumVgprs: 22
; ScratchSize: 0
; MemoryBound: 0
; FloatMode: 240
; IeeeMode: 1
; LDSByteSize: 0 bytes/workgroup (compile time only)
; SGPRBlocks: 2
; VGPRBlocks: 5
; NumSGPRsForWavesPerEU: 24
; NumVGPRsForWavesPerEU: 22
; Occupancy: 10
; WaveLimiterHint : 1
; COMPUTE_PGM_RSRC2:SCRATCH_EN: 0
; COMPUTE_PGM_RSRC2:USER_SGPR: 6
; COMPUTE_PGM_RSRC2:TRAP_HANDLER: 0
; COMPUTE_PGM_RSRC2:TGID_X_EN: 1
; COMPUTE_PGM_RSRC2:TGID_Y_EN: 0
; COMPUTE_PGM_RSRC2:TGID_Z_EN: 1
; COMPUTE_PGM_RSRC2:TIDIG_COMP_CNT: 1
	.section	.text._ZL9moe_vec_qIfLi32ELi4E10block_q4_1Li2EXadL_ZL17vec_dot_q4_1_q8_1PKvPK10block_q8_1RKiEEEvS2_S2_PT_PS6_iiii,"axG",@progbits,_ZL9moe_vec_qIfLi32ELi4E10block_q4_1Li2EXadL_ZL17vec_dot_q4_1_q8_1PKvPK10block_q8_1RKiEEEvS2_S2_PT_PS6_iiii,comdat
	.globl	_ZL9moe_vec_qIfLi32ELi4E10block_q4_1Li2EXadL_ZL17vec_dot_q4_1_q8_1PKvPK10block_q8_1RKiEEEvS2_S2_PT_PS6_iiii ; -- Begin function _ZL9moe_vec_qIfLi32ELi4E10block_q4_1Li2EXadL_ZL17vec_dot_q4_1_q8_1PKvPK10block_q8_1RKiEEEvS2_S2_PT_PS6_iiii
	.p2align	8
	.type	_ZL9moe_vec_qIfLi32ELi4E10block_q4_1Li2EXadL_ZL17vec_dot_q4_1_q8_1PKvPK10block_q8_1RKiEEEvS2_S2_PT_PS6_iiii,@function
_ZL9moe_vec_qIfLi32ELi4E10block_q4_1Li2EXadL_ZL17vec_dot_q4_1_q8_1PKvPK10block_q8_1RKiEEEvS2_S2_PT_PS6_iiii: ; @_ZL9moe_vec_qIfLi32ELi4E10block_q4_1Li2EXadL_ZL17vec_dot_q4_1_q8_1PKvPK10block_q8_1RKiEEEvS2_S2_PT_PS6_iiii
; %bb.0:
	s_mov_b32 s8, s7
	s_load_dword s7, s[4:5], 0x3c
	s_load_dwordx4 s[0:3], s[4:5], 0x20
	s_waitcnt lgkmcnt(0)
	s_lshr_b32 s7, s7, 16
	s_mul_i32 s6, s6, s7
	v_add_u32_e32 v1, s6, v1
	v_cmp_gt_u32_e32 vcc, s2, v1
	s_and_saveexec_b64 s[6:7], vcc
	s_cbranch_execz .LBB238_7
; %bb.1:
	v_cvt_f32_u32_e32 v2, s0
	s_load_dwordx2 s[6:7], s[4:5], 0x10
	s_ashr_i32 s9, s1, 31
	s_lshr_b32 s9, s9, 27
	v_rcp_iflag_f32_e32 v3, v2
	s_add_i32 s1, s1, s9
	v_lshrrev_b32_e32 v2, 1, v0
	s_ashr_i32 s14, s1, 5
	v_mul_f32_e32 v3, 0x4f7ffffe, v3
	v_cvt_u32_f32_e32 v3, v3
	v_cmp_gt_u32_e32 vcc, s14, v2
	v_readfirstlane_b32 s1, v3
	v_mov_b32_e32 v3, 0
	s_and_saveexec_b64 s[10:11], vcc
	s_cbranch_execz .LBB238_5
; %bb.2:
	s_sub_i32 s12, 0, s0
	s_mul_i32 s15, s12, s1
	s_load_dwordx4 s[16:19], s[4:5], 0x0
	s_load_dwordx2 s[12:13], s[4:5], 0x18
	s_mov_b32 s9, 0
	s_mul_hi_u32 s4, s1, s15
	s_add_i32 s1, s1, s4
	s_lshl_b64 s[4:5], s[8:9], 2
	s_waitcnt lgkmcnt(0)
	s_add_u32 s4, s12, s4
	s_mul_hi_u32 s1, s8, s1
	s_addc_u32 s5, s13, s5
	s_load_dword s4, s[4:5], 0x0
	s_mul_i32 s5, s1, s0
	s_sub_i32 s5, s8, s5
	s_add_i32 s12, s1, 1
	s_sub_i32 s13, s5, s0
	s_cmp_ge_u32 s5, s0
	s_cselect_b32 s1, s12, s1
	s_cselect_b32 s5, s13, s5
	s_add_i32 s12, s1, 1
	s_cmp_ge_u32 s5, s0
	s_mul_i32 s0, s14, s2
	s_waitcnt lgkmcnt(0)
	s_mul_i32 s0, s0, s4
	s_cselect_b32 s5, s12, s1
	s_mul_hi_i32 s1, s0, 20
	s_mul_i32 s0, s0, 20
	s_add_u32 s0, s16, s0
	s_mul_i32 s4, s5, s3
	s_mov_b32 s5, s9
	v_mul_lo_u32 v4, v1, s14
	s_addc_u32 s1, s17, s1
	s_lshl_b64 s[4:5], s[4:5], 2
	s_add_u32 s4, s18, s4
	v_lshlrev_b32_e32 v3, 3, v0
	s_addc_u32 s5, s19, s5
	v_and_b32_e32 v5, 8, v3
	v_mov_b32_e32 v3, 0
	s_mov_b64 s[12:13], 0
.LBB238_3:                              ; =>This Inner Loop Header: Depth=1
	v_mad_i64_i32 v[6:7], s[16:17], v2, 36, s[4:5]
	v_add_u32_e32 v8, v4, v2
	v_mad_i64_i32 v[8:9], s[16:17], v8, 20, s[0:1]
	v_add_co_u32_e32 v10, vcc, v6, v5
	v_addc_co_u32_e32 v11, vcc, 0, v7, vcc
	global_load_dword v18, v[6:7], off
	v_add_co_u32_e32 v6, vcc, v8, v5
	v_addc_co_u32_e32 v7, vcc, 0, v9, vcc
	global_load_dwordx2 v[12:13], v[10:11], off offset:4
	global_load_dwordx2 v[14:15], v[10:11], off offset:20
	;; [unrolled: 1-line block ×3, first 2 shown]
	global_load_dword v19, v[8:9], off
	v_add_u32_e32 v2, 32, v2
	v_cmp_le_u32_e32 vcc, s14, v2
	s_or_b64 s[12:13], vcc, s[12:13]
	s_waitcnt vmcnt(1)
	v_and_b32_e32 v7, 0xf0f0f0f, v16
	v_lshrrev_b32_e32 v8, 4, v16
	v_and_b32_e32 v8, 0xf0f0f0f, v8
	v_dot4_i32_i8 v7, v7, v12, 0
	v_and_b32_e32 v9, 0xf0f0f0f, v17
	v_lshrrev_b32_e32 v10, 4, v17
	v_dot4_i32_i8 v7, v8, v14, v7
	s_waitcnt vmcnt(0)
	v_pk_mul_f16 v6, v19, v18
	v_and_b32_e32 v10, 0xf0f0f0f, v10
	v_dot4_i32_i8 v7, v9, v13, v7
	v_cvt_f32_f16_sdwa v11, v6 dst_sel:DWORD dst_unused:UNUSED_PAD src0_sel:WORD_1
	v_dot4_i32_i8 v7, v10, v15, v7
	v_cvt_f32_i32_e32 v7, v7
	v_mul_f32_e32 v8, 0.5, v11
	v_fma_mix_f32 v6, v7, v6, v8 op_sel_hi:[0,1,0]
	v_add_f32_e32 v3, v3, v6
	s_andn2_b64 exec, exec, s[12:13]
	s_cbranch_execnz .LBB238_3
; %bb.4:
	s_or_b64 exec, exec, s[12:13]
.LBB238_5:
	s_or_b64 exec, exec, s[10:11]
	v_mbcnt_lo_u32_b32 v2, -1, 0
	v_mbcnt_hi_u32_b32 v4, -1, v2
	v_and_b32_e32 v2, 64, v4
	v_add_u32_e32 v5, 64, v2
	v_xor_b32_e32 v2, 32, v4
	v_cmp_lt_i32_e32 vcc, v2, v5
	v_cndmask_b32_e32 v2, v4, v2, vcc
	v_lshlrev_b32_e32 v2, 2, v2
	ds_bpermute_b32 v2, v2, v3
	v_xor_b32_e32 v6, 16, v4
	v_cmp_lt_i32_e32 vcc, v6, v5
	s_waitcnt lgkmcnt(0)
	v_add_f32_e32 v2, v3, v2
	v_cndmask_b32_e32 v3, v4, v6, vcc
	v_lshlrev_b32_e32 v3, 2, v3
	ds_bpermute_b32 v3, v3, v2
	v_xor_b32_e32 v6, 8, v4
	v_cmp_lt_i32_e32 vcc, v6, v5
	s_waitcnt lgkmcnt(0)
	v_add_f32_e32 v2, v2, v3
	;; [unrolled: 7-line block ×5, first 2 shown]
	v_cndmask_b32_e32 v3, v4, v6, vcc
	v_lshlrev_b32_e32 v3, 2, v3
	ds_bpermute_b32 v3, v3, v2
	v_cmp_eq_u32_e32 vcc, 0, v0
	s_and_b64 exec, exec, vcc
	s_cbranch_execz .LBB238_7
; %bb.6:
	s_mul_i32 s0, s2, s8
	v_add_u32_e32 v0, s0, v1
	v_mov_b32_e32 v1, 0
	v_lshlrev_b64 v[0:1], 2, v[0:1]
	s_waitcnt lgkmcnt(0)
	v_add_f32_e32 v2, v2, v3
	v_mov_b32_e32 v3, s7
	v_add_co_u32_e32 v0, vcc, s6, v0
	v_addc_co_u32_e32 v1, vcc, v3, v1, vcc
	global_store_dword v[0:1], v2, off
.LBB238_7:
	s_endpgm
	.section	.rodata,"a",@progbits
	.p2align	6, 0x0
	.amdhsa_kernel _ZL9moe_vec_qIfLi32ELi4E10block_q4_1Li2EXadL_ZL17vec_dot_q4_1_q8_1PKvPK10block_q8_1RKiEEEvS2_S2_PT_PS6_iiii
		.amdhsa_group_segment_fixed_size 0
		.amdhsa_private_segment_fixed_size 0
		.amdhsa_kernarg_size 304
		.amdhsa_user_sgpr_count 6
		.amdhsa_user_sgpr_private_segment_buffer 1
		.amdhsa_user_sgpr_dispatch_ptr 0
		.amdhsa_user_sgpr_queue_ptr 0
		.amdhsa_user_sgpr_kernarg_segment_ptr 1
		.amdhsa_user_sgpr_dispatch_id 0
		.amdhsa_user_sgpr_flat_scratch_init 0
		.amdhsa_user_sgpr_private_segment_size 0
		.amdhsa_uses_dynamic_stack 0
		.amdhsa_system_sgpr_private_segment_wavefront_offset 0
		.amdhsa_system_sgpr_workgroup_id_x 1
		.amdhsa_system_sgpr_workgroup_id_y 0
		.amdhsa_system_sgpr_workgroup_id_z 1
		.amdhsa_system_sgpr_workgroup_info 0
		.amdhsa_system_vgpr_workitem_id 1
		.amdhsa_next_free_vgpr 20
		.amdhsa_next_free_sgpr 20
		.amdhsa_reserve_vcc 1
		.amdhsa_reserve_flat_scratch 0
		.amdhsa_float_round_mode_32 0
		.amdhsa_float_round_mode_16_64 0
		.amdhsa_float_denorm_mode_32 3
		.amdhsa_float_denorm_mode_16_64 3
		.amdhsa_dx10_clamp 1
		.amdhsa_ieee_mode 1
		.amdhsa_fp16_overflow 0
		.amdhsa_exception_fp_ieee_invalid_op 0
		.amdhsa_exception_fp_denorm_src 0
		.amdhsa_exception_fp_ieee_div_zero 0
		.amdhsa_exception_fp_ieee_overflow 0
		.amdhsa_exception_fp_ieee_underflow 0
		.amdhsa_exception_fp_ieee_inexact 0
		.amdhsa_exception_int_div_zero 0
	.end_amdhsa_kernel
	.section	.text._ZL9moe_vec_qIfLi32ELi4E10block_q4_1Li2EXadL_ZL17vec_dot_q4_1_q8_1PKvPK10block_q8_1RKiEEEvS2_S2_PT_PS6_iiii,"axG",@progbits,_ZL9moe_vec_qIfLi32ELi4E10block_q4_1Li2EXadL_ZL17vec_dot_q4_1_q8_1PKvPK10block_q8_1RKiEEEvS2_S2_PT_PS6_iiii,comdat
.Lfunc_end238:
	.size	_ZL9moe_vec_qIfLi32ELi4E10block_q4_1Li2EXadL_ZL17vec_dot_q4_1_q8_1PKvPK10block_q8_1RKiEEEvS2_S2_PT_PS6_iiii, .Lfunc_end238-_ZL9moe_vec_qIfLi32ELi4E10block_q4_1Li2EXadL_ZL17vec_dot_q4_1_q8_1PKvPK10block_q8_1RKiEEEvS2_S2_PT_PS6_iiii
                                        ; -- End function
	.set _ZL9moe_vec_qIfLi32ELi4E10block_q4_1Li2EXadL_ZL17vec_dot_q4_1_q8_1PKvPK10block_q8_1RKiEEEvS2_S2_PT_PS6_iiii.num_vgpr, 20
	.set _ZL9moe_vec_qIfLi32ELi4E10block_q4_1Li2EXadL_ZL17vec_dot_q4_1_q8_1PKvPK10block_q8_1RKiEEEvS2_S2_PT_PS6_iiii.num_agpr, 0
	.set _ZL9moe_vec_qIfLi32ELi4E10block_q4_1Li2EXadL_ZL17vec_dot_q4_1_q8_1PKvPK10block_q8_1RKiEEEvS2_S2_PT_PS6_iiii.numbered_sgpr, 20
	.set _ZL9moe_vec_qIfLi32ELi4E10block_q4_1Li2EXadL_ZL17vec_dot_q4_1_q8_1PKvPK10block_q8_1RKiEEEvS2_S2_PT_PS6_iiii.num_named_barrier, 0
	.set _ZL9moe_vec_qIfLi32ELi4E10block_q4_1Li2EXadL_ZL17vec_dot_q4_1_q8_1PKvPK10block_q8_1RKiEEEvS2_S2_PT_PS6_iiii.private_seg_size, 0
	.set _ZL9moe_vec_qIfLi32ELi4E10block_q4_1Li2EXadL_ZL17vec_dot_q4_1_q8_1PKvPK10block_q8_1RKiEEEvS2_S2_PT_PS6_iiii.uses_vcc, 1
	.set _ZL9moe_vec_qIfLi32ELi4E10block_q4_1Li2EXadL_ZL17vec_dot_q4_1_q8_1PKvPK10block_q8_1RKiEEEvS2_S2_PT_PS6_iiii.uses_flat_scratch, 0
	.set _ZL9moe_vec_qIfLi32ELi4E10block_q4_1Li2EXadL_ZL17vec_dot_q4_1_q8_1PKvPK10block_q8_1RKiEEEvS2_S2_PT_PS6_iiii.has_dyn_sized_stack, 0
	.set _ZL9moe_vec_qIfLi32ELi4E10block_q4_1Li2EXadL_ZL17vec_dot_q4_1_q8_1PKvPK10block_q8_1RKiEEEvS2_S2_PT_PS6_iiii.has_recursion, 0
	.set _ZL9moe_vec_qIfLi32ELi4E10block_q4_1Li2EXadL_ZL17vec_dot_q4_1_q8_1PKvPK10block_q8_1RKiEEEvS2_S2_PT_PS6_iiii.has_indirect_call, 0
	.section	.AMDGPU.csdata,"",@progbits
; Kernel info:
; codeLenInByte = 784
; TotalNumSgprs: 24
; NumVgprs: 20
; ScratchSize: 0
; MemoryBound: 0
; FloatMode: 240
; IeeeMode: 1
; LDSByteSize: 0 bytes/workgroup (compile time only)
; SGPRBlocks: 2
; VGPRBlocks: 4
; NumSGPRsForWavesPerEU: 24
; NumVGPRsForWavesPerEU: 20
; Occupancy: 10
; WaveLimiterHint : 1
; COMPUTE_PGM_RSRC2:SCRATCH_EN: 0
; COMPUTE_PGM_RSRC2:USER_SGPR: 6
; COMPUTE_PGM_RSRC2:TRAP_HANDLER: 0
; COMPUTE_PGM_RSRC2:TGID_X_EN: 1
; COMPUTE_PGM_RSRC2:TGID_Y_EN: 0
; COMPUTE_PGM_RSRC2:TGID_Z_EN: 1
; COMPUTE_PGM_RSRC2:TIDIG_COMP_CNT: 1
	.section	.text._ZL9moe_vec_qIfLi32ELi4E10block_q5_0Li2EXadL_ZL17vec_dot_q5_0_q8_1PKvPK10block_q8_1RKiEEEvS2_S2_PT_PS6_iiii,"axG",@progbits,_ZL9moe_vec_qIfLi32ELi4E10block_q5_0Li2EXadL_ZL17vec_dot_q5_0_q8_1PKvPK10block_q8_1RKiEEEvS2_S2_PT_PS6_iiii,comdat
	.globl	_ZL9moe_vec_qIfLi32ELi4E10block_q5_0Li2EXadL_ZL17vec_dot_q5_0_q8_1PKvPK10block_q8_1RKiEEEvS2_S2_PT_PS6_iiii ; -- Begin function _ZL9moe_vec_qIfLi32ELi4E10block_q5_0Li2EXadL_ZL17vec_dot_q5_0_q8_1PKvPK10block_q8_1RKiEEEvS2_S2_PT_PS6_iiii
	.p2align	8
	.type	_ZL9moe_vec_qIfLi32ELi4E10block_q5_0Li2EXadL_ZL17vec_dot_q5_0_q8_1PKvPK10block_q8_1RKiEEEvS2_S2_PT_PS6_iiii,@function
_ZL9moe_vec_qIfLi32ELi4E10block_q5_0Li2EXadL_ZL17vec_dot_q5_0_q8_1PKvPK10block_q8_1RKiEEEvS2_S2_PT_PS6_iiii: ; @_ZL9moe_vec_qIfLi32ELi4E10block_q5_0Li2EXadL_ZL17vec_dot_q5_0_q8_1PKvPK10block_q8_1RKiEEEvS2_S2_PT_PS6_iiii
; %bb.0:
	s_mov_b32 s8, s7
	s_load_dword s7, s[4:5], 0x3c
	s_load_dwordx4 s[0:3], s[4:5], 0x20
	s_waitcnt lgkmcnt(0)
	s_lshr_b32 s7, s7, 16
	s_mul_i32 s6, s6, s7
	v_add_u32_e32 v1, s6, v1
	v_cmp_gt_u32_e32 vcc, s2, v1
	s_and_saveexec_b64 s[6:7], vcc
	s_cbranch_execz .LBB239_7
; %bb.1:
	v_cvt_f32_u32_e32 v2, s0
	s_load_dwordx2 s[6:7], s[4:5], 0x10
	s_ashr_i32 s9, s1, 31
	s_lshr_b32 s9, s9, 27
	v_rcp_iflag_f32_e32 v3, v2
	s_add_i32 s1, s1, s9
	v_lshrrev_b32_e32 v2, 1, v0
	s_ashr_i32 s14, s1, 5
	v_mul_f32_e32 v3, 0x4f7ffffe, v3
	v_cvt_u32_f32_e32 v3, v3
	v_cmp_gt_u32_e32 vcc, s14, v2
	v_readfirstlane_b32 s1, v3
	v_mov_b32_e32 v3, 0
	s_and_saveexec_b64 s[10:11], vcc
	s_cbranch_execz .LBB239_5
; %bb.2:
	s_sub_i32 s12, 0, s0
	s_mul_i32 s15, s12, s1
	s_load_dwordx4 s[16:19], s[4:5], 0x0
	s_load_dwordx2 s[12:13], s[4:5], 0x18
	s_mov_b32 s9, 0
	s_mul_hi_u32 s4, s1, s15
	s_add_i32 s1, s1, s4
	s_lshl_b64 s[4:5], s[8:9], 2
	s_waitcnt lgkmcnt(0)
	s_add_u32 s4, s12, s4
	s_mul_hi_u32 s1, s8, s1
	s_addc_u32 s5, s13, s5
	s_load_dword s4, s[4:5], 0x0
	s_mul_i32 s5, s1, s0
	s_sub_i32 s5, s8, s5
	s_add_i32 s12, s1, 1
	s_sub_i32 s13, s5, s0
	s_cmp_ge_u32 s5, s0
	s_cselect_b32 s1, s12, s1
	s_cselect_b32 s5, s13, s5
	s_add_i32 s12, s1, 1
	s_cmp_ge_u32 s5, s0
	s_mul_i32 s0, s14, s2
	s_waitcnt lgkmcnt(0)
	s_mul_i32 s0, s0, s4
	s_cselect_b32 s5, s12, s1
	s_mul_hi_i32 s1, s0, 22
	s_mul_i32 s0, s0, 22
	s_add_u32 s0, s16, s0
	s_mul_i32 s4, s5, s3
	s_mov_b32 s5, s9
	v_mul_lo_u32 v4, v1, s14
	s_addc_u32 s1, s17, s1
	s_lshl_b64 s[4:5], s[4:5], 2
	v_lshlrev_b32_e32 v3, 3, v0
	s_add_u32 s4, s18, s4
	v_and_b32_e32 v5, 8, v3
	s_addc_u32 s5, s19, s5
	v_mov_b32_e32 v3, 0
	v_or_b32_e32 v6, 4, v5
	s_mov_b64 s[12:13], 0
.LBB239_3:                              ; =>This Inner Loop Header: Depth=1
	v_mad_i64_i32 v[7:8], s[16:17], v2, 36, s[4:5]
	v_add_u32_e32 v9, v4, v2
	v_mad_i64_i32 v[9:10], s[16:17], v9, 22, s[0:1]
	v_add_co_u32_e32 v11, vcc, v7, v5
	v_addc_co_u32_e32 v12, vcc, 0, v8, vcc
	v_add_co_u32_e32 v13, vcc, v9, v5
	v_addc_co_u32_e32 v14, vcc, 0, v10, vcc
	global_load_dword v17, v[9:10], off offset:2
	global_load_ushort v18, v[9:10], off
	global_load_dwordx2 v[15:16], v[13:14], off offset:6
	v_add_u32_e32 v2, 32, v2
	v_cmp_le_u32_e32 vcc, s14, v2
	s_or_b64 s[12:13], vcc, s[12:13]
	s_waitcnt vmcnt(2)
	v_ashrrev_i32_e32 v19, v5, v17
	v_lshlrev_b32_e32 v10, 4, v19
	v_lshlrev_b32_e32 v13, 11, v19
	v_lshrrev_b32_e32 v14, 12, v19
	v_lshrrev_b32_e32 v20, 5, v19
	v_lshlrev_b32_e32 v21, 2, v19
	v_ashrrev_i32_e32 v17, v6, v17
	s_waitcnt vmcnt(0)
	v_and_b32_e32 v9, 0xf0f0f0f, v15
	v_and_b32_e32 v10, 16, v10
	;; [unrolled: 1-line block ×6, first 2 shown]
	v_or3_b32 v9, v10, v9, v13
	v_lshlrev_b32_e32 v10, 4, v17
	v_lshlrev_b32_e32 v13, 11, v17
	v_or3_b32 v20, v20, v14, v21
	v_lshlrev_b32_e32 v14, 18, v17
	v_and_b32_e32 v10, 16, v10
	v_and_b32_e32 v13, 0x1000, v13
	;; [unrolled: 1-line block ×3, first 2 shown]
	v_lshrrev_b32_e32 v21, 12, v17
	v_or3_b32 v22, v13, v10, v14
	v_lshrrev_b32_e32 v10, 5, v17
	v_lshlrev_b32_e32 v13, 2, v17
	v_and_b32_e32 v14, 16, v21
	v_and_b32_e32 v10, 0x1000, v10
	;; [unrolled: 1-line block ×3, first 2 shown]
	v_or3_b32 v21, v10, v14, v13
	v_lshlrev_b32_e32 v10, 18, v19
	v_lshlrev_b32_e32 v13, 25, v19
	v_and_b32_e32 v10, 0x100000, v10
	v_and_b32_e32 v13, 0x10000000, v13
	v_or3_b32 v23, v9, v10, v13
	global_load_dwordx2 v[9:10], v[11:12], off offset:4
	global_load_dwordx2 v[13:14], v[11:12], off offset:20
	global_load_dword v24, v[7:8], off
	v_lshrrev_b32_e32 v7, 4, v15
	v_lshlrev_b32_e32 v8, 9, v19
	v_and_b32_e32 v7, 0xf0f0f0f, v7
	v_and_b32_e32 v8, 0x10000000, v8
	v_lshlrev_b32_e32 v15, 25, v17
	v_or3_b32 v7, v20, v8, v7
	v_and_b32_e32 v11, 0xf0f0f0f, v16
	v_lshrrev_b32_e32 v12, 4, v16
	v_lshlrev_b32_e32 v16, 9, v17
	v_and_b32_e32 v15, 0x10000000, v15
	v_and_b32_e32 v12, 0xf0f0f0f, v12
	;; [unrolled: 1-line block ×3, first 2 shown]
	v_or3_b32 v11, v22, v15, v11
	v_or3_b32 v12, v21, v16, v12
	s_waitcnt vmcnt(2)
	v_dot4_i32_i8 v9, v23, v9, 0
	s_waitcnt vmcnt(1)
	v_dot4_i32_i8 v7, v7, v13, v9
	v_dot4_i32_i8 v7, v11, v10, v7
	s_waitcnt vmcnt(0)
	v_cvt_f32_f16_sdwa v8, v24 dst_sel:DWORD dst_unused:UNUSED_PAD src0_sel:WORD_1
	v_dot4_i32_i8 v7, v12, v14, v7
	v_cvt_f32_i32_e32 v7, v7
	v_mul_f32_e32 v8, 0xc1000000, v8
	v_fma_mix_f32 v7, v24, v7, v8 op_sel_hi:[1,0,0]
	v_fma_mix_f32 v3, v7, v18, v3 op_sel_hi:[0,1,0]
	s_andn2_b64 exec, exec, s[12:13]
	s_cbranch_execnz .LBB239_3
; %bb.4:
	s_or_b64 exec, exec, s[12:13]
.LBB239_5:
	s_or_b64 exec, exec, s[10:11]
	v_mbcnt_lo_u32_b32 v2, -1, 0
	v_mbcnt_hi_u32_b32 v4, -1, v2
	v_and_b32_e32 v2, 64, v4
	v_add_u32_e32 v5, 64, v2
	v_xor_b32_e32 v2, 32, v4
	v_cmp_lt_i32_e32 vcc, v2, v5
	v_cndmask_b32_e32 v2, v4, v2, vcc
	v_lshlrev_b32_e32 v2, 2, v2
	ds_bpermute_b32 v2, v2, v3
	v_xor_b32_e32 v6, 16, v4
	v_cmp_lt_i32_e32 vcc, v6, v5
	s_waitcnt lgkmcnt(0)
	v_add_f32_e32 v2, v3, v2
	v_cndmask_b32_e32 v3, v4, v6, vcc
	v_lshlrev_b32_e32 v3, 2, v3
	ds_bpermute_b32 v3, v3, v2
	v_xor_b32_e32 v6, 8, v4
	v_cmp_lt_i32_e32 vcc, v6, v5
	s_waitcnt lgkmcnt(0)
	v_add_f32_e32 v2, v2, v3
	;; [unrolled: 7-line block ×5, first 2 shown]
	v_cndmask_b32_e32 v3, v4, v6, vcc
	v_lshlrev_b32_e32 v3, 2, v3
	ds_bpermute_b32 v3, v3, v2
	v_cmp_eq_u32_e32 vcc, 0, v0
	s_and_b64 exec, exec, vcc
	s_cbranch_execz .LBB239_7
; %bb.6:
	s_mul_i32 s0, s2, s8
	v_add_u32_e32 v0, s0, v1
	v_mov_b32_e32 v1, 0
	v_lshlrev_b64 v[0:1], 2, v[0:1]
	s_waitcnt lgkmcnt(0)
	v_add_f32_e32 v2, v2, v3
	v_mov_b32_e32 v3, s7
	v_add_co_u32_e32 v0, vcc, s6, v0
	v_addc_co_u32_e32 v1, vcc, v3, v1, vcc
	global_store_dword v[0:1], v2, off
.LBB239_7:
	s_endpgm
	.section	.rodata,"a",@progbits
	.p2align	6, 0x0
	.amdhsa_kernel _ZL9moe_vec_qIfLi32ELi4E10block_q5_0Li2EXadL_ZL17vec_dot_q5_0_q8_1PKvPK10block_q8_1RKiEEEvS2_S2_PT_PS6_iiii
		.amdhsa_group_segment_fixed_size 0
		.amdhsa_private_segment_fixed_size 0
		.amdhsa_kernarg_size 304
		.amdhsa_user_sgpr_count 6
		.amdhsa_user_sgpr_private_segment_buffer 1
		.amdhsa_user_sgpr_dispatch_ptr 0
		.amdhsa_user_sgpr_queue_ptr 0
		.amdhsa_user_sgpr_kernarg_segment_ptr 1
		.amdhsa_user_sgpr_dispatch_id 0
		.amdhsa_user_sgpr_flat_scratch_init 0
		.amdhsa_user_sgpr_private_segment_size 0
		.amdhsa_uses_dynamic_stack 0
		.amdhsa_system_sgpr_private_segment_wavefront_offset 0
		.amdhsa_system_sgpr_workgroup_id_x 1
		.amdhsa_system_sgpr_workgroup_id_y 0
		.amdhsa_system_sgpr_workgroup_id_z 1
		.amdhsa_system_sgpr_workgroup_info 0
		.amdhsa_system_vgpr_workitem_id 1
		.amdhsa_next_free_vgpr 25
		.amdhsa_next_free_sgpr 20
		.amdhsa_reserve_vcc 1
		.amdhsa_reserve_flat_scratch 0
		.amdhsa_float_round_mode_32 0
		.amdhsa_float_round_mode_16_64 0
		.amdhsa_float_denorm_mode_32 3
		.amdhsa_float_denorm_mode_16_64 3
		.amdhsa_dx10_clamp 1
		.amdhsa_ieee_mode 1
		.amdhsa_fp16_overflow 0
		.amdhsa_exception_fp_ieee_invalid_op 0
		.amdhsa_exception_fp_denorm_src 0
		.amdhsa_exception_fp_ieee_div_zero 0
		.amdhsa_exception_fp_ieee_overflow 0
		.amdhsa_exception_fp_ieee_underflow 0
		.amdhsa_exception_fp_ieee_inexact 0
		.amdhsa_exception_int_div_zero 0
	.end_amdhsa_kernel
	.section	.text._ZL9moe_vec_qIfLi32ELi4E10block_q5_0Li2EXadL_ZL17vec_dot_q5_0_q8_1PKvPK10block_q8_1RKiEEEvS2_S2_PT_PS6_iiii,"axG",@progbits,_ZL9moe_vec_qIfLi32ELi4E10block_q5_0Li2EXadL_ZL17vec_dot_q5_0_q8_1PKvPK10block_q8_1RKiEEEvS2_S2_PT_PS6_iiii,comdat
.Lfunc_end239:
	.size	_ZL9moe_vec_qIfLi32ELi4E10block_q5_0Li2EXadL_ZL17vec_dot_q5_0_q8_1PKvPK10block_q8_1RKiEEEvS2_S2_PT_PS6_iiii, .Lfunc_end239-_ZL9moe_vec_qIfLi32ELi4E10block_q5_0Li2EXadL_ZL17vec_dot_q5_0_q8_1PKvPK10block_q8_1RKiEEEvS2_S2_PT_PS6_iiii
                                        ; -- End function
	.set _ZL9moe_vec_qIfLi32ELi4E10block_q5_0Li2EXadL_ZL17vec_dot_q5_0_q8_1PKvPK10block_q8_1RKiEEEvS2_S2_PT_PS6_iiii.num_vgpr, 25
	.set _ZL9moe_vec_qIfLi32ELi4E10block_q5_0Li2EXadL_ZL17vec_dot_q5_0_q8_1PKvPK10block_q8_1RKiEEEvS2_S2_PT_PS6_iiii.num_agpr, 0
	.set _ZL9moe_vec_qIfLi32ELi4E10block_q5_0Li2EXadL_ZL17vec_dot_q5_0_q8_1PKvPK10block_q8_1RKiEEEvS2_S2_PT_PS6_iiii.numbered_sgpr, 20
	.set _ZL9moe_vec_qIfLi32ELi4E10block_q5_0Li2EXadL_ZL17vec_dot_q5_0_q8_1PKvPK10block_q8_1RKiEEEvS2_S2_PT_PS6_iiii.num_named_barrier, 0
	.set _ZL9moe_vec_qIfLi32ELi4E10block_q5_0Li2EXadL_ZL17vec_dot_q5_0_q8_1PKvPK10block_q8_1RKiEEEvS2_S2_PT_PS6_iiii.private_seg_size, 0
	.set _ZL9moe_vec_qIfLi32ELi4E10block_q5_0Li2EXadL_ZL17vec_dot_q5_0_q8_1PKvPK10block_q8_1RKiEEEvS2_S2_PT_PS6_iiii.uses_vcc, 1
	.set _ZL9moe_vec_qIfLi32ELi4E10block_q5_0Li2EXadL_ZL17vec_dot_q5_0_q8_1PKvPK10block_q8_1RKiEEEvS2_S2_PT_PS6_iiii.uses_flat_scratch, 0
	.set _ZL9moe_vec_qIfLi32ELi4E10block_q5_0Li2EXadL_ZL17vec_dot_q5_0_q8_1PKvPK10block_q8_1RKiEEEvS2_S2_PT_PS6_iiii.has_dyn_sized_stack, 0
	.set _ZL9moe_vec_qIfLi32ELi4E10block_q5_0Li2EXadL_ZL17vec_dot_q5_0_q8_1PKvPK10block_q8_1RKiEEEvS2_S2_PT_PS6_iiii.has_recursion, 0
	.set _ZL9moe_vec_qIfLi32ELi4E10block_q5_0Li2EXadL_ZL17vec_dot_q5_0_q8_1PKvPK10block_q8_1RKiEEEvS2_S2_PT_PS6_iiii.has_indirect_call, 0
	.section	.AMDGPU.csdata,"",@progbits
; Kernel info:
; codeLenInByte = 1056
; TotalNumSgprs: 24
; NumVgprs: 25
; ScratchSize: 0
; MemoryBound: 0
; FloatMode: 240
; IeeeMode: 1
; LDSByteSize: 0 bytes/workgroup (compile time only)
; SGPRBlocks: 2
; VGPRBlocks: 6
; NumSGPRsForWavesPerEU: 24
; NumVGPRsForWavesPerEU: 25
; Occupancy: 9
; WaveLimiterHint : 1
; COMPUTE_PGM_RSRC2:SCRATCH_EN: 0
; COMPUTE_PGM_RSRC2:USER_SGPR: 6
; COMPUTE_PGM_RSRC2:TRAP_HANDLER: 0
; COMPUTE_PGM_RSRC2:TGID_X_EN: 1
; COMPUTE_PGM_RSRC2:TGID_Y_EN: 0
; COMPUTE_PGM_RSRC2:TGID_Z_EN: 1
; COMPUTE_PGM_RSRC2:TIDIG_COMP_CNT: 1
	.section	.text._ZL9moe_vec_qIfLi32ELi4E10block_q5_1Li2EXadL_ZL17vec_dot_q5_1_q8_1PKvPK10block_q8_1RKiEEEvS2_S2_PT_PS6_iiii,"axG",@progbits,_ZL9moe_vec_qIfLi32ELi4E10block_q5_1Li2EXadL_ZL17vec_dot_q5_1_q8_1PKvPK10block_q8_1RKiEEEvS2_S2_PT_PS6_iiii,comdat
	.globl	_ZL9moe_vec_qIfLi32ELi4E10block_q5_1Li2EXadL_ZL17vec_dot_q5_1_q8_1PKvPK10block_q8_1RKiEEEvS2_S2_PT_PS6_iiii ; -- Begin function _ZL9moe_vec_qIfLi32ELi4E10block_q5_1Li2EXadL_ZL17vec_dot_q5_1_q8_1PKvPK10block_q8_1RKiEEEvS2_S2_PT_PS6_iiii
	.p2align	8
	.type	_ZL9moe_vec_qIfLi32ELi4E10block_q5_1Li2EXadL_ZL17vec_dot_q5_1_q8_1PKvPK10block_q8_1RKiEEEvS2_S2_PT_PS6_iiii,@function
_ZL9moe_vec_qIfLi32ELi4E10block_q5_1Li2EXadL_ZL17vec_dot_q5_1_q8_1PKvPK10block_q8_1RKiEEEvS2_S2_PT_PS6_iiii: ; @_ZL9moe_vec_qIfLi32ELi4E10block_q5_1Li2EXadL_ZL17vec_dot_q5_1_q8_1PKvPK10block_q8_1RKiEEEvS2_S2_PT_PS6_iiii
; %bb.0:
	s_mov_b32 s8, s7
	s_load_dword s7, s[4:5], 0x3c
	s_load_dwordx4 s[0:3], s[4:5], 0x20
	s_waitcnt lgkmcnt(0)
	s_lshr_b32 s7, s7, 16
	s_mul_i32 s6, s6, s7
	v_add_u32_e32 v1, s6, v1
	v_cmp_gt_u32_e32 vcc, s2, v1
	s_and_saveexec_b64 s[6:7], vcc
	s_cbranch_execz .LBB240_7
; %bb.1:
	v_cvt_f32_u32_e32 v2, s0
	s_load_dwordx2 s[6:7], s[4:5], 0x10
	s_ashr_i32 s9, s1, 31
	s_lshr_b32 s9, s9, 27
	v_rcp_iflag_f32_e32 v3, v2
	s_add_i32 s1, s1, s9
	v_lshrrev_b32_e32 v2, 1, v0
	s_ashr_i32 s14, s1, 5
	v_mul_f32_e32 v3, 0x4f7ffffe, v3
	v_cvt_u32_f32_e32 v3, v3
	v_cmp_gt_u32_e32 vcc, s14, v2
	v_readfirstlane_b32 s1, v3
	v_mov_b32_e32 v3, 0
	s_and_saveexec_b64 s[10:11], vcc
	s_cbranch_execz .LBB240_5
; %bb.2:
	s_sub_i32 s12, 0, s0
	s_mul_i32 s15, s12, s1
	s_load_dwordx4 s[16:19], s[4:5], 0x0
	s_load_dwordx2 s[12:13], s[4:5], 0x18
	s_mov_b32 s9, 0
	s_mul_hi_u32 s4, s1, s15
	s_add_i32 s1, s1, s4
	s_lshl_b64 s[4:5], s[8:9], 2
	s_waitcnt lgkmcnt(0)
	s_add_u32 s4, s12, s4
	s_mul_hi_u32 s1, s8, s1
	s_addc_u32 s5, s13, s5
	s_load_dword s4, s[4:5], 0x0
	s_mul_i32 s5, s1, s0
	s_sub_i32 s5, s8, s5
	s_add_i32 s12, s1, 1
	s_sub_i32 s13, s5, s0
	s_cmp_ge_u32 s5, s0
	s_cselect_b32 s1, s12, s1
	s_cselect_b32 s5, s13, s5
	s_add_i32 s12, s1, 1
	s_cmp_ge_u32 s5, s0
	s_mul_i32 s0, s14, s2
	s_waitcnt lgkmcnt(0)
	s_mul_i32 s0, s0, s4
	s_cselect_b32 s5, s12, s1
	s_mul_hi_i32 s1, s0, 24
	s_mul_i32 s0, s0, 24
	s_add_u32 s0, s16, s0
	s_mul_i32 s4, s5, s3
	s_mov_b32 s5, s9
	v_mul_lo_u32 v4, v1, s14
	s_addc_u32 s1, s17, s1
	s_lshl_b64 s[4:5], s[4:5], 2
	v_lshlrev_b32_e32 v3, 3, v0
	s_add_u32 s4, s18, s4
	v_and_b32_e32 v5, 8, v3
	s_addc_u32 s5, s19, s5
	v_mov_b32_e32 v3, 0
	v_or_b32_e32 v6, 4, v5
	s_mov_b64 s[12:13], 0
.LBB240_3:                              ; =>This Inner Loop Header: Depth=1
	v_mad_i64_i32 v[7:8], s[16:17], v2, 36, s[4:5]
	v_add_u32_e32 v9, v4, v2
	v_mad_i64_i32 v[9:10], s[16:17], v9, 24, s[0:1]
	v_add_co_u32_e32 v11, vcc, v7, v5
	v_addc_co_u32_e32 v12, vcc, 0, v8, vcc
	global_load_dwordx2 v[13:14], v[9:10], off
	v_add_co_u32_e32 v9, vcc, v9, v5
	v_addc_co_u32_e32 v10, vcc, 0, v10, vcc
	global_load_dwordx2 v[15:16], v[11:12], off offset:4
	global_load_dwordx2 v[17:18], v[11:12], off offset:20
	;; [unrolled: 1-line block ×3, first 2 shown]
	global_load_dword v21, v[7:8], off
	v_add_u32_e32 v2, 32, v2
	v_cmp_le_u32_e32 vcc, s14, v2
	s_or_b64 s[12:13], vcc, s[12:13]
	s_waitcnt vmcnt(4)
	v_ashrrev_i32_e32 v7, v5, v14
	v_ashrrev_i32_e32 v8, v6, v14
	v_lshlrev_b32_e32 v11, 4, v7
	v_lshlrev_b32_e32 v12, 11, v7
	v_lshrrev_b32_e32 v14, 5, v7
	s_waitcnt vmcnt(0)
	v_pk_mul_f16 v9, v13, v21
	v_lshrrev_b32_e32 v13, 12, v7
	v_lshlrev_b32_e32 v21, 2, v7
	v_and_b32_e32 v10, 0xf0f0f0f, v19
	v_and_b32_e32 v11, 16, v11
	;; [unrolled: 1-line block ×6, first 2 shown]
	v_or3_b32 v10, v11, v10, v12
	v_lshlrev_b32_e32 v11, 4, v8
	v_lshlrev_b32_e32 v12, 11, v8
	v_or3_b32 v13, v14, v13, v21
	v_lshlrev_b32_e32 v14, 18, v8
	v_and_b32_e32 v11, 16, v11
	v_and_b32_e32 v12, 0x1000, v12
	;; [unrolled: 1-line block ×3, first 2 shown]
	v_lshrrev_b32_e32 v21, 12, v8
	v_or3_b32 v11, v12, v11, v14
	v_lshrrev_b32_e32 v12, 5, v8
	v_lshlrev_b32_e32 v14, 2, v8
	v_and_b32_e32 v21, 16, v21
	v_and_b32_e32 v12, 0x1000, v12
	;; [unrolled: 1-line block ×3, first 2 shown]
	v_or3_b32 v12, v12, v21, v14
	v_lshlrev_b32_e32 v14, 18, v7
	v_lshlrev_b32_e32 v21, 25, v7
	v_and_b32_e32 v14, 0x100000, v14
	v_and_b32_e32 v21, 0x10000000, v21
	v_or3_b32 v10, v10, v14, v21
	v_lshrrev_b32_e32 v14, 4, v19
	v_lshlrev_b32_e32 v7, 9, v7
	v_lshlrev_b32_e32 v21, 25, v8
	v_and_b32_e32 v14, 0xf0f0f0f, v14
	v_and_b32_e32 v7, 0x10000000, v7
	;; [unrolled: 1-line block ×3, first 2 shown]
	v_lshrrev_b32_e32 v20, 4, v20
	v_lshlrev_b32_e32 v8, 9, v8
	v_or3_b32 v7, v13, v7, v14
	v_and_b32_e32 v14, 0x10000000, v21
	v_dot4_i32_i8 v10, v10, v15, 0
	v_and_b32_e32 v20, 0xf0f0f0f, v20
	v_and_b32_e32 v8, 0x10000000, v8
	v_or3_b32 v11, v11, v14, v19
	v_dot4_i32_i8 v7, v7, v17, v10
	v_or3_b32 v8, v12, v8, v20
	v_dot4_i32_i8 v7, v11, v16, v7
	v_cvt_f32_f16_sdwa v13, v9 dst_sel:DWORD dst_unused:UNUSED_PAD src0_sel:WORD_1
	v_dot4_i32_i8 v7, v8, v18, v7
	v_cvt_f32_i32_e32 v7, v7
	v_mul_f32_e32 v8, 0.5, v13
	v_fma_mix_f32 v7, v7, v9, v8 op_sel_hi:[0,1,0]
	v_add_f32_e32 v3, v3, v7
	s_andn2_b64 exec, exec, s[12:13]
	s_cbranch_execnz .LBB240_3
; %bb.4:
	s_or_b64 exec, exec, s[12:13]
.LBB240_5:
	s_or_b64 exec, exec, s[10:11]
	v_mbcnt_lo_u32_b32 v2, -1, 0
	v_mbcnt_hi_u32_b32 v4, -1, v2
	v_and_b32_e32 v2, 64, v4
	v_add_u32_e32 v5, 64, v2
	v_xor_b32_e32 v2, 32, v4
	v_cmp_lt_i32_e32 vcc, v2, v5
	v_cndmask_b32_e32 v2, v4, v2, vcc
	v_lshlrev_b32_e32 v2, 2, v2
	ds_bpermute_b32 v2, v2, v3
	v_xor_b32_e32 v6, 16, v4
	v_cmp_lt_i32_e32 vcc, v6, v5
	s_waitcnt lgkmcnt(0)
	v_add_f32_e32 v2, v3, v2
	v_cndmask_b32_e32 v3, v4, v6, vcc
	v_lshlrev_b32_e32 v3, 2, v3
	ds_bpermute_b32 v3, v3, v2
	v_xor_b32_e32 v6, 8, v4
	v_cmp_lt_i32_e32 vcc, v6, v5
	s_waitcnt lgkmcnt(0)
	v_add_f32_e32 v2, v2, v3
	;; [unrolled: 7-line block ×5, first 2 shown]
	v_cndmask_b32_e32 v3, v4, v6, vcc
	v_lshlrev_b32_e32 v3, 2, v3
	ds_bpermute_b32 v3, v3, v2
	v_cmp_eq_u32_e32 vcc, 0, v0
	s_and_b64 exec, exec, vcc
	s_cbranch_execz .LBB240_7
; %bb.6:
	s_mul_i32 s0, s2, s8
	v_add_u32_e32 v0, s0, v1
	v_mov_b32_e32 v1, 0
	v_lshlrev_b64 v[0:1], 2, v[0:1]
	s_waitcnt lgkmcnt(0)
	v_add_f32_e32 v2, v2, v3
	v_mov_b32_e32 v3, s7
	v_add_co_u32_e32 v0, vcc, s6, v0
	v_addc_co_u32_e32 v1, vcc, v3, v1, vcc
	global_store_dword v[0:1], v2, off
.LBB240_7:
	s_endpgm
	.section	.rodata,"a",@progbits
	.p2align	6, 0x0
	.amdhsa_kernel _ZL9moe_vec_qIfLi32ELi4E10block_q5_1Li2EXadL_ZL17vec_dot_q5_1_q8_1PKvPK10block_q8_1RKiEEEvS2_S2_PT_PS6_iiii
		.amdhsa_group_segment_fixed_size 0
		.amdhsa_private_segment_fixed_size 0
		.amdhsa_kernarg_size 304
		.amdhsa_user_sgpr_count 6
		.amdhsa_user_sgpr_private_segment_buffer 1
		.amdhsa_user_sgpr_dispatch_ptr 0
		.amdhsa_user_sgpr_queue_ptr 0
		.amdhsa_user_sgpr_kernarg_segment_ptr 1
		.amdhsa_user_sgpr_dispatch_id 0
		.amdhsa_user_sgpr_flat_scratch_init 0
		.amdhsa_user_sgpr_private_segment_size 0
		.amdhsa_uses_dynamic_stack 0
		.amdhsa_system_sgpr_private_segment_wavefront_offset 0
		.amdhsa_system_sgpr_workgroup_id_x 1
		.amdhsa_system_sgpr_workgroup_id_y 0
		.amdhsa_system_sgpr_workgroup_id_z 1
		.amdhsa_system_sgpr_workgroup_info 0
		.amdhsa_system_vgpr_workitem_id 1
		.amdhsa_next_free_vgpr 22
		.amdhsa_next_free_sgpr 20
		.amdhsa_reserve_vcc 1
		.amdhsa_reserve_flat_scratch 0
		.amdhsa_float_round_mode_32 0
		.amdhsa_float_round_mode_16_64 0
		.amdhsa_float_denorm_mode_32 3
		.amdhsa_float_denorm_mode_16_64 3
		.amdhsa_dx10_clamp 1
		.amdhsa_ieee_mode 1
		.amdhsa_fp16_overflow 0
		.amdhsa_exception_fp_ieee_invalid_op 0
		.amdhsa_exception_fp_denorm_src 0
		.amdhsa_exception_fp_ieee_div_zero 0
		.amdhsa_exception_fp_ieee_overflow 0
		.amdhsa_exception_fp_ieee_underflow 0
		.amdhsa_exception_fp_ieee_inexact 0
		.amdhsa_exception_int_div_zero 0
	.end_amdhsa_kernel
	.section	.text._ZL9moe_vec_qIfLi32ELi4E10block_q5_1Li2EXadL_ZL17vec_dot_q5_1_q8_1PKvPK10block_q8_1RKiEEEvS2_S2_PT_PS6_iiii,"axG",@progbits,_ZL9moe_vec_qIfLi32ELi4E10block_q5_1Li2EXadL_ZL17vec_dot_q5_1_q8_1PKvPK10block_q8_1RKiEEEvS2_S2_PT_PS6_iiii,comdat
.Lfunc_end240:
	.size	_ZL9moe_vec_qIfLi32ELi4E10block_q5_1Li2EXadL_ZL17vec_dot_q5_1_q8_1PKvPK10block_q8_1RKiEEEvS2_S2_PT_PS6_iiii, .Lfunc_end240-_ZL9moe_vec_qIfLi32ELi4E10block_q5_1Li2EXadL_ZL17vec_dot_q5_1_q8_1PKvPK10block_q8_1RKiEEEvS2_S2_PT_PS6_iiii
                                        ; -- End function
	.set _ZL9moe_vec_qIfLi32ELi4E10block_q5_1Li2EXadL_ZL17vec_dot_q5_1_q8_1PKvPK10block_q8_1RKiEEEvS2_S2_PT_PS6_iiii.num_vgpr, 22
	.set _ZL9moe_vec_qIfLi32ELi4E10block_q5_1Li2EXadL_ZL17vec_dot_q5_1_q8_1PKvPK10block_q8_1RKiEEEvS2_S2_PT_PS6_iiii.num_agpr, 0
	.set _ZL9moe_vec_qIfLi32ELi4E10block_q5_1Li2EXadL_ZL17vec_dot_q5_1_q8_1PKvPK10block_q8_1RKiEEEvS2_S2_PT_PS6_iiii.numbered_sgpr, 20
	.set _ZL9moe_vec_qIfLi32ELi4E10block_q5_1Li2EXadL_ZL17vec_dot_q5_1_q8_1PKvPK10block_q8_1RKiEEEvS2_S2_PT_PS6_iiii.num_named_barrier, 0
	.set _ZL9moe_vec_qIfLi32ELi4E10block_q5_1Li2EXadL_ZL17vec_dot_q5_1_q8_1PKvPK10block_q8_1RKiEEEvS2_S2_PT_PS6_iiii.private_seg_size, 0
	.set _ZL9moe_vec_qIfLi32ELi4E10block_q5_1Li2EXadL_ZL17vec_dot_q5_1_q8_1PKvPK10block_q8_1RKiEEEvS2_S2_PT_PS6_iiii.uses_vcc, 1
	.set _ZL9moe_vec_qIfLi32ELi4E10block_q5_1Li2EXadL_ZL17vec_dot_q5_1_q8_1PKvPK10block_q8_1RKiEEEvS2_S2_PT_PS6_iiii.uses_flat_scratch, 0
	.set _ZL9moe_vec_qIfLi32ELi4E10block_q5_1Li2EXadL_ZL17vec_dot_q5_1_q8_1PKvPK10block_q8_1RKiEEEvS2_S2_PT_PS6_iiii.has_dyn_sized_stack, 0
	.set _ZL9moe_vec_qIfLi32ELi4E10block_q5_1Li2EXadL_ZL17vec_dot_q5_1_q8_1PKvPK10block_q8_1RKiEEEvS2_S2_PT_PS6_iiii.has_recursion, 0
	.set _ZL9moe_vec_qIfLi32ELi4E10block_q5_1Li2EXadL_ZL17vec_dot_q5_1_q8_1PKvPK10block_q8_1RKiEEEvS2_S2_PT_PS6_iiii.has_indirect_call, 0
	.section	.AMDGPU.csdata,"",@progbits
; Kernel info:
; codeLenInByte = 1036
; TotalNumSgprs: 24
; NumVgprs: 22
; ScratchSize: 0
; MemoryBound: 0
; FloatMode: 240
; IeeeMode: 1
; LDSByteSize: 0 bytes/workgroup (compile time only)
; SGPRBlocks: 2
; VGPRBlocks: 5
; NumSGPRsForWavesPerEU: 24
; NumVGPRsForWavesPerEU: 22
; Occupancy: 10
; WaveLimiterHint : 1
; COMPUTE_PGM_RSRC2:SCRATCH_EN: 0
; COMPUTE_PGM_RSRC2:USER_SGPR: 6
; COMPUTE_PGM_RSRC2:TRAP_HANDLER: 0
; COMPUTE_PGM_RSRC2:TGID_X_EN: 1
; COMPUTE_PGM_RSRC2:TGID_Y_EN: 0
; COMPUTE_PGM_RSRC2:TGID_Z_EN: 1
; COMPUTE_PGM_RSRC2:TIDIG_COMP_CNT: 1
	.section	.text._ZL9moe_vec_qIfLi32ELi8E10block_q8_0Li2EXadL_ZL17vec_dot_q8_0_q8_1PKvPK10block_q8_1RKiEEEvS2_S2_PT_PS6_iiii,"axG",@progbits,_ZL9moe_vec_qIfLi32ELi8E10block_q8_0Li2EXadL_ZL17vec_dot_q8_0_q8_1PKvPK10block_q8_1RKiEEEvS2_S2_PT_PS6_iiii,comdat
	.globl	_ZL9moe_vec_qIfLi32ELi8E10block_q8_0Li2EXadL_ZL17vec_dot_q8_0_q8_1PKvPK10block_q8_1RKiEEEvS2_S2_PT_PS6_iiii ; -- Begin function _ZL9moe_vec_qIfLi32ELi8E10block_q8_0Li2EXadL_ZL17vec_dot_q8_0_q8_1PKvPK10block_q8_1RKiEEEvS2_S2_PT_PS6_iiii
	.p2align	8
	.type	_ZL9moe_vec_qIfLi32ELi8E10block_q8_0Li2EXadL_ZL17vec_dot_q8_0_q8_1PKvPK10block_q8_1RKiEEEvS2_S2_PT_PS6_iiii,@function
_ZL9moe_vec_qIfLi32ELi8E10block_q8_0Li2EXadL_ZL17vec_dot_q8_0_q8_1PKvPK10block_q8_1RKiEEEvS2_S2_PT_PS6_iiii: ; @_ZL9moe_vec_qIfLi32ELi8E10block_q8_0Li2EXadL_ZL17vec_dot_q8_0_q8_1PKvPK10block_q8_1RKiEEEvS2_S2_PT_PS6_iiii
; %bb.0:
	s_mov_b32 s8, s7
	s_load_dword s7, s[4:5], 0x3c
	s_load_dwordx4 s[0:3], s[4:5], 0x20
	s_waitcnt lgkmcnt(0)
	s_lshr_b32 s7, s7, 16
	s_mul_i32 s6, s6, s7
	v_add_u32_e32 v1, s6, v1
	v_cmp_gt_u32_e32 vcc, s2, v1
	s_and_saveexec_b64 s[6:7], vcc
	s_cbranch_execz .LBB241_7
; %bb.1:
	v_cvt_f32_u32_e32 v2, s0
	s_load_dwordx2 s[6:7], s[4:5], 0x10
	s_ashr_i32 s9, s1, 31
	s_lshr_b32 s9, s9, 27
	v_rcp_iflag_f32_e32 v3, v2
	s_add_i32 s1, s1, s9
	v_lshrrev_b32_e32 v2, 2, v0
	s_ashr_i32 s14, s1, 5
	v_mul_f32_e32 v3, 0x4f7ffffe, v3
	v_cvt_u32_f32_e32 v3, v3
	v_cmp_gt_u32_e32 vcc, s14, v2
	v_readfirstlane_b32 s1, v3
	v_mov_b32_e32 v3, 0
	s_and_saveexec_b64 s[10:11], vcc
	s_cbranch_execz .LBB241_5
; %bb.2:
	s_sub_i32 s12, 0, s0
	s_mul_i32 s15, s12, s1
	s_load_dwordx4 s[16:19], s[4:5], 0x0
	s_load_dwordx2 s[12:13], s[4:5], 0x18
	s_mov_b32 s9, 0
	s_mul_hi_u32 s4, s1, s15
	s_add_i32 s1, s1, s4
	s_lshl_b64 s[4:5], s[8:9], 2
	s_waitcnt lgkmcnt(0)
	s_add_u32 s4, s12, s4
	s_mul_hi_u32 s1, s8, s1
	s_addc_u32 s5, s13, s5
	s_load_dword s4, s[4:5], 0x0
	s_mul_i32 s5, s1, s0
	s_sub_i32 s5, s8, s5
	s_add_i32 s12, s1, 1
	s_sub_i32 s13, s5, s0
	s_cmp_ge_u32 s5, s0
	s_cselect_b32 s1, s12, s1
	s_cselect_b32 s5, s13, s5
	s_add_i32 s12, s1, 1
	s_cmp_ge_u32 s5, s0
	s_mul_i32 s0, s14, s2
	s_waitcnt lgkmcnt(0)
	s_mul_i32 s0, s0, s4
	s_cselect_b32 s5, s12, s1
	s_mul_hi_i32 s1, s0, 34
	s_mul_i32 s0, s0, 34
	s_add_u32 s0, s16, s0
	s_mul_i32 s4, s5, s3
	s_mov_b32 s5, s9
	v_mul_lo_u32 v4, v1, s14
	s_addc_u32 s1, s17, s1
	s_lshl_b64 s[4:5], s[4:5], 2
	s_add_u32 s4, s18, s4
	v_lshlrev_b32_e32 v3, 3, v0
	s_addc_u32 s5, s19, s5
	v_and_b32_e32 v5, 24, v3
	v_mov_b32_e32 v3, 0
	s_mov_b64 s[12:13], 0
.LBB241_3:                              ; =>This Inner Loop Header: Depth=1
	v_mad_i64_i32 v[6:7], s[16:17], v2, 36, s[4:5]
	v_add_u32_e32 v8, v4, v2
	v_mad_i64_i32 v[8:9], s[16:17], v8, 34, s[0:1]
	v_add_co_u32_e32 v10, vcc, v6, v5
	v_addc_co_u32_e32 v11, vcc, 0, v7, vcc
	global_load_dword v16, v[6:7], off
	v_add_co_u32_e32 v6, vcc, v8, v5
	v_addc_co_u32_e32 v7, vcc, 0, v9, vcc
	global_load_dwordx2 v[12:13], v[10:11], off offset:4
	global_load_dwordx2 v[14:15], v[6:7], off offset:2
	global_load_ushort v17, v[8:9], off
	v_add_u32_e32 v2, 16, v2
	v_cmp_le_u32_e32 vcc, s14, v2
	s_or_b64 s[12:13], vcc, s[12:13]
	s_waitcnt vmcnt(3)
	v_cvt_f32_f16_e32 v6, v16
	s_waitcnt vmcnt(1)
	v_dot4_i32_i8 v8, v14, v12, 0
	s_waitcnt vmcnt(0)
	v_cvt_f32_f16_e32 v7, v17
	v_dot4_i32_i8 v8, v15, v13, v8
	v_cvt_f32_i32_e32 v8, v8
	v_mul_f32_e32 v6, v7, v6
	v_fmac_f32_e32 v3, v6, v8
	s_andn2_b64 exec, exec, s[12:13]
	s_cbranch_execnz .LBB241_3
; %bb.4:
	s_or_b64 exec, exec, s[12:13]
.LBB241_5:
	s_or_b64 exec, exec, s[10:11]
	v_mbcnt_lo_u32_b32 v2, -1, 0
	v_mbcnt_hi_u32_b32 v4, -1, v2
	v_and_b32_e32 v2, 64, v4
	v_add_u32_e32 v5, 64, v2
	v_xor_b32_e32 v2, 32, v4
	v_cmp_lt_i32_e32 vcc, v2, v5
	v_cndmask_b32_e32 v2, v4, v2, vcc
	v_lshlrev_b32_e32 v2, 2, v2
	ds_bpermute_b32 v2, v2, v3
	v_xor_b32_e32 v6, 16, v4
	v_cmp_lt_i32_e32 vcc, v6, v5
	s_waitcnt lgkmcnt(0)
	v_add_f32_e32 v2, v3, v2
	v_cndmask_b32_e32 v3, v4, v6, vcc
	v_lshlrev_b32_e32 v3, 2, v3
	ds_bpermute_b32 v3, v3, v2
	v_xor_b32_e32 v6, 8, v4
	v_cmp_lt_i32_e32 vcc, v6, v5
	s_waitcnt lgkmcnt(0)
	v_add_f32_e32 v2, v2, v3
	;; [unrolled: 7-line block ×5, first 2 shown]
	v_cndmask_b32_e32 v3, v4, v6, vcc
	v_lshlrev_b32_e32 v3, 2, v3
	ds_bpermute_b32 v3, v3, v2
	v_cmp_eq_u32_e32 vcc, 0, v0
	s_and_b64 exec, exec, vcc
	s_cbranch_execz .LBB241_7
; %bb.6:
	s_mul_i32 s0, s2, s8
	v_add_u32_e32 v0, s0, v1
	v_mov_b32_e32 v1, 0
	v_lshlrev_b64 v[0:1], 2, v[0:1]
	s_waitcnt lgkmcnt(0)
	v_add_f32_e32 v2, v2, v3
	v_mov_b32_e32 v3, s7
	v_add_co_u32_e32 v0, vcc, s6, v0
	v_addc_co_u32_e32 v1, vcc, v3, v1, vcc
	global_store_dword v[0:1], v2, off
.LBB241_7:
	s_endpgm
	.section	.rodata,"a",@progbits
	.p2align	6, 0x0
	.amdhsa_kernel _ZL9moe_vec_qIfLi32ELi8E10block_q8_0Li2EXadL_ZL17vec_dot_q8_0_q8_1PKvPK10block_q8_1RKiEEEvS2_S2_PT_PS6_iiii
		.amdhsa_group_segment_fixed_size 0
		.amdhsa_private_segment_fixed_size 0
		.amdhsa_kernarg_size 304
		.amdhsa_user_sgpr_count 6
		.amdhsa_user_sgpr_private_segment_buffer 1
		.amdhsa_user_sgpr_dispatch_ptr 0
		.amdhsa_user_sgpr_queue_ptr 0
		.amdhsa_user_sgpr_kernarg_segment_ptr 1
		.amdhsa_user_sgpr_dispatch_id 0
		.amdhsa_user_sgpr_flat_scratch_init 0
		.amdhsa_user_sgpr_private_segment_size 0
		.amdhsa_uses_dynamic_stack 0
		.amdhsa_system_sgpr_private_segment_wavefront_offset 0
		.amdhsa_system_sgpr_workgroup_id_x 1
		.amdhsa_system_sgpr_workgroup_id_y 0
		.amdhsa_system_sgpr_workgroup_id_z 1
		.amdhsa_system_sgpr_workgroup_info 0
		.amdhsa_system_vgpr_workitem_id 1
		.amdhsa_next_free_vgpr 18
		.amdhsa_next_free_sgpr 20
		.amdhsa_reserve_vcc 1
		.amdhsa_reserve_flat_scratch 0
		.amdhsa_float_round_mode_32 0
		.amdhsa_float_round_mode_16_64 0
		.amdhsa_float_denorm_mode_32 3
		.amdhsa_float_denorm_mode_16_64 3
		.amdhsa_dx10_clamp 1
		.amdhsa_ieee_mode 1
		.amdhsa_fp16_overflow 0
		.amdhsa_exception_fp_ieee_invalid_op 0
		.amdhsa_exception_fp_denorm_src 0
		.amdhsa_exception_fp_ieee_div_zero 0
		.amdhsa_exception_fp_ieee_overflow 0
		.amdhsa_exception_fp_ieee_underflow 0
		.amdhsa_exception_fp_ieee_inexact 0
		.amdhsa_exception_int_div_zero 0
	.end_amdhsa_kernel
	.section	.text._ZL9moe_vec_qIfLi32ELi8E10block_q8_0Li2EXadL_ZL17vec_dot_q8_0_q8_1PKvPK10block_q8_1RKiEEEvS2_S2_PT_PS6_iiii,"axG",@progbits,_ZL9moe_vec_qIfLi32ELi8E10block_q8_0Li2EXadL_ZL17vec_dot_q8_0_q8_1PKvPK10block_q8_1RKiEEEvS2_S2_PT_PS6_iiii,comdat
.Lfunc_end241:
	.size	_ZL9moe_vec_qIfLi32ELi8E10block_q8_0Li2EXadL_ZL17vec_dot_q8_0_q8_1PKvPK10block_q8_1RKiEEEvS2_S2_PT_PS6_iiii, .Lfunc_end241-_ZL9moe_vec_qIfLi32ELi8E10block_q8_0Li2EXadL_ZL17vec_dot_q8_0_q8_1PKvPK10block_q8_1RKiEEEvS2_S2_PT_PS6_iiii
                                        ; -- End function
	.set _ZL9moe_vec_qIfLi32ELi8E10block_q8_0Li2EXadL_ZL17vec_dot_q8_0_q8_1PKvPK10block_q8_1RKiEEEvS2_S2_PT_PS6_iiii.num_vgpr, 18
	.set _ZL9moe_vec_qIfLi32ELi8E10block_q8_0Li2EXadL_ZL17vec_dot_q8_0_q8_1PKvPK10block_q8_1RKiEEEvS2_S2_PT_PS6_iiii.num_agpr, 0
	.set _ZL9moe_vec_qIfLi32ELi8E10block_q8_0Li2EXadL_ZL17vec_dot_q8_0_q8_1PKvPK10block_q8_1RKiEEEvS2_S2_PT_PS6_iiii.numbered_sgpr, 20
	.set _ZL9moe_vec_qIfLi32ELi8E10block_q8_0Li2EXadL_ZL17vec_dot_q8_0_q8_1PKvPK10block_q8_1RKiEEEvS2_S2_PT_PS6_iiii.num_named_barrier, 0
	.set _ZL9moe_vec_qIfLi32ELi8E10block_q8_0Li2EXadL_ZL17vec_dot_q8_0_q8_1PKvPK10block_q8_1RKiEEEvS2_S2_PT_PS6_iiii.private_seg_size, 0
	.set _ZL9moe_vec_qIfLi32ELi8E10block_q8_0Li2EXadL_ZL17vec_dot_q8_0_q8_1PKvPK10block_q8_1RKiEEEvS2_S2_PT_PS6_iiii.uses_vcc, 1
	.set _ZL9moe_vec_qIfLi32ELi8E10block_q8_0Li2EXadL_ZL17vec_dot_q8_0_q8_1PKvPK10block_q8_1RKiEEEvS2_S2_PT_PS6_iiii.uses_flat_scratch, 0
	.set _ZL9moe_vec_qIfLi32ELi8E10block_q8_0Li2EXadL_ZL17vec_dot_q8_0_q8_1PKvPK10block_q8_1RKiEEEvS2_S2_PT_PS6_iiii.has_dyn_sized_stack, 0
	.set _ZL9moe_vec_qIfLi32ELi8E10block_q8_0Li2EXadL_ZL17vec_dot_q8_0_q8_1PKvPK10block_q8_1RKiEEEvS2_S2_PT_PS6_iiii.has_recursion, 0
	.set _ZL9moe_vec_qIfLi32ELi8E10block_q8_0Li2EXadL_ZL17vec_dot_q8_0_q8_1PKvPK10block_q8_1RKiEEEvS2_S2_PT_PS6_iiii.has_indirect_call, 0
	.section	.AMDGPU.csdata,"",@progbits
; Kernel info:
; codeLenInByte = 708
; TotalNumSgprs: 24
; NumVgprs: 18
; ScratchSize: 0
; MemoryBound: 0
; FloatMode: 240
; IeeeMode: 1
; LDSByteSize: 0 bytes/workgroup (compile time only)
; SGPRBlocks: 2
; VGPRBlocks: 4
; NumSGPRsForWavesPerEU: 24
; NumVGPRsForWavesPerEU: 18
; Occupancy: 10
; WaveLimiterHint : 1
; COMPUTE_PGM_RSRC2:SCRATCH_EN: 0
; COMPUTE_PGM_RSRC2:USER_SGPR: 6
; COMPUTE_PGM_RSRC2:TRAP_HANDLER: 0
; COMPUTE_PGM_RSRC2:TGID_X_EN: 1
; COMPUTE_PGM_RSRC2:TGID_Y_EN: 0
; COMPUTE_PGM_RSRC2:TGID_Z_EN: 1
; COMPUTE_PGM_RSRC2:TIDIG_COMP_CNT: 1
	.section	.text._ZL9moe_vec_qIfLi256ELi16E10block_q2_KLi1EXadL_ZL17vec_dot_q2_K_q8_1PKvPK10block_q8_1RKiEEEvS2_S2_PT_PS6_iiii,"axG",@progbits,_ZL9moe_vec_qIfLi256ELi16E10block_q2_KLi1EXadL_ZL17vec_dot_q2_K_q8_1PKvPK10block_q8_1RKiEEEvS2_S2_PT_PS6_iiii,comdat
	.globl	_ZL9moe_vec_qIfLi256ELi16E10block_q2_KLi1EXadL_ZL17vec_dot_q2_K_q8_1PKvPK10block_q8_1RKiEEEvS2_S2_PT_PS6_iiii ; -- Begin function _ZL9moe_vec_qIfLi256ELi16E10block_q2_KLi1EXadL_ZL17vec_dot_q2_K_q8_1PKvPK10block_q8_1RKiEEEvS2_S2_PT_PS6_iiii
	.p2align	8
	.type	_ZL9moe_vec_qIfLi256ELi16E10block_q2_KLi1EXadL_ZL17vec_dot_q2_K_q8_1PKvPK10block_q8_1RKiEEEvS2_S2_PT_PS6_iiii,@function
_ZL9moe_vec_qIfLi256ELi16E10block_q2_KLi1EXadL_ZL17vec_dot_q2_K_q8_1PKvPK10block_q8_1RKiEEEvS2_S2_PT_PS6_iiii: ; @_ZL9moe_vec_qIfLi256ELi16E10block_q2_KLi1EXadL_ZL17vec_dot_q2_K_q8_1PKvPK10block_q8_1RKiEEEvS2_S2_PT_PS6_iiii
; %bb.0:
	s_mov_b32 s8, s7
	s_load_dword s7, s[4:5], 0x3c
	s_load_dwordx4 s[0:3], s[4:5], 0x20
	s_waitcnt lgkmcnt(0)
	s_lshr_b32 s7, s7, 16
	s_mul_i32 s6, s6, s7
	v_add_u32_e32 v9, s6, v1
	v_cmp_gt_u32_e32 vcc, s2, v9
	s_and_saveexec_b64 s[6:7], vcc
	s_cbranch_execz .LBB242_7
; %bb.1:
	s_load_dwordx2 s[6:7], s[4:5], 0x10
	s_ashr_i32 s9, s1, 31
	s_lshr_b32 s9, s9, 24
	s_add_i32 s1, s1, s9
	s_ashr_i32 s12, s1, 8
	v_lshrrev_b32_e32 v10, 4, v0
	v_cmp_gt_u32_e32 vcc, s12, v10
	v_mov_b32_e32 v2, 0
	s_and_saveexec_b64 s[10:11], vcc
	s_cbranch_execz .LBB242_5
; %bb.2:
	s_load_dwordx2 s[14:15], s[4:5], 0x18
	s_load_dwordx4 s[16:19], s[4:5], 0x0
	v_cvt_f32_u32_e32 v1, s0
	s_mov_b32 s9, 0
	s_lshl_b64 s[4:5], s[8:9], 2
	s_waitcnt lgkmcnt(0)
	s_add_u32 s4, s14, s4
	s_addc_u32 s5, s15, s5
	v_rcp_iflag_f32_e32 v1, v1
	s_load_dword s1, s[4:5], 0x0
	s_mul_i32 s5, s12, s2
	v_and_b32_e32 v7, 15, v0
	v_mul_f32_e32 v1, 0x4f7ffffe, v1
	v_cvt_u32_f32_e32 v1, v1
	s_waitcnt lgkmcnt(0)
	s_mul_i32 s1, s5, s1
	s_mul_hi_i32 s5, s1, 0x54
	s_mulk_i32 s1, 0x54
	s_add_u32 s14, s16, s1
	s_addc_u32 s15, s17, s5
	s_sub_i32 s1, 0, s0
	v_readfirstlane_b32 s5, v1
	s_mul_i32 s1, s1, s5
	s_mul_hi_u32 s1, s5, s1
	s_add_i32 s5, s5, s1
	s_mul_hi_u32 s1, s8, s5
	s_mul_i32 s5, s1, s0
	s_sub_i32 s5, s8, s5
	s_add_i32 s13, s1, 1
	s_sub_i32 s16, s5, s0
	s_cmp_ge_u32 s5, s0
	s_cselect_b32 s1, s13, s1
	s_cselect_b32 s5, s16, s5
	s_add_i32 s13, s1, 1
	s_cmp_ge_u32 s5, s0
	s_cselect_b32 s0, s13, s1
	s_mul_i32 s0, s0, s3
	s_mov_b32 s1, s9
	s_lshl_b64 s[0:1], s[0:1], 2
	s_add_u32 s0, s18, s0
	v_lshrrev_b32_e32 v1, 1, v0
	s_addc_u32 s1, s19, s1
	v_and_b32_e32 v5, 4, v1
	v_subrev_co_u32_e32 v1, vcc, 8, v7
	v_cndmask_b32_e32 v1, v1, v7, vcc
	v_mad_u64_u32 v[5:6], s[0:1], v5, 36, s[0:1]
	v_lshlrev_b32_e32 v11, 2, v7
	v_mov_b32_e32 v2, 0
	v_sub_u32_e32 v7, v7, v1
	v_cmp_lt_u32_e32 vcc, 3, v1
	v_lshlrev_b64 v[3:4], 2, v[1:2]
	v_addc_co_u32_e32 v1, vcc, 0, v7, vcc
	v_mov_b32_e32 v7, s14
	s_movk_i32 s4, 0x54
	v_lshlrev_b32_e32 v12, 3, v10
	s_mov_b64 s[0:1], 0
	v_mov_b32_e32 v8, s15
	s_mov_b32 s3, 0x1010101
.LBB242_3:                              ; =>This Inner Loop Header: Depth=1
	v_mul_lo_u32 v13, v9, s12
	v_mad_i64_i32 v[22:23], s[14:15], v12, 36, v[5:6]
	v_ashrrev_i32_e32 v20, 31, v1
	v_add_u32_e32 v16, v13, v10
	v_add_co_u32_e32 v14, vcc, v22, v3
	v_addc_co_u32_e32 v15, vcc, v23, v4, vcc
	v_mad_i64_i32 v[24:25], s[14:15], v16, s4, v[7:8]
	global_load_dword v13, v[22:23], off
	global_load_dword v28, v[14:15], off offset:4
	global_load_dword v29, v[14:15], off offset:40
	global_load_dword v19, v[14:15], off offset:76
	global_load_dword v16, v[14:15], off offset:112
	v_add_co_u32_e32 v17, vcc, v24, v11
	v_addc_co_u32_e32 v18, vcc, 0, v25, vcc
	v_add_co_u32_e32 v26, vcc, v24, v1
	v_addc_co_u32_e32 v27, vcc, v25, v20, vcc
	global_load_dword v30, v[17:18], off offset:16
	global_load_ubyte v31, v[26:27], off
	global_load_ubyte v32, v[26:27], off offset:2
	global_load_ubyte v20, v[26:27], off offset:4
	;; [unrolled: 1-line block ×3, first 2 shown]
	global_load_dword v15, v[22:23], off offset:36
                                        ; kill: killed $vgpr26 killed $vgpr27
                                        ; kill: killed $vgpr17 killed $vgpr18
	global_load_dword v14, v[24:25], off offset:80
	global_load_dword v18, v[22:23], off offset:72
	;; [unrolled: 1-line block ×3, first 2 shown]
	v_add_u32_e32 v10, 4, v10
	v_cmp_le_u32_e32 vcc, s12, v10
	v_add_u32_e32 v12, 32, v12
	s_or_b64 s[0:1], vcc, s[0:1]
	s_waitcnt vmcnt(8)
	v_and_b32_e32 v22, 0x3030303, v30
	v_dot4_i32_i8 v22, v22, v28, 0
	s_waitcnt vmcnt(7)
	v_and_b32_e32 v23, 15, v31
	v_mul_lo_u32 v22, v23, v22
	v_lshrrev_b32_e32 v23, 2, v30
	v_and_b32_e32 v23, 0x3030303, v23
	v_dot4_i32_i8 v23, v23, v29, 0
	s_waitcnt vmcnt(6)
	v_and_b32_e32 v24, 15, v32
	v_mul_lo_u32 v23, v24, v23
	v_lshrrev_b32_e32 v24, 4, v30
	;; [unrolled: 6-line block ×4, first 2 shown]
	v_mul_lo_u32 v26, v26, s3
	v_lshrrev_b32_e32 v27, 4, v32
	v_lshrrev_b32_e32 v21, 4, v21
	v_mul_lo_u32 v27, v27, s3
	v_lshrrev_b32_e32 v20, 4, v20
	v_mul_lo_u32 v21, v21, s3
	v_mul_lo_u32 v20, v20, s3
	v_dot4_i32_i8 v26, v26, v28, 0
	v_dot4_i32_i8 v27, v27, v29, 0
	;; [unrolled: 1-line block ×3, first 2 shown]
	v_cvt_f32_i32_e32 v21, v22
	v_cvt_f32_i32_e32 v22, v26
	v_dot4_i32_i8 v19, v20, v19, 0
	v_cvt_f32_i32_e32 v26, v27
	v_cvt_f32_i32_e32 v19, v19
	;; [unrolled: 1-line block ×5, first 2 shown]
	s_waitcnt vmcnt(2)
	v_cvt_f32_f16_sdwa v20, v14 dst_sel:DWORD dst_unused:UNUSED_PAD src0_sel:WORD_1
	v_cvt_f32_i32_e32 v25, v25
	v_fma_mix_f32 v21, v13, v21, 0 op_sel_hi:[1,0,0]
	v_fma_mix_f32 v13, v13, v22, 0 op_sel_hi:[1,0,0]
	;; [unrolled: 1-line block ×4, first 2 shown]
	s_waitcnt vmcnt(1)
	v_fma_mix_f32 v13, v18, v19, v13 op_sel_hi:[1,0,0]
	v_fma_mix_f32 v15, v18, v24, v21 op_sel_hi:[1,0,0]
	s_waitcnt vmcnt(0)
	v_fma_mix_f32 v13, v17, v16, v13 op_sel_hi:[1,0,0]
	v_fma_mix_f32 v15, v17, v25, v15 op_sel_hi:[1,0,0]
	v_mul_f32_e32 v13, v13, v20
	v_fma_mix_f32 v13, v15, v14, -v13 op_sel_hi:[0,1,0]
	v_add_f32_e32 v2, v2, v13
	s_andn2_b64 exec, exec, s[0:1]
	s_cbranch_execnz .LBB242_3
; %bb.4:
	s_or_b64 exec, exec, s[0:1]
.LBB242_5:
	s_or_b64 exec, exec, s[10:11]
	v_mbcnt_lo_u32_b32 v1, -1, 0
	v_mbcnt_hi_u32_b32 v3, -1, v1
	v_and_b32_e32 v1, 64, v3
	v_add_u32_e32 v4, 64, v1
	v_xor_b32_e32 v1, 32, v3
	v_cmp_lt_i32_e32 vcc, v1, v4
	v_cndmask_b32_e32 v1, v3, v1, vcc
	v_lshlrev_b32_e32 v1, 2, v1
	ds_bpermute_b32 v1, v1, v2
	v_xor_b32_e32 v5, 16, v3
	v_cmp_lt_i32_e32 vcc, v5, v4
	s_waitcnt lgkmcnt(0)
	v_add_f32_e32 v1, v2, v1
	v_cndmask_b32_e32 v2, v3, v5, vcc
	v_lshlrev_b32_e32 v2, 2, v2
	ds_bpermute_b32 v2, v2, v1
	v_xor_b32_e32 v5, 8, v3
	v_cmp_lt_i32_e32 vcc, v5, v4
	s_waitcnt lgkmcnt(0)
	v_add_f32_e32 v1, v1, v2
	;; [unrolled: 7-line block ×5, first 2 shown]
	v_cndmask_b32_e32 v2, v3, v5, vcc
	v_lshlrev_b32_e32 v2, 2, v2
	ds_bpermute_b32 v2, v2, v1
	v_cmp_eq_u32_e32 vcc, 0, v0
	s_and_b64 exec, exec, vcc
	s_cbranch_execz .LBB242_7
; %bb.6:
	s_mul_i32 s0, s2, s8
	s_waitcnt lgkmcnt(0)
	v_add_f32_e32 v2, v1, v2
	v_add_u32_e32 v0, s0, v9
	v_mov_b32_e32 v1, 0
	v_lshlrev_b64 v[0:1], 2, v[0:1]
	v_mov_b32_e32 v3, s7
	v_add_co_u32_e32 v0, vcc, s6, v0
	v_addc_co_u32_e32 v1, vcc, v3, v1, vcc
	global_store_dword v[0:1], v2, off
.LBB242_7:
	s_endpgm
	.section	.rodata,"a",@progbits
	.p2align	6, 0x0
	.amdhsa_kernel _ZL9moe_vec_qIfLi256ELi16E10block_q2_KLi1EXadL_ZL17vec_dot_q2_K_q8_1PKvPK10block_q8_1RKiEEEvS2_S2_PT_PS6_iiii
		.amdhsa_group_segment_fixed_size 0
		.amdhsa_private_segment_fixed_size 0
		.amdhsa_kernarg_size 304
		.amdhsa_user_sgpr_count 6
		.amdhsa_user_sgpr_private_segment_buffer 1
		.amdhsa_user_sgpr_dispatch_ptr 0
		.amdhsa_user_sgpr_queue_ptr 0
		.amdhsa_user_sgpr_kernarg_segment_ptr 1
		.amdhsa_user_sgpr_dispatch_id 0
		.amdhsa_user_sgpr_flat_scratch_init 0
		.amdhsa_user_sgpr_private_segment_size 0
		.amdhsa_uses_dynamic_stack 0
		.amdhsa_system_sgpr_private_segment_wavefront_offset 0
		.amdhsa_system_sgpr_workgroup_id_x 1
		.amdhsa_system_sgpr_workgroup_id_y 0
		.amdhsa_system_sgpr_workgroup_id_z 1
		.amdhsa_system_sgpr_workgroup_info 0
		.amdhsa_system_vgpr_workitem_id 1
		.amdhsa_next_free_vgpr 33
		.amdhsa_next_free_sgpr 20
		.amdhsa_reserve_vcc 1
		.amdhsa_reserve_flat_scratch 0
		.amdhsa_float_round_mode_32 0
		.amdhsa_float_round_mode_16_64 0
		.amdhsa_float_denorm_mode_32 3
		.amdhsa_float_denorm_mode_16_64 3
		.amdhsa_dx10_clamp 1
		.amdhsa_ieee_mode 1
		.amdhsa_fp16_overflow 0
		.amdhsa_exception_fp_ieee_invalid_op 0
		.amdhsa_exception_fp_denorm_src 0
		.amdhsa_exception_fp_ieee_div_zero 0
		.amdhsa_exception_fp_ieee_overflow 0
		.amdhsa_exception_fp_ieee_underflow 0
		.amdhsa_exception_fp_ieee_inexact 0
		.amdhsa_exception_int_div_zero 0
	.end_amdhsa_kernel
	.section	.text._ZL9moe_vec_qIfLi256ELi16E10block_q2_KLi1EXadL_ZL17vec_dot_q2_K_q8_1PKvPK10block_q8_1RKiEEEvS2_S2_PT_PS6_iiii,"axG",@progbits,_ZL9moe_vec_qIfLi256ELi16E10block_q2_KLi1EXadL_ZL17vec_dot_q2_K_q8_1PKvPK10block_q8_1RKiEEEvS2_S2_PT_PS6_iiii,comdat
.Lfunc_end242:
	.size	_ZL9moe_vec_qIfLi256ELi16E10block_q2_KLi1EXadL_ZL17vec_dot_q2_K_q8_1PKvPK10block_q8_1RKiEEEvS2_S2_PT_PS6_iiii, .Lfunc_end242-_ZL9moe_vec_qIfLi256ELi16E10block_q2_KLi1EXadL_ZL17vec_dot_q2_K_q8_1PKvPK10block_q8_1RKiEEEvS2_S2_PT_PS6_iiii
                                        ; -- End function
	.set _ZL9moe_vec_qIfLi256ELi16E10block_q2_KLi1EXadL_ZL17vec_dot_q2_K_q8_1PKvPK10block_q8_1RKiEEEvS2_S2_PT_PS6_iiii.num_vgpr, 33
	.set _ZL9moe_vec_qIfLi256ELi16E10block_q2_KLi1EXadL_ZL17vec_dot_q2_K_q8_1PKvPK10block_q8_1RKiEEEvS2_S2_PT_PS6_iiii.num_agpr, 0
	.set _ZL9moe_vec_qIfLi256ELi16E10block_q2_KLi1EXadL_ZL17vec_dot_q2_K_q8_1PKvPK10block_q8_1RKiEEEvS2_S2_PT_PS6_iiii.numbered_sgpr, 20
	.set _ZL9moe_vec_qIfLi256ELi16E10block_q2_KLi1EXadL_ZL17vec_dot_q2_K_q8_1PKvPK10block_q8_1RKiEEEvS2_S2_PT_PS6_iiii.num_named_barrier, 0
	.set _ZL9moe_vec_qIfLi256ELi16E10block_q2_KLi1EXadL_ZL17vec_dot_q2_K_q8_1PKvPK10block_q8_1RKiEEEvS2_S2_PT_PS6_iiii.private_seg_size, 0
	.set _ZL9moe_vec_qIfLi256ELi16E10block_q2_KLi1EXadL_ZL17vec_dot_q2_K_q8_1PKvPK10block_q8_1RKiEEEvS2_S2_PT_PS6_iiii.uses_vcc, 1
	.set _ZL9moe_vec_qIfLi256ELi16E10block_q2_KLi1EXadL_ZL17vec_dot_q2_K_q8_1PKvPK10block_q8_1RKiEEEvS2_S2_PT_PS6_iiii.uses_flat_scratch, 0
	.set _ZL9moe_vec_qIfLi256ELi16E10block_q2_KLi1EXadL_ZL17vec_dot_q2_K_q8_1PKvPK10block_q8_1RKiEEEvS2_S2_PT_PS6_iiii.has_dyn_sized_stack, 0
	.set _ZL9moe_vec_qIfLi256ELi16E10block_q2_KLi1EXadL_ZL17vec_dot_q2_K_q8_1PKvPK10block_q8_1RKiEEEvS2_S2_PT_PS6_iiii.has_recursion, 0
	.set _ZL9moe_vec_qIfLi256ELi16E10block_q2_KLi1EXadL_ZL17vec_dot_q2_K_q8_1PKvPK10block_q8_1RKiEEEvS2_S2_PT_PS6_iiii.has_indirect_call, 0
	.section	.AMDGPU.csdata,"",@progbits
; Kernel info:
; codeLenInByte = 1184
; TotalNumSgprs: 24
; NumVgprs: 33
; ScratchSize: 0
; MemoryBound: 0
; FloatMode: 240
; IeeeMode: 1
; LDSByteSize: 0 bytes/workgroup (compile time only)
; SGPRBlocks: 2
; VGPRBlocks: 8
; NumSGPRsForWavesPerEU: 24
; NumVGPRsForWavesPerEU: 33
; Occupancy: 7
; WaveLimiterHint : 1
; COMPUTE_PGM_RSRC2:SCRATCH_EN: 0
; COMPUTE_PGM_RSRC2:USER_SGPR: 6
; COMPUTE_PGM_RSRC2:TRAP_HANDLER: 0
; COMPUTE_PGM_RSRC2:TGID_X_EN: 1
; COMPUTE_PGM_RSRC2:TGID_Y_EN: 0
; COMPUTE_PGM_RSRC2:TGID_Z_EN: 1
; COMPUTE_PGM_RSRC2:TIDIG_COMP_CNT: 1
	.section	.text._ZL9moe_vec_qIfLi256ELi16E10block_q3_KLi1EXadL_ZL17vec_dot_q3_K_q8_1PKvPK10block_q8_1RKiEEEvS2_S2_PT_PS6_iiii,"axG",@progbits,_ZL9moe_vec_qIfLi256ELi16E10block_q3_KLi1EXadL_ZL17vec_dot_q3_K_q8_1PKvPK10block_q8_1RKiEEEvS2_S2_PT_PS6_iiii,comdat
	.globl	_ZL9moe_vec_qIfLi256ELi16E10block_q3_KLi1EXadL_ZL17vec_dot_q3_K_q8_1PKvPK10block_q8_1RKiEEEvS2_S2_PT_PS6_iiii ; -- Begin function _ZL9moe_vec_qIfLi256ELi16E10block_q3_KLi1EXadL_ZL17vec_dot_q3_K_q8_1PKvPK10block_q8_1RKiEEEvS2_S2_PT_PS6_iiii
	.p2align	8
	.type	_ZL9moe_vec_qIfLi256ELi16E10block_q3_KLi1EXadL_ZL17vec_dot_q3_K_q8_1PKvPK10block_q8_1RKiEEEvS2_S2_PT_PS6_iiii,@function
_ZL9moe_vec_qIfLi256ELi16E10block_q3_KLi1EXadL_ZL17vec_dot_q3_K_q8_1PKvPK10block_q8_1RKiEEEvS2_S2_PT_PS6_iiii: ; @_ZL9moe_vec_qIfLi256ELi16E10block_q3_KLi1EXadL_ZL17vec_dot_q3_K_q8_1PKvPK10block_q8_1RKiEEEvS2_S2_PT_PS6_iiii
; %bb.0:
	s_mov_b32 s8, s7
	s_load_dword s7, s[4:5], 0x3c
	s_load_dwordx4 s[0:3], s[4:5], 0x20
	s_waitcnt lgkmcnt(0)
	s_lshr_b32 s7, s7, 16
	s_mul_i32 s6, s6, s7
	v_add_u32_e32 v9, s6, v1
	v_cmp_gt_u32_e32 vcc, s2, v9
	s_and_saveexec_b64 s[6:7], vcc
	s_cbranch_execz .LBB243_7
; %bb.1:
	s_load_dwordx2 s[6:7], s[4:5], 0x10
	s_ashr_i32 s9, s1, 31
	s_lshr_b32 s9, s9, 24
	s_add_i32 s1, s1, s9
	s_ashr_i32 s12, s1, 8
	v_lshrrev_b32_e32 v10, 4, v0
	v_cmp_gt_u32_e32 vcc, s12, v10
	v_mov_b32_e32 v2, 0
	s_and_saveexec_b64 s[10:11], vcc
	s_cbranch_execz .LBB243_5
; %bb.2:
	v_cvt_f32_u32_e32 v1, s0
	s_load_dwordx2 s[14:15], s[4:5], 0x18
	s_load_dwordx4 s[16:19], s[4:5], 0x0
	v_and_b32_e32 v2, 15, v0
	v_rcp_iflag_f32_e32 v3, v1
	v_subrev_co_u32_e32 v1, vcc, 8, v2
	s_mov_b32 s9, 0
	v_cndmask_b32_e32 v1, v1, v2, vcc
	v_mul_f32_e32 v3, 0x4f7ffffe, v3
	s_lshl_b64 s[20:21], s[8:9], 2
	v_sub_u32_e32 v5, v2, v1
	v_cvt_u32_f32_e32 v3, v3
	v_cmp_lt_u32_e32 vcc, 3, v1
	s_waitcnt lgkmcnt(0)
	s_add_u32 s4, s14, s20
	v_addc_co_u32_e32 v5, vcc, 0, v5, vcc
	s_addc_u32 s5, s15, s21
	v_mov_b32_e32 v4, 7
	v_add_u16_e32 v11, 2, v5
	s_load_dword s4, s[4:5], 0x0
	v_mov_b32_e32 v7, 5
	v_mov_b32_e32 v8, 6
	v_lshrrev_b16_sdwa v12, v4, sext(v11) dst_sel:DWORD dst_unused:UNUSED_PAD src0_sel:DWORD src1_sel:BYTE_0
	v_readfirstlane_b32 s1, v3
	v_lshrrev_b16_sdwa v3, v7, v12 dst_sel:DWORD dst_unused:UNUSED_PAD src0_sel:DWORD src1_sel:BYTE_0
	v_lshrrev_b16_sdwa v12, v8, v12 dst_sel:DWORD dst_unused:UNUSED_PAD src0_sel:DWORD src1_sel:BYTE_0
	v_add_u16_e32 v13, v11, v3
	v_add_u16_e32 v14, v11, v12
	v_and_b32_e32 v3, 0xf8, v13
	v_and_b32_e32 v12, 0xfc, v14
	s_mul_i32 s5, s12, s2
	v_sub_u16_e32 v3, v11, v3
	v_sub_u16_e32 v24, v11, v12
	v_add_u16_e32 v11, 4, v5
	s_waitcnt lgkmcnt(0)
	s_mul_i32 s4, s5, s4
	v_lshrrev_b16_sdwa v12, v4, sext(v11) dst_sel:DWORD dst_unused:UNUSED_PAD src0_sel:DWORD src1_sel:BYTE_0
	s_mul_hi_i32 s5, s4, 0x6e
	s_mulk_i32 s4, 0x6e
	v_lshrrev_b16_sdwa v15, v7, v12 dst_sel:DWORD dst_unused:UNUSED_PAD src0_sel:DWORD src1_sel:BYTE_0
	s_add_u32 s4, s16, s4
	v_add_u16_e32 v15, v11, v15
	s_addc_u32 s5, s17, s5
	s_sub_i32 s14, 0, s0
	v_and_b32_e32 v16, 0xf8, v15
	v_lshrrev_b16_sdwa v12, v8, v12 dst_sel:DWORD dst_unused:UNUSED_PAD src0_sel:DWORD src1_sel:BYTE_0
	s_mul_i32 s14, s14, s1
	v_sub_u16_e32 v25, v11, v16
	v_add_u16_e32 v16, v11, v12
	s_mul_hi_u32 s14, s1, s14
	v_lshrrev_b16_sdwa v6, v4, sext(v5) dst_sel:DWORD dst_unused:UNUSED_PAD src0_sel:DWORD src1_sel:BYTE_0
	v_and_b32_e32 v12, 0xfc, v16
	s_add_i32 s1, s1, s14
	v_sub_u16_e32 v26, v11, v12
	v_lshrrev_b16_sdwa v11, v7, v6 dst_sel:DWORD dst_unused:UNUSED_PAD src0_sel:DWORD src1_sel:BYTE_0
	s_mul_hi_u32 s1, s8, s1
	v_add_u16_e32 v11, v5, v11
	v_lshrrev_b16_sdwa v6, v8, v6 dst_sel:DWORD dst_unused:UNUSED_PAD src0_sel:DWORD src1_sel:BYTE_0
	s_mul_i32 s14, s1, s0
	v_and_b32_e32 v12, 0xf8, v11
	v_add_u16_e32 v6, v5, v6
	s_sub_i32 s14, s8, s14
	v_sub_u16_e32 v21, v5, v12
	v_and_b32_e32 v12, 0xfc, v6
	s_add_i32 s15, s1, 1
	s_sub_i32 s16, s14, s0
	v_sub_u16_e32 v22, v5, v12
	v_add_u16_e32 v5, 6, v5
	s_cmp_ge_u32 s14, s0
	v_lshrrev_b16_sdwa v4, v4, sext(v5) dst_sel:DWORD dst_unused:UNUSED_PAD src0_sel:DWORD src1_sel:BYTE_0
	s_cselect_b32 s1, s15, s1
	v_lshrrev_b16_sdwa v7, v7, v4 dst_sel:DWORD dst_unused:UNUSED_PAD src0_sel:DWORD src1_sel:BYTE_0
	s_cselect_b32 s14, s16, s14
	s_add_i32 s15, s1, 1
	v_lshrrev_b16_sdwa v4, v8, v4 dst_sel:DWORD dst_unused:UNUSED_PAD src0_sel:DWORD src1_sel:BYTE_0
	v_mov_b32_e32 v8, 3
	v_add_u16_e32 v7, v5, v7
	s_cmp_ge_u32 s14, s0
	v_lshrrev_b16_sdwa v11, v8, sext(v11) dst_sel:DWORD dst_unused:UNUSED_PAD src0_sel:DWORD src1_sel:BYTE_0
	v_mov_b32_e32 v17, 2
	v_lshrrev_b16_sdwa v12, v8, sext(v13) dst_sel:DWORD dst_unused:UNUSED_PAD src0_sel:DWORD src1_sel:BYTE_0
	v_lshrrev_b16_sdwa v13, v8, sext(v15) dst_sel:DWORD dst_unused:UNUSED_PAD src0_sel:DWORD src1_sel:BYTE_0
	;; [unrolled: 1-line block ×3, first 2 shown]
	v_add_u16_e32 v4, v5, v4
	s_cselect_b32 s0, s15, s1
	v_ashrrev_i16_sdwa v18, v17, sext(v14) dst_sel:DWORD dst_unused:UNUSED_PAD src0_sel:DWORD src1_sel:BYTE_0
	v_and_b32_e32 v7, 0xf8, v7
	v_lshlrev_b32_sdwa v14, v17, v8 dst_sel:DWORD dst_unused:UNUSED_PAD src0_sel:DWORD src1_sel:BYTE_0
	v_lshrrev_b16_sdwa v8, v17, sext(v4) dst_sel:DWORD dst_unused:UNUSED_PAD src0_sel:DWORD src1_sel:BYTE_0
	v_and_b32_e32 v4, 0xfc, v4
	s_mul_i32 s0, s0, s3
	s_mov_b32 s1, s9
	v_ashrrev_i16_sdwa v6, v17, sext(v6) dst_sel:DWORD dst_unused:UNUSED_PAD src0_sel:DWORD src1_sel:BYTE_0
	v_lshrrev_b16_sdwa v19, v17, sext(v16) dst_sel:DWORD dst_unused:UNUSED_PAD src0_sel:DWORD src1_sel:BYTE_0
	v_sub_u16_e32 v7, v5, v7
	v_sub_u16_e32 v4, v5, v4
	v_mov_b32_e32 v5, 1
	s_lshl_b64 s[0:1], s[0:1], 2
	v_lshlrev_b32_sdwa v11, v17, v11 dst_sel:DWORD dst_unused:UNUSED_PAD src0_sel:DWORD src1_sel:BYTE_0
	v_lshlrev_b32_sdwa v12, v17, v12 dst_sel:DWORD dst_unused:UNUSED_PAD src0_sel:DWORD src1_sel:BYTE_0
	;; [unrolled: 1-line block ×3, first 2 shown]
	v_lshlrev_b32_sdwa v15, v5, sext(v6) dst_sel:DWORD dst_unused:UNUSED_PAD src0_sel:DWORD src1_sel:WORD_0
	v_lshlrev_b32_sdwa v16, v5, sext(v18) dst_sel:DWORD dst_unused:UNUSED_PAD src0_sel:DWORD src1_sel:WORD_0
	v_lshlrev_b32_sdwa v17, v5, v19 dst_sel:DWORD dst_unused:UNUSED_PAD src0_sel:DWORD src1_sel:BYTE_0
	v_lshlrev_b32_sdwa v18, v5, v8 dst_sel:DWORD dst_unused:UNUSED_PAD src0_sel:DWORD src1_sel:BYTE_0
	s_add_u32 s14, s18, s0
	v_lshrrev_b32_e32 v5, 1, v0
	s_addc_u32 s15, s19, s1
	v_and_b32_e32 v19, 4, v5
	v_bfe_i32 v23, v3, 0, 8
	v_bfe_i32 v28, v4, 0, 8
	v_mul_lo_u32 v29, v9, s12
	v_mad_u64_u32 v[3:4], s[14:15], v19, 36, s[14:15]
	v_lshlrev_b32_e32 v20, 2, v2
	v_mov_b32_e32 v2, 0
	v_bfe_i32 v21, v21, 0, 8
	v_bfe_i32 v22, v22, 0, 8
	;; [unrolled: 1-line block ×6, first 2 shown]
	v_lshlrev_b64 v[5:6], 2, v[1:2]
	s_movk_i32 s13, 0x6e
	s_mov_b64 s[0:1], 0
	v_ashrrev_i32_e32 v30, 31, v21
	v_ashrrev_i32_e32 v31, 31, v22
	;; [unrolled: 1-line block ×8, first 2 shown]
	v_lshlrev_b32_e32 v1, 3, v10
.LBB243_3:                              ; =>This Inner Loop Header: Depth=1
	v_mov_b32_e32 v8, s5
	v_mad_i64_i32 v[46:47], s[14:15], v1, 36, v[3:4]
	v_add_u32_e32 v38, v29, v10
	v_mov_b32_e32 v7, s4
	v_mad_i64_i32 v[7:8], s[14:15], v38, s13, v[7:8]
	v_add_co_u32_e32 v38, vcc, v46, v5
	v_addc_co_u32_e32 v39, vcc, v47, v6, vcc
	global_load_dword v42, v[38:39], off offset:4
	global_load_dword v43, v[38:39], off offset:40
	;; [unrolled: 1-line block ×3, first 2 shown]
	s_nop 0
	global_load_dword v38, v[38:39], off offset:112
	s_nop 0
	global_load_dword v45, v[46:47], off
	global_load_dword v44, v[46:47], off offset:36
	global_load_dword v41, v[46:47], off offset:72
	;; [unrolled: 1-line block ×3, first 2 shown]
	v_add_co_u32_e32 v46, vcc, v7, v21
	v_addc_co_u32_e32 v47, vcc, v8, v30, vcc
	global_load_ubyte v48, v[46:47], off offset:96
	v_add_co_u32_e32 v46, vcc, v7, v22
	v_addc_co_u32_e32 v47, vcc, v8, v31, vcc
	global_load_ubyte v49, v[46:47], off offset:104
	;; [unrolled: 3-line block ×4, first 2 shown]
	v_add_co_u32_e32 v46, vcc, v7, v5
	v_addc_co_u32_e32 v47, vcc, v8, v6, vcc
	global_load_dword v52, v[46:47], off
	v_add_co_u32_e32 v46, vcc, v7, v20
	v_addc_co_u32_e32 v47, vcc, 0, v8, vcc
	global_load_dword v53, v[46:47], off offset:32
	v_add_co_u32_e32 v46, vcc, v7, v25
	v_addc_co_u32_e32 v47, vcc, v8, v34, vcc
	global_load_ubyte v54, v[46:47], off offset:96
	v_add_co_u32_e32 v46, vcc, v7, v26
	v_addc_co_u32_e32 v47, vcc, v8, v35, vcc
	global_load_ubyte v55, v[46:47], off offset:104
	;; [unrolled: 3-line block ×4, first 2 shown]
	v_add_u32_e32 v10, 4, v10
	global_load_ushort v7, v[7:8], off offset:108
	v_cmp_le_u32_e32 vcc, s12, v10
	s_or_b64 s[0:1], vcc, s[0:1]
	v_add_u32_e32 v1, 32, v1
	s_waitcnt vmcnt(10)
	v_bfe_u32 v47, v48, v11, 4
	s_waitcnt vmcnt(9)
	v_lshrrev_b32_e32 v48, v15, v49
	v_lshlrev_b32_e32 v48, 4, v48
	v_and_or_b32 v47, v48, 48, v47
	v_subrev_u32_e32 v47, 32, v47
	s_waitcnt vmcnt(8)
	v_bfe_u32 v48, v50, v12, 4
	s_waitcnt vmcnt(7)
	v_lshrrev_b32_e32 v49, v16, v51
	v_lshlrev_b32_e32 v49, 4, v49
	v_and_or_b32 v48, v49, 48, v48
	s_waitcnt vmcnt(6)
	v_ashrrev_i32_e32 v49, v19, v52
	v_not_b32_e32 v49, v49
	v_lshlrev_b32_e32 v50, 2, v49
	v_and_b32_e32 v50, 0x4040404, v50
	v_lshlrev_b32_e32 v60, 1, v49
	s_waitcnt vmcnt(5)
	v_bfe_u32 v51, v53, 24, 2
	v_and_b32_e32 v52, 0x3030303, v53
	v_sub_u16_sdwa v51, v51, v50 dst_sel:BYTE_1 dst_unused:UNUSED_PAD src0_sel:DWORD src1_sel:BYTE_3
	v_sub_u16_e32 v57, v52, v50
	v_sub_u16_sdwa v58, v52, v50 dst_sel:BYTE_1 dst_unused:UNUSED_PAD src0_sel:BYTE_1 src1_sel:BYTE_1
	v_sub_u16_sdwa v50, v52, v50 dst_sel:DWORD dst_unused:UNUSED_PAD src0_sel:WORD_1 src1_sel:WORD_1
	v_lshrrev_b32_e32 v52, 2, v53
	v_and_b32_e32 v59, 0x3030303, v52
	v_bfe_u32 v52, v52, 24, 2
	v_and_b32_e32 v60, 0x4040404, v60
	v_sub_u16_sdwa v52, v52, v60 dst_sel:BYTE_1 dst_unused:UNUSED_PAD src0_sel:DWORD src1_sel:BYTE_3
	v_sub_u16_e32 v61, v59, v60
	v_sub_u16_sdwa v62, v59, v60 dst_sel:BYTE_1 dst_unused:UNUSED_PAD src0_sel:BYTE_1 src1_sel:BYTE_1
	v_sub_u16_sdwa v59, v59, v60 dst_sel:DWORD dst_unused:UNUSED_PAD src0_sel:WORD_1 src1_sel:WORD_1
	v_or_b32_sdwa v57, v57, v58 dst_sel:DWORD dst_unused:UNUSED_PAD src0_sel:BYTE_0 src1_sel:DWORD
	v_or_b32_sdwa v50, v50, v51 dst_sel:WORD_1 dst_unused:UNUSED_PAD src0_sel:BYTE_0 src1_sel:DWORD
	v_or_b32_sdwa v51, v61, v62 dst_sel:DWORD dst_unused:UNUSED_PAD src0_sel:BYTE_0 src1_sel:DWORD
	v_or_b32_sdwa v52, v59, v52 dst_sel:WORD_1 dst_unused:UNUSED_PAD src0_sel:BYTE_0 src1_sel:DWORD
	v_or_b32_sdwa v50, v57, v50 dst_sel:DWORD dst_unused:UNUSED_PAD src0_sel:WORD_0 src1_sel:DWORD
	v_or_b32_sdwa v51, v51, v52 dst_sel:DWORD dst_unused:UNUSED_PAD src0_sel:WORD_0 src1_sel:DWORD
	v_dot4_i32_i8 v42, v50, v42, 0
	v_dot4_i32_i8 v43, v51, v43, 0
	v_mul_lo_u32 v42, v47, v42
	v_subrev_u32_e32 v47, 32, v48
	v_mul_lo_u32 v43, v47, v43
	v_and_b32_e32 v47, 0x4040404, v49
	v_cvt_f32_i32_e32 v42, v42
	v_cvt_f32_i32_e32 v43, v43
	v_fma_mix_f32 v42, v45, v42, 0 op_sel_hi:[1,0,0]
	v_fma_mix_f32 v42, v44, v43, v42 op_sel_hi:[1,0,0]
	s_waitcnt vmcnt(3)
	v_lshrrev_b32_e32 v44, v17, v55
	v_bfe_u32 v43, v54, v13, 4
	v_lshlrev_b32_e32 v44, 4, v44
	v_and_or_b32 v43, v44, 48, v43
	v_lshrrev_b32_e32 v44, 4, v53
	v_and_b32_e32 v45, 0x3030303, v44
	v_bfe_u32 v44, v44, 24, 2
	v_sub_u16_sdwa v44, v44, v47 dst_sel:BYTE_1 dst_unused:UNUSED_PAD src0_sel:DWORD src1_sel:BYTE_3
	v_sub_u16_e32 v48, v45, v47
	v_sub_u16_sdwa v50, v45, v47 dst_sel:BYTE_1 dst_unused:UNUSED_PAD src0_sel:BYTE_1 src1_sel:BYTE_1
	v_sub_u16_sdwa v45, v45, v47 dst_sel:DWORD dst_unused:UNUSED_PAD src0_sel:WORD_1 src1_sel:WORD_1
	v_or_b32_sdwa v47, v48, v50 dst_sel:DWORD dst_unused:UNUSED_PAD src0_sel:BYTE_0 src1_sel:DWORD
	v_or_b32_sdwa v44, v45, v44 dst_sel:WORD_1 dst_unused:UNUSED_PAD src0_sel:BYTE_0 src1_sel:DWORD
	v_or_b32_sdwa v44, v47, v44 dst_sel:DWORD dst_unused:UNUSED_PAD src0_sel:WORD_0 src1_sel:DWORD
	v_dot4_i32_i8 v40, v44, v40, 0
	v_subrev_u32_e32 v43, 32, v43
	v_mul_lo_u32 v40, v43, v40
	v_lshrrev_b32_e32 v44, 1, v49
	v_lshrrev_b32_e32 v43, 30, v53
	v_and_b32_e32 v44, 0x4040404, v44
	v_cvt_f32_i32_e32 v40, v40
	v_sub_u16_sdwa v43, v43, v44 dst_sel:BYTE_1 dst_unused:UNUSED_PAD src0_sel:DWORD src1_sel:BYTE_3
	v_fma_mix_f32 v40, v41, v40, v42 op_sel_hi:[1,0,0]
	s_waitcnt vmcnt(1)
	v_lshrrev_b32_e32 v42, v18, v46
	v_bfe_u32 v41, v56, v14, 4
	v_lshlrev_b32_e32 v42, 4, v42
	v_and_or_b32 v41, v42, 48, v41
	v_lshrrev_b32_e32 v42, 6, v53
	v_and_b32_e32 v42, 0x3030303, v42
	v_sub_u16_e32 v45, v42, v44
	v_sub_u16_sdwa v46, v42, v44 dst_sel:BYTE_1 dst_unused:UNUSED_PAD src0_sel:BYTE_1 src1_sel:BYTE_1
	v_sub_u16_sdwa v42, v42, v44 dst_sel:DWORD dst_unused:UNUSED_PAD src0_sel:WORD_1 src1_sel:WORD_1
	v_or_b32_sdwa v44, v45, v46 dst_sel:DWORD dst_unused:UNUSED_PAD src0_sel:BYTE_0 src1_sel:DWORD
	v_or_b32_sdwa v42, v42, v43 dst_sel:WORD_1 dst_unused:UNUSED_PAD src0_sel:BYTE_0 src1_sel:DWORD
	v_or_b32_sdwa v42, v44, v42 dst_sel:DWORD dst_unused:UNUSED_PAD src0_sel:WORD_0 src1_sel:DWORD
	v_dot4_i32_i8 v38, v42, v38, 0
	v_subrev_u32_e32 v41, 32, v41
	v_mul_lo_u32 v38, v41, v38
	v_cvt_f32_i32_e32 v38, v38
	v_fma_mix_f32 v38, v39, v38, v40 op_sel_hi:[1,0,0]
	s_waitcnt vmcnt(0)
	v_fma_mix_f32 v2, v38, v7, v2 op_sel_hi:[0,1,0]
	s_andn2_b64 exec, exec, s[0:1]
	s_cbranch_execnz .LBB243_3
; %bb.4:
	s_or_b64 exec, exec, s[0:1]
.LBB243_5:
	s_or_b64 exec, exec, s[10:11]
	v_mbcnt_lo_u32_b32 v1, -1, 0
	v_mbcnt_hi_u32_b32 v3, -1, v1
	v_and_b32_e32 v1, 64, v3
	v_add_u32_e32 v4, 64, v1
	v_xor_b32_e32 v1, 32, v3
	v_cmp_lt_i32_e32 vcc, v1, v4
	v_cndmask_b32_e32 v1, v3, v1, vcc
	v_lshlrev_b32_e32 v1, 2, v1
	ds_bpermute_b32 v1, v1, v2
	v_xor_b32_e32 v5, 16, v3
	v_cmp_lt_i32_e32 vcc, v5, v4
	s_waitcnt lgkmcnt(0)
	v_add_f32_e32 v1, v2, v1
	v_cndmask_b32_e32 v2, v3, v5, vcc
	v_lshlrev_b32_e32 v2, 2, v2
	ds_bpermute_b32 v2, v2, v1
	v_xor_b32_e32 v5, 8, v3
	v_cmp_lt_i32_e32 vcc, v5, v4
	s_waitcnt lgkmcnt(0)
	v_add_f32_e32 v1, v1, v2
	;; [unrolled: 7-line block ×5, first 2 shown]
	v_cndmask_b32_e32 v2, v3, v5, vcc
	v_lshlrev_b32_e32 v2, 2, v2
	ds_bpermute_b32 v2, v2, v1
	v_cmp_eq_u32_e32 vcc, 0, v0
	s_and_b64 exec, exec, vcc
	s_cbranch_execz .LBB243_7
; %bb.6:
	s_mul_i32 s0, s2, s8
	s_waitcnt lgkmcnt(0)
	v_add_f32_e32 v2, v1, v2
	v_add_u32_e32 v0, s0, v9
	v_mov_b32_e32 v1, 0
	v_lshlrev_b64 v[0:1], 2, v[0:1]
	v_mov_b32_e32 v3, s7
	v_add_co_u32_e32 v0, vcc, s6, v0
	v_addc_co_u32_e32 v1, vcc, v3, v1, vcc
	global_store_dword v[0:1], v2, off
.LBB243_7:
	s_endpgm
	.section	.rodata,"a",@progbits
	.p2align	6, 0x0
	.amdhsa_kernel _ZL9moe_vec_qIfLi256ELi16E10block_q3_KLi1EXadL_ZL17vec_dot_q3_K_q8_1PKvPK10block_q8_1RKiEEEvS2_S2_PT_PS6_iiii
		.amdhsa_group_segment_fixed_size 0
		.amdhsa_private_segment_fixed_size 0
		.amdhsa_kernarg_size 304
		.amdhsa_user_sgpr_count 6
		.amdhsa_user_sgpr_private_segment_buffer 1
		.amdhsa_user_sgpr_dispatch_ptr 0
		.amdhsa_user_sgpr_queue_ptr 0
		.amdhsa_user_sgpr_kernarg_segment_ptr 1
		.amdhsa_user_sgpr_dispatch_id 0
		.amdhsa_user_sgpr_flat_scratch_init 0
		.amdhsa_user_sgpr_private_segment_size 0
		.amdhsa_uses_dynamic_stack 0
		.amdhsa_system_sgpr_private_segment_wavefront_offset 0
		.amdhsa_system_sgpr_workgroup_id_x 1
		.amdhsa_system_sgpr_workgroup_id_y 0
		.amdhsa_system_sgpr_workgroup_id_z 1
		.amdhsa_system_sgpr_workgroup_info 0
		.amdhsa_system_vgpr_workitem_id 1
		.amdhsa_next_free_vgpr 63
		.amdhsa_next_free_sgpr 22
		.amdhsa_reserve_vcc 1
		.amdhsa_reserve_flat_scratch 0
		.amdhsa_float_round_mode_32 0
		.amdhsa_float_round_mode_16_64 0
		.amdhsa_float_denorm_mode_32 3
		.amdhsa_float_denorm_mode_16_64 3
		.amdhsa_dx10_clamp 1
		.amdhsa_ieee_mode 1
		.amdhsa_fp16_overflow 0
		.amdhsa_exception_fp_ieee_invalid_op 0
		.amdhsa_exception_fp_denorm_src 0
		.amdhsa_exception_fp_ieee_div_zero 0
		.amdhsa_exception_fp_ieee_overflow 0
		.amdhsa_exception_fp_ieee_underflow 0
		.amdhsa_exception_fp_ieee_inexact 0
		.amdhsa_exception_int_div_zero 0
	.end_amdhsa_kernel
	.section	.text._ZL9moe_vec_qIfLi256ELi16E10block_q3_KLi1EXadL_ZL17vec_dot_q3_K_q8_1PKvPK10block_q8_1RKiEEEvS2_S2_PT_PS6_iiii,"axG",@progbits,_ZL9moe_vec_qIfLi256ELi16E10block_q3_KLi1EXadL_ZL17vec_dot_q3_K_q8_1PKvPK10block_q8_1RKiEEEvS2_S2_PT_PS6_iiii,comdat
.Lfunc_end243:
	.size	_ZL9moe_vec_qIfLi256ELi16E10block_q3_KLi1EXadL_ZL17vec_dot_q3_K_q8_1PKvPK10block_q8_1RKiEEEvS2_S2_PT_PS6_iiii, .Lfunc_end243-_ZL9moe_vec_qIfLi256ELi16E10block_q3_KLi1EXadL_ZL17vec_dot_q3_K_q8_1PKvPK10block_q8_1RKiEEEvS2_S2_PT_PS6_iiii
                                        ; -- End function
	.set _ZL9moe_vec_qIfLi256ELi16E10block_q3_KLi1EXadL_ZL17vec_dot_q3_K_q8_1PKvPK10block_q8_1RKiEEEvS2_S2_PT_PS6_iiii.num_vgpr, 63
	.set _ZL9moe_vec_qIfLi256ELi16E10block_q3_KLi1EXadL_ZL17vec_dot_q3_K_q8_1PKvPK10block_q8_1RKiEEEvS2_S2_PT_PS6_iiii.num_agpr, 0
	.set _ZL9moe_vec_qIfLi256ELi16E10block_q3_KLi1EXadL_ZL17vec_dot_q3_K_q8_1PKvPK10block_q8_1RKiEEEvS2_S2_PT_PS6_iiii.numbered_sgpr, 22
	.set _ZL9moe_vec_qIfLi256ELi16E10block_q3_KLi1EXadL_ZL17vec_dot_q3_K_q8_1PKvPK10block_q8_1RKiEEEvS2_S2_PT_PS6_iiii.num_named_barrier, 0
	.set _ZL9moe_vec_qIfLi256ELi16E10block_q3_KLi1EXadL_ZL17vec_dot_q3_K_q8_1PKvPK10block_q8_1RKiEEEvS2_S2_PT_PS6_iiii.private_seg_size, 0
	.set _ZL9moe_vec_qIfLi256ELi16E10block_q3_KLi1EXadL_ZL17vec_dot_q3_K_q8_1PKvPK10block_q8_1RKiEEEvS2_S2_PT_PS6_iiii.uses_vcc, 1
	.set _ZL9moe_vec_qIfLi256ELi16E10block_q3_KLi1EXadL_ZL17vec_dot_q3_K_q8_1PKvPK10block_q8_1RKiEEEvS2_S2_PT_PS6_iiii.uses_flat_scratch, 0
	.set _ZL9moe_vec_qIfLi256ELi16E10block_q3_KLi1EXadL_ZL17vec_dot_q3_K_q8_1PKvPK10block_q8_1RKiEEEvS2_S2_PT_PS6_iiii.has_dyn_sized_stack, 0
	.set _ZL9moe_vec_qIfLi256ELi16E10block_q3_KLi1EXadL_ZL17vec_dot_q3_K_q8_1PKvPK10block_q8_1RKiEEEvS2_S2_PT_PS6_iiii.has_recursion, 0
	.set _ZL9moe_vec_qIfLi256ELi16E10block_q3_KLi1EXadL_ZL17vec_dot_q3_K_q8_1PKvPK10block_q8_1RKiEEEvS2_S2_PT_PS6_iiii.has_indirect_call, 0
	.section	.AMDGPU.csdata,"",@progbits
; Kernel info:
; codeLenInByte = 2012
; TotalNumSgprs: 26
; NumVgprs: 63
; ScratchSize: 0
; MemoryBound: 0
; FloatMode: 240
; IeeeMode: 1
; LDSByteSize: 0 bytes/workgroup (compile time only)
; SGPRBlocks: 3
; VGPRBlocks: 15
; NumSGPRsForWavesPerEU: 26
; NumVGPRsForWavesPerEU: 63
; Occupancy: 4
; WaveLimiterHint : 1
; COMPUTE_PGM_RSRC2:SCRATCH_EN: 0
; COMPUTE_PGM_RSRC2:USER_SGPR: 6
; COMPUTE_PGM_RSRC2:TRAP_HANDLER: 0
; COMPUTE_PGM_RSRC2:TGID_X_EN: 1
; COMPUTE_PGM_RSRC2:TGID_Y_EN: 0
; COMPUTE_PGM_RSRC2:TGID_Z_EN: 1
; COMPUTE_PGM_RSRC2:TIDIG_COMP_CNT: 1
	.section	.text._ZL9moe_vec_qIfLi256ELi32E10block_q4_KLi2EXadL_ZL17vec_dot_q4_K_q8_1PKvPK10block_q8_1RKiEEEvS2_S2_PT_PS6_iiii,"axG",@progbits,_ZL9moe_vec_qIfLi256ELi32E10block_q4_KLi2EXadL_ZL17vec_dot_q4_K_q8_1PKvPK10block_q8_1RKiEEEvS2_S2_PT_PS6_iiii,comdat
	.globl	_ZL9moe_vec_qIfLi256ELi32E10block_q4_KLi2EXadL_ZL17vec_dot_q4_K_q8_1PKvPK10block_q8_1RKiEEEvS2_S2_PT_PS6_iiii ; -- Begin function _ZL9moe_vec_qIfLi256ELi32E10block_q4_KLi2EXadL_ZL17vec_dot_q4_K_q8_1PKvPK10block_q8_1RKiEEEvS2_S2_PT_PS6_iiii
	.p2align	8
	.type	_ZL9moe_vec_qIfLi256ELi32E10block_q4_KLi2EXadL_ZL17vec_dot_q4_K_q8_1PKvPK10block_q8_1RKiEEEvS2_S2_PT_PS6_iiii,@function
_ZL9moe_vec_qIfLi256ELi32E10block_q4_KLi2EXadL_ZL17vec_dot_q4_K_q8_1PKvPK10block_q8_1RKiEEEvS2_S2_PT_PS6_iiii: ; @_ZL9moe_vec_qIfLi256ELi32E10block_q4_KLi2EXadL_ZL17vec_dot_q4_K_q8_1PKvPK10block_q8_1RKiEEEvS2_S2_PT_PS6_iiii
; %bb.0:
	s_mov_b32 s8, s7
	s_load_dword s7, s[4:5], 0x3c
	s_load_dwordx4 s[0:3], s[4:5], 0x20
	s_waitcnt lgkmcnt(0)
	s_lshr_b32 s7, s7, 16
	s_mul_i32 s6, s6, s7
	v_add_u32_e32 v9, s6, v1
	v_cmp_gt_u32_e32 vcc, s2, v9
	s_and_saveexec_b64 s[6:7], vcc
	s_cbranch_execz .LBB244_11
; %bb.1:
	s_load_dwordx2 s[6:7], s[4:5], 0x10
	s_ashr_i32 s9, s1, 31
	s_lshr_b32 s9, s9, 24
	s_add_i32 s1, s1, s9
	s_ashr_i32 s12, s1, 8
	v_lshrrev_b32_e32 v10, 4, v0
	v_cmp_gt_u32_e32 vcc, s12, v10
	v_mov_b32_e32 v11, 0
	s_and_saveexec_b64 s[10:11], vcc
	s_cbranch_execz .LBB244_9
; %bb.2:
	s_load_dwordx2 s[14:15], s[4:5], 0x18
	v_cvt_f32_u32_e32 v1, s0
	s_mov_b32 s9, 0
	s_lshl_b64 s[16:17], s[8:9], 2
	v_mul_lo_u32 v12, v9, s12
	s_waitcnt lgkmcnt(0)
	s_add_u32 s14, s14, s16
	v_rcp_iflag_f32_e32 v1, v1
	s_addc_u32 s15, s15, s17
	s_load_dword s1, s[14:15], 0x0
	s_load_dwordx4 s[16:19], s[4:5], 0x0
	s_mul_i32 s4, s12, s2
	v_mul_f32_e32 v1, 0x4f7ffffe, v1
	v_cvt_u32_f32_e32 v1, v1
	s_waitcnt lgkmcnt(0)
	s_mul_i32 s1, s4, s1
	s_mul_hi_i32 s4, s1, 0x90
	s_mulk_i32 s1, 0x90
	s_add_u32 s14, s16, s1
	s_addc_u32 s15, s17, s4
	s_sub_i32 s1, 0, s0
	v_readfirstlane_b32 s4, v1
	s_mul_i32 s1, s1, s4
	s_mul_hi_u32 s1, s4, s1
	s_add_i32 s4, s4, s1
	s_mul_hi_u32 s1, s8, s4
	s_mul_i32 s4, s1, s0
	s_sub_i32 s4, s8, s4
	s_add_i32 s5, s1, 1
	s_sub_i32 s16, s4, s0
	s_cmp_ge_u32 s4, s0
	s_cselect_b32 s1, s5, s1
	s_cselect_b32 s4, s16, s4
	s_add_i32 s5, s1, 1
	s_cmp_ge_u32 s4, s0
	s_cselect_b32 s0, s5, s1
	s_mul_i32 s0, s0, s3
	s_mov_b32 s1, s9
	s_lshl_b64 s[0:1], s[0:1], 2
	v_lshlrev_b32_e32 v1, 1, v0
	s_add_u32 s0, s18, s0
	v_bfe_u32 v5, v1, 3, 2
	s_addc_u32 s1, s19, s1
	v_and_b32_e32 v2, 30, v1
	v_lshlrev_b32_e32 v1, 1, v5
	v_cmp_lt_u32_e32 vcc, 15, v2
	v_mad_u64_u32 v[1:2], s[0:1], v1, 36, s[0:1]
	v_and_b32_e32 v6, 3, v0
	v_mov_b32_e32 v3, s14
	s_movk_i32 s13, 0x90
	v_lshlrev_b32_e32 v13, 5, v5
	v_mov_b32_e32 v11, 0
	v_lshlrev_b32_e32 v14, 2, v6
	v_lshlrev_b32_e32 v15, 3, v10
	s_mov_b64 s[4:5], 0
	v_mov_b32_e32 v4, s15
	v_lshlrev_b32_e32 v16, 1, v5
	s_mov_b32 s3, 0x5040100
	s_mov_b32 s9, 0x20004
	;; [unrolled: 1-line block ×3, first 2 shown]
	v_lshlrev_b32_e32 v17, 2, v6
	s_mov_b32 s15, 0x1010101
	s_branch .LBB244_4
.LBB244_3:                              ;   in Loop: Header=BB244_4 Depth=1
	s_or_b64 exec, exec, s[0:1]
	v_mad_i64_i32 v[7:8], s[0:1], v15, 36, v[1:2]
	v_add_u32_e32 v10, 4, v10
	v_add_u32_e32 v15, 32, v15
	v_add_co_u32_e64 v21, s[0:1], v7, v17
	v_addc_co_u32_e64 v22, s[0:1], 0, v8, s[0:1]
	global_load_dword v23, v[5:6], off
	global_load_dword v24, v[21:22], off offset:4
	global_load_dword v25, v[21:22], off offset:40
	;; [unrolled: 1-line block ×4, first 2 shown]
	global_load_dword v28, v[7:8], off
	global_load_dword v29, v[7:8], off offset:36
	s_waitcnt vmcnt(8)
	v_and_b32_e32 v5, 0xf0f0f0f, v18
	v_lshrrev_b32_e32 v8, 4, v18
	s_waitcnt vmcnt(7)
	v_and_b32_e32 v6, 0xf0f0f0f, v19
	v_lshrrev_b32_e32 v18, 4, v19
	v_and_b32_e32 v8, 0xf0f0f0f, v8
	v_and_b32_e32 v21, 0xff, v20
	;; [unrolled: 1-line block ×3, first 2 shown]
	v_lshrrev_b16_e32 v7, 8, v20
	v_lshrrev_b32_e32 v19, 24, v20
	v_bfe_u32 v20, v20, 16, 8
	v_cmp_le_u32_e64 s[0:1], s12, v10
	s_or_b64 s[4:5], s[0:1], s[4:5]
	s_waitcnt vmcnt(6)
	v_cvt_f32_f16_sdwa v22, v23 dst_sel:DWORD dst_unused:UNUSED_PAD src0_sel:WORD_1
	s_waitcnt vmcnt(5)
	v_dot4_i32_i8 v5, v5, v24, 0
	v_dot4_i32_i8 v24, s15, v24, 0
	s_waitcnt vmcnt(4)
	v_dot4_i32_i8 v8, v8, v25, 0
	v_dot4_i32_i8 v25, s15, v25, 0
	;; [unrolled: 3-line block ×4, first 2 shown]
	v_mul_lo_u32 v6, v6, v21
	v_mul_lo_u32 v5, v5, v20
	;; [unrolled: 1-line block ×4, first 2 shown]
	v_cvt_f32_i32_e32 v6, v6
	v_cvt_f32_i32_e32 v5, v5
	;; [unrolled: 1-line block ×4, first 2 shown]
	s_waitcnt vmcnt(1)
	v_fma_mix_f32 v6, v28, v6, 0 op_sel_hi:[1,0,0]
	v_fma_mix_f32 v5, v28, v5, 0 op_sel_hi:[1,0,0]
	s_waitcnt vmcnt(0)
	v_fma_mix_f32 v6, v29, v7, v6 op_sel_hi:[1,0,0]
	v_fma_mix_f32 v5, v29, v8, v5 op_sel_hi:[1,0,0]
	v_mul_f32_e32 v6, v6, v22
	v_fma_mix_f32 v5, v5, v23, -v6 op_sel_hi:[0,1,0]
	v_add_f32_e32 v11, v11, v5
	s_andn2_b64 exec, exec, s[4:5]
	s_cbranch_execz .LBB244_8
.LBB244_4:                              ; =>This Inner Loop Header: Depth=1
	v_add_u32_e32 v5, v12, v10
	v_mad_i64_i32 v[5:6], s[0:1], v5, s13, v[3:4]
                                        ; implicit-def: $vgpr20
	v_add_co_u32_e64 v7, s[0:1], v5, v13
	v_addc_co_u32_e64 v8, s[0:1], 0, v6, s[0:1]
	v_add_co_u32_e64 v7, s[0:1], v7, v14
	v_addc_co_u32_e64 v8, s[0:1], 0, v8, s[0:1]
	global_load_dword v18, v[7:8], off offset:16
	global_load_dword v19, v[7:8], off offset:32
	v_add_co_u32_e64 v7, s[0:1], v5, v16
	v_addc_co_u32_e64 v8, s[0:1], 0, v6, s[0:1]
	s_and_saveexec_b64 s[0:1], vcc
	s_xor_b64 s[0:1], exec, s[0:1]
	s_cbranch_execz .LBB244_6
; %bb.5:                                ;   in Loop: Header=BB244_4 Depth=1
	global_load_ushort v20, v[7:8], off
	global_load_ushort v21, v[7:8], off offset:8
	global_load_ushort v22, v[7:8], off offset:4
	s_waitcnt vmcnt(1)
	v_perm_b32 v7, v20, v21, s3
	s_waitcnt vmcnt(0)
	v_perm_b32 v8, v21, v22, s3
	v_pk_lshrrev_b16 v8, 2, v8
	v_pk_lshrrev_b16 v7, s9, v7
	v_and_b32_e32 v8, 0xf0f3030, v8
	v_and_or_b32 v20, v7, s14, v8
                                        ; implicit-def: $vgpr7_vgpr8
.LBB244_6:                              ;   in Loop: Header=BB244_4 Depth=1
	s_andn2_saveexec_b64 s[0:1], s[0:1]
	s_cbranch_execz .LBB244_3
; %bb.7:                                ;   in Loop: Header=BB244_4 Depth=1
	global_load_ushort v20, v[7:8], off offset:4
	global_load_ushort v21, v[7:8], off offset:8
	s_waitcnt vmcnt(0)
	v_perm_b32 v7, v20, v21, s3
	v_and_b32_e32 v20, 0x3f3f3f3f, v7
	s_branch .LBB244_3
.LBB244_8:
	s_or_b64 exec, exec, s[4:5]
.LBB244_9:
	s_or_b64 exec, exec, s[10:11]
	v_mbcnt_lo_u32_b32 v1, -1, 0
	v_mbcnt_hi_u32_b32 v2, -1, v1
	v_and_b32_e32 v1, 64, v2
	v_add_u32_e32 v3, 64, v1
	v_xor_b32_e32 v1, 32, v2
	v_cmp_lt_i32_e32 vcc, v1, v3
	v_cndmask_b32_e32 v1, v2, v1, vcc
	v_lshlrev_b32_e32 v1, 2, v1
	ds_bpermute_b32 v1, v1, v11
	v_xor_b32_e32 v4, 16, v2
	v_cmp_lt_i32_e32 vcc, v4, v3
	v_cndmask_b32_e32 v4, v2, v4, vcc
	v_lshlrev_b32_e32 v4, 2, v4
	s_waitcnt lgkmcnt(0)
	v_add_f32_e32 v1, v11, v1
	ds_bpermute_b32 v4, v4, v1
	v_xor_b32_e32 v5, 8, v2
	v_cmp_lt_i32_e32 vcc, v5, v3
	s_waitcnt lgkmcnt(0)
	v_add_f32_e32 v1, v1, v4
	v_cndmask_b32_e32 v4, v2, v5, vcc
	v_lshlrev_b32_e32 v4, 2, v4
	ds_bpermute_b32 v4, v4, v1
	v_xor_b32_e32 v5, 4, v2
	v_cmp_lt_i32_e32 vcc, v5, v3
	s_waitcnt lgkmcnt(0)
	v_add_f32_e32 v1, v1, v4
	v_cndmask_b32_e32 v4, v2, v5, vcc
	v_lshlrev_b32_e32 v4, 2, v4
	;; [unrolled: 7-line block ×3, first 2 shown]
	ds_bpermute_b32 v4, v4, v1
	v_xor_b32_e32 v5, 1, v2
	v_cmp_lt_i32_e32 vcc, v5, v3
	v_cndmask_b32_e32 v2, v2, v5, vcc
	v_lshlrev_b32_e32 v2, 2, v2
	s_waitcnt lgkmcnt(0)
	v_add_f32_e32 v1, v1, v4
	ds_bpermute_b32 v2, v2, v1
	v_cmp_eq_u32_e32 vcc, 0, v0
	s_and_b64 exec, exec, vcc
	s_cbranch_execz .LBB244_11
; %bb.10:
	s_mul_i32 s0, s2, s8
	s_waitcnt lgkmcnt(0)
	v_add_f32_e32 v2, v1, v2
	v_add_u32_e32 v0, s0, v9
	v_mov_b32_e32 v1, 0
	v_lshlrev_b64 v[0:1], 2, v[0:1]
	v_mov_b32_e32 v3, s7
	v_add_co_u32_e32 v0, vcc, s6, v0
	v_addc_co_u32_e32 v1, vcc, v3, v1, vcc
	global_store_dword v[0:1], v2, off
.LBB244_11:
	s_endpgm
	.section	.rodata,"a",@progbits
	.p2align	6, 0x0
	.amdhsa_kernel _ZL9moe_vec_qIfLi256ELi32E10block_q4_KLi2EXadL_ZL17vec_dot_q4_K_q8_1PKvPK10block_q8_1RKiEEEvS2_S2_PT_PS6_iiii
		.amdhsa_group_segment_fixed_size 0
		.amdhsa_private_segment_fixed_size 0
		.amdhsa_kernarg_size 304
		.amdhsa_user_sgpr_count 6
		.amdhsa_user_sgpr_private_segment_buffer 1
		.amdhsa_user_sgpr_dispatch_ptr 0
		.amdhsa_user_sgpr_queue_ptr 0
		.amdhsa_user_sgpr_kernarg_segment_ptr 1
		.amdhsa_user_sgpr_dispatch_id 0
		.amdhsa_user_sgpr_flat_scratch_init 0
		.amdhsa_user_sgpr_private_segment_size 0
		.amdhsa_uses_dynamic_stack 0
		.amdhsa_system_sgpr_private_segment_wavefront_offset 0
		.amdhsa_system_sgpr_workgroup_id_x 1
		.amdhsa_system_sgpr_workgroup_id_y 0
		.amdhsa_system_sgpr_workgroup_id_z 1
		.amdhsa_system_sgpr_workgroup_info 0
		.amdhsa_system_vgpr_workitem_id 1
		.amdhsa_next_free_vgpr 30
		.amdhsa_next_free_sgpr 20
		.amdhsa_reserve_vcc 1
		.amdhsa_reserve_flat_scratch 0
		.amdhsa_float_round_mode_32 0
		.amdhsa_float_round_mode_16_64 0
		.amdhsa_float_denorm_mode_32 3
		.amdhsa_float_denorm_mode_16_64 3
		.amdhsa_dx10_clamp 1
		.amdhsa_ieee_mode 1
		.amdhsa_fp16_overflow 0
		.amdhsa_exception_fp_ieee_invalid_op 0
		.amdhsa_exception_fp_denorm_src 0
		.amdhsa_exception_fp_ieee_div_zero 0
		.amdhsa_exception_fp_ieee_overflow 0
		.amdhsa_exception_fp_ieee_underflow 0
		.amdhsa_exception_fp_ieee_inexact 0
		.amdhsa_exception_int_div_zero 0
	.end_amdhsa_kernel
	.section	.text._ZL9moe_vec_qIfLi256ELi32E10block_q4_KLi2EXadL_ZL17vec_dot_q4_K_q8_1PKvPK10block_q8_1RKiEEEvS2_S2_PT_PS6_iiii,"axG",@progbits,_ZL9moe_vec_qIfLi256ELi32E10block_q4_KLi2EXadL_ZL17vec_dot_q4_K_q8_1PKvPK10block_q8_1RKiEEEvS2_S2_PT_PS6_iiii,comdat
.Lfunc_end244:
	.size	_ZL9moe_vec_qIfLi256ELi32E10block_q4_KLi2EXadL_ZL17vec_dot_q4_K_q8_1PKvPK10block_q8_1RKiEEEvS2_S2_PT_PS6_iiii, .Lfunc_end244-_ZL9moe_vec_qIfLi256ELi32E10block_q4_KLi2EXadL_ZL17vec_dot_q4_K_q8_1PKvPK10block_q8_1RKiEEEvS2_S2_PT_PS6_iiii
                                        ; -- End function
	.set _ZL9moe_vec_qIfLi256ELi32E10block_q4_KLi2EXadL_ZL17vec_dot_q4_K_q8_1PKvPK10block_q8_1RKiEEEvS2_S2_PT_PS6_iiii.num_vgpr, 30
	.set _ZL9moe_vec_qIfLi256ELi32E10block_q4_KLi2EXadL_ZL17vec_dot_q4_K_q8_1PKvPK10block_q8_1RKiEEEvS2_S2_PT_PS6_iiii.num_agpr, 0
	.set _ZL9moe_vec_qIfLi256ELi32E10block_q4_KLi2EXadL_ZL17vec_dot_q4_K_q8_1PKvPK10block_q8_1RKiEEEvS2_S2_PT_PS6_iiii.numbered_sgpr, 20
	.set _ZL9moe_vec_qIfLi256ELi32E10block_q4_KLi2EXadL_ZL17vec_dot_q4_K_q8_1PKvPK10block_q8_1RKiEEEvS2_S2_PT_PS6_iiii.num_named_barrier, 0
	.set _ZL9moe_vec_qIfLi256ELi32E10block_q4_KLi2EXadL_ZL17vec_dot_q4_K_q8_1PKvPK10block_q8_1RKiEEEvS2_S2_PT_PS6_iiii.private_seg_size, 0
	.set _ZL9moe_vec_qIfLi256ELi32E10block_q4_KLi2EXadL_ZL17vec_dot_q4_K_q8_1PKvPK10block_q8_1RKiEEEvS2_S2_PT_PS6_iiii.uses_vcc, 1
	.set _ZL9moe_vec_qIfLi256ELi32E10block_q4_KLi2EXadL_ZL17vec_dot_q4_K_q8_1PKvPK10block_q8_1RKiEEEvS2_S2_PT_PS6_iiii.uses_flat_scratch, 0
	.set _ZL9moe_vec_qIfLi256ELi32E10block_q4_KLi2EXadL_ZL17vec_dot_q4_K_q8_1PKvPK10block_q8_1RKiEEEvS2_S2_PT_PS6_iiii.has_dyn_sized_stack, 0
	.set _ZL9moe_vec_qIfLi256ELi32E10block_q4_KLi2EXadL_ZL17vec_dot_q4_K_q8_1PKvPK10block_q8_1RKiEEEvS2_S2_PT_PS6_iiii.has_recursion, 0
	.set _ZL9moe_vec_qIfLi256ELi32E10block_q4_KLi2EXadL_ZL17vec_dot_q4_K_q8_1PKvPK10block_q8_1RKiEEEvS2_S2_PT_PS6_iiii.has_indirect_call, 0
	.section	.AMDGPU.csdata,"",@progbits
; Kernel info:
; codeLenInByte = 1268
; TotalNumSgprs: 24
; NumVgprs: 30
; ScratchSize: 0
; MemoryBound: 0
; FloatMode: 240
; IeeeMode: 1
; LDSByteSize: 0 bytes/workgroup (compile time only)
; SGPRBlocks: 2
; VGPRBlocks: 7
; NumSGPRsForWavesPerEU: 24
; NumVGPRsForWavesPerEU: 30
; Occupancy: 8
; WaveLimiterHint : 1
; COMPUTE_PGM_RSRC2:SCRATCH_EN: 0
; COMPUTE_PGM_RSRC2:USER_SGPR: 6
; COMPUTE_PGM_RSRC2:TRAP_HANDLER: 0
; COMPUTE_PGM_RSRC2:TGID_X_EN: 1
; COMPUTE_PGM_RSRC2:TGID_Y_EN: 0
; COMPUTE_PGM_RSRC2:TGID_Z_EN: 1
; COMPUTE_PGM_RSRC2:TIDIG_COMP_CNT: 1
	.section	.text._ZL9moe_vec_qIfLi256ELi32E10block_q5_KLi2EXadL_ZL17vec_dot_q5_K_q8_1PKvPK10block_q8_1RKiEEEvS2_S2_PT_PS6_iiii,"axG",@progbits,_ZL9moe_vec_qIfLi256ELi32E10block_q5_KLi2EXadL_ZL17vec_dot_q5_K_q8_1PKvPK10block_q8_1RKiEEEvS2_S2_PT_PS6_iiii,comdat
	.globl	_ZL9moe_vec_qIfLi256ELi32E10block_q5_KLi2EXadL_ZL17vec_dot_q5_K_q8_1PKvPK10block_q8_1RKiEEEvS2_S2_PT_PS6_iiii ; -- Begin function _ZL9moe_vec_qIfLi256ELi32E10block_q5_KLi2EXadL_ZL17vec_dot_q5_K_q8_1PKvPK10block_q8_1RKiEEEvS2_S2_PT_PS6_iiii
	.p2align	8
	.type	_ZL9moe_vec_qIfLi256ELi32E10block_q5_KLi2EXadL_ZL17vec_dot_q5_K_q8_1PKvPK10block_q8_1RKiEEEvS2_S2_PT_PS6_iiii,@function
_ZL9moe_vec_qIfLi256ELi32E10block_q5_KLi2EXadL_ZL17vec_dot_q5_K_q8_1PKvPK10block_q8_1RKiEEEvS2_S2_PT_PS6_iiii: ; @_ZL9moe_vec_qIfLi256ELi32E10block_q5_KLi2EXadL_ZL17vec_dot_q5_K_q8_1PKvPK10block_q8_1RKiEEEvS2_S2_PT_PS6_iiii
; %bb.0:
	s_mov_b32 s8, s7
	s_load_dword s7, s[4:5], 0x3c
	s_load_dwordx4 s[0:3], s[4:5], 0x20
	s_waitcnt lgkmcnt(0)
	s_lshr_b32 s7, s7, 16
	s_mul_i32 s6, s6, s7
	v_add_u32_e32 v9, s6, v1
	v_cmp_gt_u32_e32 vcc, s2, v9
	s_and_saveexec_b64 s[6:7], vcc
	s_cbranch_execz .LBB245_11
; %bb.1:
	s_load_dwordx2 s[6:7], s[4:5], 0x10
	s_ashr_i32 s9, s1, 31
	s_lshr_b32 s9, s9, 24
	s_add_i32 s1, s1, s9
	s_ashr_i32 s12, s1, 8
	v_lshrrev_b32_e32 v10, 4, v0
	v_cmp_gt_u32_e32 vcc, s12, v10
	v_mov_b32_e32 v11, 0
	s_and_saveexec_b64 s[10:11], vcc
	s_cbranch_execz .LBB245_9
; %bb.2:
	s_load_dwordx2 s[14:15], s[4:5], 0x18
	v_cvt_f32_u32_e32 v1, s0
	s_mov_b32 s9, 0
	s_lshl_b64 s[16:17], s[8:9], 2
	v_mul_lo_u32 v12, v9, s12
	s_waitcnt lgkmcnt(0)
	s_add_u32 s14, s14, s16
	v_rcp_iflag_f32_e32 v1, v1
	s_addc_u32 s15, s15, s17
	s_load_dword s1, s[14:15], 0x0
	s_load_dwordx4 s[16:19], s[4:5], 0x0
	s_mul_i32 s4, s12, s2
	v_mul_f32_e32 v1, 0x4f7ffffe, v1
	v_cvt_u32_f32_e32 v1, v1
	s_waitcnt lgkmcnt(0)
	s_mul_i32 s1, s4, s1
	s_mul_hi_i32 s4, s1, 0xb0
	s_mulk_i32 s1, 0xb0
	s_add_u32 s14, s16, s1
	s_addc_u32 s15, s17, s4
	s_sub_i32 s1, 0, s0
	v_readfirstlane_b32 s4, v1
	s_mul_i32 s1, s1, s4
	s_mul_hi_u32 s1, s4, s1
	s_add_i32 s4, s4, s1
	s_mul_hi_u32 s1, s8, s4
	s_mul_i32 s4, s1, s0
	s_sub_i32 s4, s8, s4
	s_add_i32 s5, s1, 1
	s_sub_i32 s16, s4, s0
	s_cmp_ge_u32 s4, s0
	s_cselect_b32 s1, s5, s1
	s_cselect_b32 s4, s16, s4
	s_add_i32 s5, s1, 1
	s_cmp_ge_u32 s4, s0
	s_cselect_b32 s0, s5, s1
	s_mul_i32 s0, s0, s3
	s_mov_b32 s1, s9
	s_lshl_b64 s[0:1], s[0:1], 2
	v_lshlrev_b32_e32 v1, 1, v0
	s_add_u32 s0, s18, s0
	v_bfe_u32 v5, v1, 3, 2
	s_addc_u32 s1, s19, s1
	v_and_b32_e32 v2, 30, v1
	v_lshlrev_b32_e32 v15, 1, v5
	v_cmp_lt_u32_e32 vcc, 15, v2
	v_mad_u64_u32 v[1:2], s[0:1], v15, 36, s[0:1]
	v_and_b32_e32 v6, 3, v0
	v_mov_b32_e32 v3, s14
	s_movk_i32 s13, 0xb0
	v_lshlrev_b32_e32 v13, 5, v5
	v_mov_b32_e32 v11, 0
	v_lshlrev_b32_e32 v14, 2, v6
	v_lshlrev_b32_e32 v16, 3, v10
	s_mov_b64 s[4:5], 0
	v_mov_b32_e32 v4, s15
	v_lshlrev_b32_e32 v17, 1, v5
	s_mov_b32 s3, 0x5040100
	s_mov_b32 s9, 0x20004
	;; [unrolled: 1-line block ×3, first 2 shown]
	v_lshlrev_b32_e32 v18, 2, v6
	s_mov_b32 s15, 0x10101010
	s_mov_b32 s16, 0x1010101
	s_branch .LBB245_4
.LBB245_3:                              ;   in Loop: Header=BB245_4 Depth=1
	s_or_b64 exec, exec, s[0:1]
	v_mad_i64_i32 v[7:8], s[0:1], v16, 36, v[1:2]
	v_add_u32_e32 v10, 4, v10
	v_add_u32_e32 v16, 32, v16
	v_add_co_u32_e64 v24, s[0:1], v7, v18
	v_addc_co_u32_e64 v25, s[0:1], 0, v8, s[0:1]
	global_load_dword v26, v[5:6], off
	global_load_dword v27, v[24:25], off offset:20
	global_load_dword v28, v[24:25], off offset:56
	;; [unrolled: 1-line block ×4, first 2 shown]
	global_load_dword v31, v[7:8], off
                                        ; kill: killed $vgpr5 killed $vgpr6
                                        ; kill: killed $vgpr24 killed $vgpr25
	global_load_dword v5, v[7:8], off offset:36
	s_waitcnt vmcnt(7)
	v_ashrrev_i32_e32 v6, v15, v23
	v_ashrrev_i32_e32 v7, v15, v22
	v_and_b32_e32 v8, 0xf0f0f0f, v21
	v_and_b32_e32 v22, 0xf0f0f0f, v19
	v_lshrrev_b32_e32 v21, 4, v21
	v_lshrrev_b32_e32 v19, 4, v19
	v_lshlrev_b32_e32 v33, 4, v6
	v_lshlrev_b32_e32 v32, 4, v7
	v_and_b32_e32 v21, 0xf0f0f0f, v21
	v_lshlrev_b32_e32 v7, 3, v7
	v_and_b32_e32 v19, 0xf0f0f0f, v19
	v_lshlrev_b32_e32 v6, 3, v6
	v_and_or_b32 v22, v33, s15, v22
	v_and_or_b32 v8, v32, s15, v8
	;; [unrolled: 1-line block ×4, first 2 shown]
	v_lshrrev_b16_e32 v23, 8, v20
	v_lshrrev_b32_e32 v24, 24, v20
	v_and_b32_e32 v25, 0xff, v20
	v_bfe_u32 v20, v20, 16, 8
	v_cmp_le_u32_e64 s[0:1], s12, v10
	s_or_b64 s[4:5], s[0:1], s[4:5]
	s_waitcnt vmcnt(6)
	v_cvt_f32_f16_sdwa v19, v26 dst_sel:DWORD dst_unused:UNUSED_PAD src0_sel:WORD_1
	s_waitcnt vmcnt(5)
	v_dot4_i32_i8 v21, v22, v27, 0
	v_dot4_i32_i8 v22, s16, v27, 0
	s_waitcnt vmcnt(4)
	v_dot4_i32_i8 v6, v6, v28, 0
	v_dot4_i32_i8 v27, s16, v28, 0
	;; [unrolled: 3-line block ×3, first 2 shown]
	v_dot4_i32_i8 v6, v7, v29, v6
	v_dot4_i32_i8 v7, s16, v29, v27
	v_mul_lo_u32 v8, v8, v20
	v_mul_lo_u32 v20, v21, v25
	v_mul_lo_u32 v6, v6, v24
	v_mul_lo_u32 v7, v7, v23
	v_cvt_f32_i32_e32 v8, v8
	v_cvt_f32_i32_e32 v20, v20
	;; [unrolled: 1-line block ×4, first 2 shown]
	s_waitcnt vmcnt(1)
	v_fma_mix_f32 v8, v31, v8, 0 op_sel_hi:[1,0,0]
	v_fma_mix_f32 v20, v31, v20, 0 op_sel_hi:[1,0,0]
	s_waitcnt vmcnt(0)
	v_fma_mix_f32 v6, v5, v6, v8 op_sel_hi:[1,0,0]
	v_fma_mix_f32 v5, v5, v7, v20 op_sel_hi:[1,0,0]
	v_mul_f32_e32 v5, v5, v19
	v_fma_mix_f32 v5, v6, v26, -v5 op_sel_hi:[0,1,0]
	v_add_f32_e32 v11, v11, v5
	s_andn2_b64 exec, exec, s[4:5]
	s_cbranch_execz .LBB245_8
.LBB245_4:                              ; =>This Inner Loop Header: Depth=1
	v_add_u32_e32 v5, v12, v10
	v_mad_i64_i32 v[5:6], s[0:1], v5, s13, v[3:4]
                                        ; implicit-def: $vgpr20
	v_add_co_u32_e64 v7, s[0:1], v5, v13
	v_addc_co_u32_e64 v8, s[0:1], 0, v6, s[0:1]
	v_add_co_u32_e64 v7, s[0:1], v7, v14
	v_addc_co_u32_e64 v8, s[0:1], 0, v8, s[0:1]
	;; [unrolled: 2-line block ×3, first 2 shown]
	global_load_dword v21, v[7:8], off offset:48
	global_load_dword v19, v[7:8], off offset:64
	global_load_dword v22, v[24:25], off offset:16
	global_load_dword v23, v[24:25], off offset:32
	v_add_co_u32_e64 v7, s[0:1], v5, v17
	v_addc_co_u32_e64 v8, s[0:1], 0, v6, s[0:1]
	s_and_saveexec_b64 s[0:1], vcc
	s_xor_b64 s[0:1], exec, s[0:1]
	s_cbranch_execz .LBB245_6
; %bb.5:                                ;   in Loop: Header=BB245_4 Depth=1
	global_load_ushort v20, v[7:8], off
	global_load_ushort v24, v[7:8], off offset:8
	global_load_ushort v25, v[7:8], off offset:4
	s_waitcnt vmcnt(1)
	v_perm_b32 v7, v20, v24, s3
	s_waitcnt vmcnt(0)
	v_perm_b32 v8, v24, v25, s3
	v_pk_lshrrev_b16 v8, 2, v8
	v_pk_lshrrev_b16 v7, s9, v7
	v_and_b32_e32 v8, 0xf0f3030, v8
	v_and_or_b32 v20, v7, s14, v8
                                        ; implicit-def: $vgpr7_vgpr8
.LBB245_6:                              ;   in Loop: Header=BB245_4 Depth=1
	s_andn2_saveexec_b64 s[0:1], s[0:1]
	s_cbranch_execz .LBB245_3
; %bb.7:                                ;   in Loop: Header=BB245_4 Depth=1
	global_load_ushort v20, v[7:8], off offset:4
	global_load_ushort v24, v[7:8], off offset:8
	s_waitcnt vmcnt(0)
	v_perm_b32 v7, v20, v24, s3
	v_and_b32_e32 v20, 0x3f3f3f3f, v7
	s_branch .LBB245_3
.LBB245_8:
	s_or_b64 exec, exec, s[4:5]
.LBB245_9:
	s_or_b64 exec, exec, s[10:11]
	v_mbcnt_lo_u32_b32 v1, -1, 0
	v_mbcnt_hi_u32_b32 v2, -1, v1
	v_and_b32_e32 v1, 64, v2
	v_add_u32_e32 v3, 64, v1
	v_xor_b32_e32 v1, 32, v2
	v_cmp_lt_i32_e32 vcc, v1, v3
	v_cndmask_b32_e32 v1, v2, v1, vcc
	v_lshlrev_b32_e32 v1, 2, v1
	ds_bpermute_b32 v1, v1, v11
	v_xor_b32_e32 v4, 16, v2
	v_cmp_lt_i32_e32 vcc, v4, v3
	v_cndmask_b32_e32 v4, v2, v4, vcc
	v_lshlrev_b32_e32 v4, 2, v4
	s_waitcnt lgkmcnt(0)
	v_add_f32_e32 v1, v11, v1
	ds_bpermute_b32 v4, v4, v1
	v_xor_b32_e32 v5, 8, v2
	v_cmp_lt_i32_e32 vcc, v5, v3
	s_waitcnt lgkmcnt(0)
	v_add_f32_e32 v1, v1, v4
	v_cndmask_b32_e32 v4, v2, v5, vcc
	v_lshlrev_b32_e32 v4, 2, v4
	ds_bpermute_b32 v4, v4, v1
	v_xor_b32_e32 v5, 4, v2
	v_cmp_lt_i32_e32 vcc, v5, v3
	s_waitcnt lgkmcnt(0)
	v_add_f32_e32 v1, v1, v4
	v_cndmask_b32_e32 v4, v2, v5, vcc
	v_lshlrev_b32_e32 v4, 2, v4
	;; [unrolled: 7-line block ×3, first 2 shown]
	ds_bpermute_b32 v4, v4, v1
	v_xor_b32_e32 v5, 1, v2
	v_cmp_lt_i32_e32 vcc, v5, v3
	v_cndmask_b32_e32 v2, v2, v5, vcc
	v_lshlrev_b32_e32 v2, 2, v2
	s_waitcnt lgkmcnt(0)
	v_add_f32_e32 v1, v1, v4
	ds_bpermute_b32 v2, v2, v1
	v_cmp_eq_u32_e32 vcc, 0, v0
	s_and_b64 exec, exec, vcc
	s_cbranch_execz .LBB245_11
; %bb.10:
	s_mul_i32 s0, s2, s8
	s_waitcnt lgkmcnt(0)
	v_add_f32_e32 v2, v1, v2
	v_add_u32_e32 v0, s0, v9
	v_mov_b32_e32 v1, 0
	v_lshlrev_b64 v[0:1], 2, v[0:1]
	v_mov_b32_e32 v3, s7
	v_add_co_u32_e32 v0, vcc, s6, v0
	v_addc_co_u32_e32 v1, vcc, v3, v1, vcc
	global_store_dword v[0:1], v2, off
.LBB245_11:
	s_endpgm
	.section	.rodata,"a",@progbits
	.p2align	6, 0x0
	.amdhsa_kernel _ZL9moe_vec_qIfLi256ELi32E10block_q5_KLi2EXadL_ZL17vec_dot_q5_K_q8_1PKvPK10block_q8_1RKiEEEvS2_S2_PT_PS6_iiii
		.amdhsa_group_segment_fixed_size 0
		.amdhsa_private_segment_fixed_size 0
		.amdhsa_kernarg_size 304
		.amdhsa_user_sgpr_count 6
		.amdhsa_user_sgpr_private_segment_buffer 1
		.amdhsa_user_sgpr_dispatch_ptr 0
		.amdhsa_user_sgpr_queue_ptr 0
		.amdhsa_user_sgpr_kernarg_segment_ptr 1
		.amdhsa_user_sgpr_dispatch_id 0
		.amdhsa_user_sgpr_flat_scratch_init 0
		.amdhsa_user_sgpr_private_segment_size 0
		.amdhsa_uses_dynamic_stack 0
		.amdhsa_system_sgpr_private_segment_wavefront_offset 0
		.amdhsa_system_sgpr_workgroup_id_x 1
		.amdhsa_system_sgpr_workgroup_id_y 0
		.amdhsa_system_sgpr_workgroup_id_z 1
		.amdhsa_system_sgpr_workgroup_info 0
		.amdhsa_system_vgpr_workitem_id 1
		.amdhsa_next_free_vgpr 34
		.amdhsa_next_free_sgpr 20
		.amdhsa_reserve_vcc 1
		.amdhsa_reserve_flat_scratch 0
		.amdhsa_float_round_mode_32 0
		.amdhsa_float_round_mode_16_64 0
		.amdhsa_float_denorm_mode_32 3
		.amdhsa_float_denorm_mode_16_64 3
		.amdhsa_dx10_clamp 1
		.amdhsa_ieee_mode 1
		.amdhsa_fp16_overflow 0
		.amdhsa_exception_fp_ieee_invalid_op 0
		.amdhsa_exception_fp_denorm_src 0
		.amdhsa_exception_fp_ieee_div_zero 0
		.amdhsa_exception_fp_ieee_overflow 0
		.amdhsa_exception_fp_ieee_underflow 0
		.amdhsa_exception_fp_ieee_inexact 0
		.amdhsa_exception_int_div_zero 0
	.end_amdhsa_kernel
	.section	.text._ZL9moe_vec_qIfLi256ELi32E10block_q5_KLi2EXadL_ZL17vec_dot_q5_K_q8_1PKvPK10block_q8_1RKiEEEvS2_S2_PT_PS6_iiii,"axG",@progbits,_ZL9moe_vec_qIfLi256ELi32E10block_q5_KLi2EXadL_ZL17vec_dot_q5_K_q8_1PKvPK10block_q8_1RKiEEEvS2_S2_PT_PS6_iiii,comdat
.Lfunc_end245:
	.size	_ZL9moe_vec_qIfLi256ELi32E10block_q5_KLi2EXadL_ZL17vec_dot_q5_K_q8_1PKvPK10block_q8_1RKiEEEvS2_S2_PT_PS6_iiii, .Lfunc_end245-_ZL9moe_vec_qIfLi256ELi32E10block_q5_KLi2EXadL_ZL17vec_dot_q5_K_q8_1PKvPK10block_q8_1RKiEEEvS2_S2_PT_PS6_iiii
                                        ; -- End function
	.set _ZL9moe_vec_qIfLi256ELi32E10block_q5_KLi2EXadL_ZL17vec_dot_q5_K_q8_1PKvPK10block_q8_1RKiEEEvS2_S2_PT_PS6_iiii.num_vgpr, 34
	.set _ZL9moe_vec_qIfLi256ELi32E10block_q5_KLi2EXadL_ZL17vec_dot_q5_K_q8_1PKvPK10block_q8_1RKiEEEvS2_S2_PT_PS6_iiii.num_agpr, 0
	.set _ZL9moe_vec_qIfLi256ELi32E10block_q5_KLi2EXadL_ZL17vec_dot_q5_K_q8_1PKvPK10block_q8_1RKiEEEvS2_S2_PT_PS6_iiii.numbered_sgpr, 20
	.set _ZL9moe_vec_qIfLi256ELi32E10block_q5_KLi2EXadL_ZL17vec_dot_q5_K_q8_1PKvPK10block_q8_1RKiEEEvS2_S2_PT_PS6_iiii.num_named_barrier, 0
	.set _ZL9moe_vec_qIfLi256ELi32E10block_q5_KLi2EXadL_ZL17vec_dot_q5_K_q8_1PKvPK10block_q8_1RKiEEEvS2_S2_PT_PS6_iiii.private_seg_size, 0
	.set _ZL9moe_vec_qIfLi256ELi32E10block_q5_KLi2EXadL_ZL17vec_dot_q5_K_q8_1PKvPK10block_q8_1RKiEEEvS2_S2_PT_PS6_iiii.uses_vcc, 1
	.set _ZL9moe_vec_qIfLi256ELi32E10block_q5_KLi2EXadL_ZL17vec_dot_q5_K_q8_1PKvPK10block_q8_1RKiEEEvS2_S2_PT_PS6_iiii.uses_flat_scratch, 0
	.set _ZL9moe_vec_qIfLi256ELi32E10block_q5_KLi2EXadL_ZL17vec_dot_q5_K_q8_1PKvPK10block_q8_1RKiEEEvS2_S2_PT_PS6_iiii.has_dyn_sized_stack, 0
	.set _ZL9moe_vec_qIfLi256ELi32E10block_q5_KLi2EXadL_ZL17vec_dot_q5_K_q8_1PKvPK10block_q8_1RKiEEEvS2_S2_PT_PS6_iiii.has_recursion, 0
	.set _ZL9moe_vec_qIfLi256ELi32E10block_q5_KLi2EXadL_ZL17vec_dot_q5_K_q8_1PKvPK10block_q8_1RKiEEEvS2_S2_PT_PS6_iiii.has_indirect_call, 0
	.section	.AMDGPU.csdata,"",@progbits
; Kernel info:
; codeLenInByte = 1356
; TotalNumSgprs: 24
; NumVgprs: 34
; ScratchSize: 0
; MemoryBound: 0
; FloatMode: 240
; IeeeMode: 1
; LDSByteSize: 0 bytes/workgroup (compile time only)
; SGPRBlocks: 2
; VGPRBlocks: 8
; NumSGPRsForWavesPerEU: 24
; NumVGPRsForWavesPerEU: 34
; Occupancy: 7
; WaveLimiterHint : 1
; COMPUTE_PGM_RSRC2:SCRATCH_EN: 0
; COMPUTE_PGM_RSRC2:USER_SGPR: 6
; COMPUTE_PGM_RSRC2:TRAP_HANDLER: 0
; COMPUTE_PGM_RSRC2:TGID_X_EN: 1
; COMPUTE_PGM_RSRC2:TGID_Y_EN: 0
; COMPUTE_PGM_RSRC2:TGID_Z_EN: 1
; COMPUTE_PGM_RSRC2:TIDIG_COMP_CNT: 1
	.section	.text._ZL9moe_vec_qIfLi256ELi32E10block_q6_KLi1EXadL_ZL17vec_dot_q6_K_q8_1PKvPK10block_q8_1RKiEEEvS2_S2_PT_PS6_iiii,"axG",@progbits,_ZL9moe_vec_qIfLi256ELi32E10block_q6_KLi1EXadL_ZL17vec_dot_q6_K_q8_1PKvPK10block_q8_1RKiEEEvS2_S2_PT_PS6_iiii,comdat
	.globl	_ZL9moe_vec_qIfLi256ELi32E10block_q6_KLi1EXadL_ZL17vec_dot_q6_K_q8_1PKvPK10block_q8_1RKiEEEvS2_S2_PT_PS6_iiii ; -- Begin function _ZL9moe_vec_qIfLi256ELi32E10block_q6_KLi1EXadL_ZL17vec_dot_q6_K_q8_1PKvPK10block_q8_1RKiEEEvS2_S2_PT_PS6_iiii
	.p2align	8
	.type	_ZL9moe_vec_qIfLi256ELi32E10block_q6_KLi1EXadL_ZL17vec_dot_q6_K_q8_1PKvPK10block_q8_1RKiEEEvS2_S2_PT_PS6_iiii,@function
_ZL9moe_vec_qIfLi256ELi32E10block_q6_KLi1EXadL_ZL17vec_dot_q6_K_q8_1PKvPK10block_q8_1RKiEEEvS2_S2_PT_PS6_iiii: ; @_ZL9moe_vec_qIfLi256ELi32E10block_q6_KLi1EXadL_ZL17vec_dot_q6_K_q8_1PKvPK10block_q8_1RKiEEEvS2_S2_PT_PS6_iiii
; %bb.0:
	s_mov_b32 s8, s7
	s_load_dword s7, s[4:5], 0x3c
	s_load_dwordx4 s[0:3], s[4:5], 0x20
	s_waitcnt lgkmcnt(0)
	s_lshr_b32 s7, s7, 16
	s_mul_i32 s6, s6, s7
	v_add_u32_e32 v5, s6, v1
	v_cmp_gt_u32_e32 vcc, s2, v5
	s_and_saveexec_b64 s[6:7], vcc
	s_cbranch_execz .LBB246_7
; %bb.1:
	s_load_dwordx2 s[6:7], s[4:5], 0x10
	s_ashr_i32 s9, s1, 31
	s_lshr_b32 s9, s9, 24
	s_add_i32 s1, s1, s9
	s_ashr_i32 s12, s1, 8
	v_lshrrev_b32_e32 v6, 5, v0
	v_cmp_gt_u32_e32 vcc, s12, v6
	v_mov_b32_e32 v7, 0
	s_and_saveexec_b64 s[10:11], vcc
	s_cbranch_execz .LBB246_5
; %bb.2:
	s_load_dwordx2 s[14:15], s[4:5], 0x18
	v_cvt_f32_u32_e32 v1, s0
	s_mov_b32 s9, 0
	s_lshl_b64 s[16:17], s[8:9], 2
	v_mul_lo_u32 v8, v5, s12
	s_waitcnt lgkmcnt(0)
	s_add_u32 s14, s14, s16
	v_rcp_iflag_f32_e32 v1, v1
	s_addc_u32 s15, s15, s17
	s_load_dword s1, s[14:15], 0x0
	s_load_dwordx4 s[16:19], s[4:5], 0x0
	s_mul_i32 s4, s12, s2
	v_mul_f32_e32 v1, 0x4f7ffffe, v1
	v_cvt_u32_f32_e32 v1, v1
	s_waitcnt lgkmcnt(0)
	s_mul_i32 s1, s4, s1
	s_mul_hi_i32 s4, s1, 0xd2
	s_mulk_i32 s1, 0xd2
	s_add_u32 s14, s16, s1
	s_addc_u32 s15, s17, s4
	s_sub_i32 s1, 0, s0
	v_readfirstlane_b32 s4, v1
	s_mul_i32 s1, s1, s4
	s_mul_hi_u32 s1, s4, s1
	s_add_i32 s4, s4, s1
	s_mul_hi_u32 s1, s8, s4
	s_mul_i32 s4, s1, s0
	s_sub_i32 s4, s8, s4
	s_add_i32 s5, s1, 1
	s_sub_i32 s16, s4, s0
	s_cmp_ge_u32 s4, s0
	s_cselect_b32 s1, s5, s1
	s_cselect_b32 s4, s16, s4
	s_add_i32 s5, s1, 1
	s_cmp_ge_u32 s4, s0
	s_cselect_b32 s0, s5, s1
	v_and_b32_e32 v1, 31, v0
	s_mul_i32 s0, s0, s3
	s_mov_b32 s1, s9
	v_add_u32_e32 v2, 0xf0, v1
	v_cmp_gt_u32_e32 vcc, 16, v1
	s_lshl_b64 s[0:1], s[0:1], 2
	v_cndmask_b32_e32 v3, v2, v1, vcc
	v_cmp_lt_u32_e32 vcc, 15, v1
	s_add_u32 s0, s18, s0
	v_lshlrev_b32_e32 v9, 2, v1
	v_cndmask_b32_e64 v13, 0, 8, vcc
	v_and_b32_e32 v1, 7, v0
	s_addc_u32 s1, s19, s1
	v_or_b32_e32 v2, v13, v1
	v_lshlrev_b32_e32 v11, 2, v1
	v_cndmask_b32_e64 v1, 0, 4, vcc
	v_lshlrev_b32_e32 v10, 2, v2
	v_mad_u64_u32 v[1:2], s[0:1], v1, 36, s[0:1]
	v_and_b32_e32 v4, 0xf8, v3
	v_cmp_ne_u32_e32 vcc, 0, v4
	v_cndmask_b32_e64 v4, 0, 1, vcc
	v_mad_u64_u32 v[1:2], s[0:1], v4, 36, v[1:2]
	v_bfe_u32 v3, v3, 2, 6
	v_add_u32_e32 v13, v3, v13
	v_mov_b32_e32 v3, s14
	s_movk_i32 s13, 0xd2
	v_mov_b32_e32 v7, 0
	v_cndmask_b32_e64 v12, 0, 2, vcc
	v_lshlrev_b32_e32 v14, 3, v6
	s_mov_b64 s[4:5], 0
	v_mov_b32_e32 v4, s15
	s_mov_b32 s3, 0x30303030
	s_movk_i32 s9, 0x3f00
	s_movk_i32 s14, 0xe000
	v_mov_b32_e32 v15, 8
.LBB246_3:                              ; =>This Inner Loop Header: Depth=1
	v_add_u32_e32 v18, v8, v6
	v_mad_i64_i32 v[18:19], s[0:1], v18, s13, v[3:4]
	v_mad_i64_i32 v[16:17], s[0:1], v14, 36, v[1:2]
	v_add_co_u32_e64 v21, s[0:1], v18, v9
	v_addc_co_u32_e64 v22, s[0:1], 0, v19, s[0:1]
	v_add_co_u32_e64 v23, s[0:1], v18, v10
	v_addc_co_u32_e64 v24, s[0:1], 0, v19, s[0:1]
	global_load_dword v25, v[23:24], off offset:128
	global_load_dword v26, v[21:22], off
	v_add_co_u32_e32 v20, vcc, v16, v11
	v_addc_co_u32_e32 v21, vcc, 0, v17, vcc
	global_load_dword v22, v[20:21], off offset:4
	global_load_dword v23, v[20:21], off offset:76
	v_add_co_u32_e32 v20, vcc, v18, v13
	v_addc_co_u32_e32 v21, vcc, 0, v19, vcc
	global_load_sbyte v24, v[20:21], off offset:192
	global_load_sbyte v27, v[20:21], off offset:196
	global_load_dword v28, v[16:17], off
	global_load_dword v29, v[16:17], off offset:72
	global_load_ushort v30, v[18:19], off offset:208
	v_add_u32_e32 v6, 2, v6
	v_cmp_le_u32_e32 vcc, s12, v6
	v_add_u32_e32 v14, 16, v14
	s_or_b64 s[4:5], vcc, s[4:5]
	s_waitcnt vmcnt(8)
	v_ashrrev_i32_e32 v16, v12, v25
	s_waitcnt vmcnt(7)
	v_and_b32_e32 v17, 0xf0f0f0f, v26
	v_lshrrev_b32_e32 v18, 4, v26
	v_lshlrev_b32_e32 v19, 4, v16
	v_and_b32_e32 v18, 0xf0f0f0f, v18
	v_and_or_b32 v17, v19, s3, v17
	v_and_or_b32 v16, v16, s3, v18
	v_lshlrev_b16_e32 v18, 8, v17
	v_and_b32_e32 v19, 0x3f00, v17
	v_and_b32_sdwa v20, v17, s9 dst_sel:DWORD dst_unused:UNUSED_PAD src0_sel:WORD_1 src1_sel:DWORD
	v_lshlrev_b16_sdwa v17, v15, v17 dst_sel:DWORD dst_unused:UNUSED_PAD src0_sel:DWORD src1_sel:WORD_1
	v_add_u16_e32 v18, 0xe000, v18
	v_lshlrev_b16_e32 v21, 8, v16
	v_and_b32_e32 v25, 0x3f00, v16
	v_or_b32_sdwa v18, v19, v18 dst_sel:DWORD dst_unused:UNUSED_PAD src0_sel:DWORD src1_sel:BYTE_1
	v_and_b32_sdwa v19, v16, s9 dst_sel:DWORD dst_unused:UNUSED_PAD src0_sel:WORD_1 src1_sel:DWORD
	v_lshlrev_b16_sdwa v16, v15, v16 dst_sel:DWORD dst_unused:UNUSED_PAD src0_sel:DWORD src1_sel:WORD_1
	v_add_u16_e32 v17, 0xe000, v17
	v_add_u16_e32 v21, 0xe000, v21
	;; [unrolled: 1-line block ×3, first 2 shown]
	v_or_b32_sdwa v17, v20, v17 dst_sel:DWORD dst_unused:UNUSED_PAD src0_sel:DWORD src1_sel:BYTE_1
	v_or_b32_sdwa v20, v25, v21 dst_sel:DWORD dst_unused:UNUSED_PAD src0_sel:DWORD src1_sel:BYTE_1
	;; [unrolled: 1-line block ×3, first 2 shown]
	v_add_u16_e32 v18, 0xe000, v18
	v_add_u16_sdwa v17, v17, s14 dst_sel:WORD_1 dst_unused:UNUSED_PAD src0_sel:DWORD src1_sel:DWORD
	v_add_u16_e32 v19, 0xe000, v20
	v_add_u16_sdwa v16, v16, s14 dst_sel:WORD_1 dst_unused:UNUSED_PAD src0_sel:DWORD src1_sel:DWORD
	v_or_b32_e32 v17, v18, v17
	v_or_b32_e32 v16, v19, v16
	s_waitcnt vmcnt(6)
	v_dot4_i32_i8 v17, v17, v22, 0
	s_waitcnt vmcnt(5)
	v_dot4_i32_i8 v16, v16, v23, 0
	s_waitcnt vmcnt(4)
	v_mul_lo_u32 v17, v17, v24
	s_waitcnt vmcnt(3)
	v_mul_lo_u32 v16, v16, v27
	v_cvt_f32_i32_e32 v17, v17
	v_cvt_f32_i32_e32 v16, v16
	s_waitcnt vmcnt(2)
	v_fma_mix_f32 v17, v28, v17, 0 op_sel_hi:[1,0,0]
	s_waitcnt vmcnt(1)
	v_fma_mix_f32 v16, v29, v16, v17 op_sel_hi:[1,0,0]
	;; [unrolled: 2-line block ×3, first 2 shown]
	s_andn2_b64 exec, exec, s[4:5]
	s_cbranch_execnz .LBB246_3
; %bb.4:
	s_or_b64 exec, exec, s[4:5]
.LBB246_5:
	s_or_b64 exec, exec, s[10:11]
	v_mbcnt_lo_u32_b32 v1, -1, 0
	v_mbcnt_hi_u32_b32 v2, -1, v1
	v_and_b32_e32 v1, 64, v2
	v_add_u32_e32 v3, 64, v1
	v_xor_b32_e32 v1, 32, v2
	v_cmp_lt_i32_e32 vcc, v1, v3
	v_cndmask_b32_e32 v1, v2, v1, vcc
	v_lshlrev_b32_e32 v1, 2, v1
	ds_bpermute_b32 v1, v1, v7
	v_xor_b32_e32 v4, 16, v2
	v_cmp_lt_i32_e32 vcc, v4, v3
	v_cndmask_b32_e32 v4, v2, v4, vcc
	v_lshlrev_b32_e32 v4, 2, v4
	s_waitcnt lgkmcnt(0)
	v_add_f32_e32 v1, v7, v1
	ds_bpermute_b32 v4, v4, v1
	v_xor_b32_e32 v6, 8, v2
	v_cmp_lt_i32_e32 vcc, v6, v3
	s_waitcnt lgkmcnt(0)
	v_add_f32_e32 v1, v1, v4
	v_cndmask_b32_e32 v4, v2, v6, vcc
	v_lshlrev_b32_e32 v4, 2, v4
	ds_bpermute_b32 v4, v4, v1
	v_xor_b32_e32 v6, 4, v2
	v_cmp_lt_i32_e32 vcc, v6, v3
	s_waitcnt lgkmcnt(0)
	v_add_f32_e32 v1, v1, v4
	v_cndmask_b32_e32 v4, v2, v6, vcc
	v_lshlrev_b32_e32 v4, 2, v4
	;; [unrolled: 7-line block ×3, first 2 shown]
	ds_bpermute_b32 v4, v4, v1
	v_xor_b32_e32 v6, 1, v2
	v_cmp_lt_i32_e32 vcc, v6, v3
	v_cndmask_b32_e32 v2, v2, v6, vcc
	v_lshlrev_b32_e32 v2, 2, v2
	s_waitcnt lgkmcnt(0)
	v_add_f32_e32 v1, v1, v4
	ds_bpermute_b32 v2, v2, v1
	v_cmp_eq_u32_e32 vcc, 0, v0
	s_and_b64 exec, exec, vcc
	s_cbranch_execz .LBB246_7
; %bb.6:
	s_mul_i32 s0, s2, s8
	s_waitcnt lgkmcnt(0)
	v_add_f32_e32 v2, v1, v2
	v_add_u32_e32 v0, s0, v5
	v_mov_b32_e32 v1, 0
	v_lshlrev_b64 v[0:1], 2, v[0:1]
	v_mov_b32_e32 v3, s7
	v_add_co_u32_e32 v0, vcc, s6, v0
	v_addc_co_u32_e32 v1, vcc, v3, v1, vcc
	global_store_dword v[0:1], v2, off
.LBB246_7:
	s_endpgm
	.section	.rodata,"a",@progbits
	.p2align	6, 0x0
	.amdhsa_kernel _ZL9moe_vec_qIfLi256ELi32E10block_q6_KLi1EXadL_ZL17vec_dot_q6_K_q8_1PKvPK10block_q8_1RKiEEEvS2_S2_PT_PS6_iiii
		.amdhsa_group_segment_fixed_size 0
		.amdhsa_private_segment_fixed_size 0
		.amdhsa_kernarg_size 304
		.amdhsa_user_sgpr_count 6
		.amdhsa_user_sgpr_private_segment_buffer 1
		.amdhsa_user_sgpr_dispatch_ptr 0
		.amdhsa_user_sgpr_queue_ptr 0
		.amdhsa_user_sgpr_kernarg_segment_ptr 1
		.amdhsa_user_sgpr_dispatch_id 0
		.amdhsa_user_sgpr_flat_scratch_init 0
		.amdhsa_user_sgpr_private_segment_size 0
		.amdhsa_uses_dynamic_stack 0
		.amdhsa_system_sgpr_private_segment_wavefront_offset 0
		.amdhsa_system_sgpr_workgroup_id_x 1
		.amdhsa_system_sgpr_workgroup_id_y 0
		.amdhsa_system_sgpr_workgroup_id_z 1
		.amdhsa_system_sgpr_workgroup_info 0
		.amdhsa_system_vgpr_workitem_id 1
		.amdhsa_next_free_vgpr 31
		.amdhsa_next_free_sgpr 20
		.amdhsa_reserve_vcc 1
		.amdhsa_reserve_flat_scratch 0
		.amdhsa_float_round_mode_32 0
		.amdhsa_float_round_mode_16_64 0
		.amdhsa_float_denorm_mode_32 3
		.amdhsa_float_denorm_mode_16_64 3
		.amdhsa_dx10_clamp 1
		.amdhsa_ieee_mode 1
		.amdhsa_fp16_overflow 0
		.amdhsa_exception_fp_ieee_invalid_op 0
		.amdhsa_exception_fp_denorm_src 0
		.amdhsa_exception_fp_ieee_div_zero 0
		.amdhsa_exception_fp_ieee_overflow 0
		.amdhsa_exception_fp_ieee_underflow 0
		.amdhsa_exception_fp_ieee_inexact 0
		.amdhsa_exception_int_div_zero 0
	.end_amdhsa_kernel
	.section	.text._ZL9moe_vec_qIfLi256ELi32E10block_q6_KLi1EXadL_ZL17vec_dot_q6_K_q8_1PKvPK10block_q8_1RKiEEEvS2_S2_PT_PS6_iiii,"axG",@progbits,_ZL9moe_vec_qIfLi256ELi32E10block_q6_KLi1EXadL_ZL17vec_dot_q6_K_q8_1PKvPK10block_q8_1RKiEEEvS2_S2_PT_PS6_iiii,comdat
.Lfunc_end246:
	.size	_ZL9moe_vec_qIfLi256ELi32E10block_q6_KLi1EXadL_ZL17vec_dot_q6_K_q8_1PKvPK10block_q8_1RKiEEEvS2_S2_PT_PS6_iiii, .Lfunc_end246-_ZL9moe_vec_qIfLi256ELi32E10block_q6_KLi1EXadL_ZL17vec_dot_q6_K_q8_1PKvPK10block_q8_1RKiEEEvS2_S2_PT_PS6_iiii
                                        ; -- End function
	.set _ZL9moe_vec_qIfLi256ELi32E10block_q6_KLi1EXadL_ZL17vec_dot_q6_K_q8_1PKvPK10block_q8_1RKiEEEvS2_S2_PT_PS6_iiii.num_vgpr, 31
	.set _ZL9moe_vec_qIfLi256ELi32E10block_q6_KLi1EXadL_ZL17vec_dot_q6_K_q8_1PKvPK10block_q8_1RKiEEEvS2_S2_PT_PS6_iiii.num_agpr, 0
	.set _ZL9moe_vec_qIfLi256ELi32E10block_q6_KLi1EXadL_ZL17vec_dot_q6_K_q8_1PKvPK10block_q8_1RKiEEEvS2_S2_PT_PS6_iiii.numbered_sgpr, 20
	.set _ZL9moe_vec_qIfLi256ELi32E10block_q6_KLi1EXadL_ZL17vec_dot_q6_K_q8_1PKvPK10block_q8_1RKiEEEvS2_S2_PT_PS6_iiii.num_named_barrier, 0
	.set _ZL9moe_vec_qIfLi256ELi32E10block_q6_KLi1EXadL_ZL17vec_dot_q6_K_q8_1PKvPK10block_q8_1RKiEEEvS2_S2_PT_PS6_iiii.private_seg_size, 0
	.set _ZL9moe_vec_qIfLi256ELi32E10block_q6_KLi1EXadL_ZL17vec_dot_q6_K_q8_1PKvPK10block_q8_1RKiEEEvS2_S2_PT_PS6_iiii.uses_vcc, 1
	.set _ZL9moe_vec_qIfLi256ELi32E10block_q6_KLi1EXadL_ZL17vec_dot_q6_K_q8_1PKvPK10block_q8_1RKiEEEvS2_S2_PT_PS6_iiii.uses_flat_scratch, 0
	.set _ZL9moe_vec_qIfLi256ELi32E10block_q6_KLi1EXadL_ZL17vec_dot_q6_K_q8_1PKvPK10block_q8_1RKiEEEvS2_S2_PT_PS6_iiii.has_dyn_sized_stack, 0
	.set _ZL9moe_vec_qIfLi256ELi32E10block_q6_KLi1EXadL_ZL17vec_dot_q6_K_q8_1PKvPK10block_q8_1RKiEEEvS2_S2_PT_PS6_iiii.has_recursion, 0
	.set _ZL9moe_vec_qIfLi256ELi32E10block_q6_KLi1EXadL_ZL17vec_dot_q6_K_q8_1PKvPK10block_q8_1RKiEEEvS2_S2_PT_PS6_iiii.has_indirect_call, 0
	.section	.AMDGPU.csdata,"",@progbits
; Kernel info:
; codeLenInByte = 1188
; TotalNumSgprs: 24
; NumVgprs: 31
; ScratchSize: 0
; MemoryBound: 0
; FloatMode: 240
; IeeeMode: 1
; LDSByteSize: 0 bytes/workgroup (compile time only)
; SGPRBlocks: 2
; VGPRBlocks: 7
; NumSGPRsForWavesPerEU: 24
; NumVGPRsForWavesPerEU: 31
; Occupancy: 8
; WaveLimiterHint : 1
; COMPUTE_PGM_RSRC2:SCRATCH_EN: 0
; COMPUTE_PGM_RSRC2:USER_SGPR: 6
; COMPUTE_PGM_RSRC2:TRAP_HANDLER: 0
; COMPUTE_PGM_RSRC2:TGID_X_EN: 1
; COMPUTE_PGM_RSRC2:TGID_Y_EN: 0
; COMPUTE_PGM_RSRC2:TGID_Z_EN: 1
; COMPUTE_PGM_RSRC2:TIDIG_COMP_CNT: 1
	.section	.text._ZL9moe_vec_qIfLi256ELi8E13block_iq2_xxsLi1EXadL_ZL20vec_dot_iq2_xxs_q8_1PKvPK10block_q8_1RKiEEEvS2_S2_PT_PS6_iiii,"axG",@progbits,_ZL9moe_vec_qIfLi256ELi8E13block_iq2_xxsLi1EXadL_ZL20vec_dot_iq2_xxs_q8_1PKvPK10block_q8_1RKiEEEvS2_S2_PT_PS6_iiii,comdat
	.globl	_ZL9moe_vec_qIfLi256ELi8E13block_iq2_xxsLi1EXadL_ZL20vec_dot_iq2_xxs_q8_1PKvPK10block_q8_1RKiEEEvS2_S2_PT_PS6_iiii ; -- Begin function _ZL9moe_vec_qIfLi256ELi8E13block_iq2_xxsLi1EXadL_ZL20vec_dot_iq2_xxs_q8_1PKvPK10block_q8_1RKiEEEvS2_S2_PT_PS6_iiii
	.p2align	8
	.type	_ZL9moe_vec_qIfLi256ELi8E13block_iq2_xxsLi1EXadL_ZL20vec_dot_iq2_xxs_q8_1PKvPK10block_q8_1RKiEEEvS2_S2_PT_PS6_iiii,@function
_ZL9moe_vec_qIfLi256ELi8E13block_iq2_xxsLi1EXadL_ZL20vec_dot_iq2_xxs_q8_1PKvPK10block_q8_1RKiEEEvS2_S2_PT_PS6_iiii: ; @_ZL9moe_vec_qIfLi256ELi8E13block_iq2_xxsLi1EXadL_ZL20vec_dot_iq2_xxs_q8_1PKvPK10block_q8_1RKiEEEvS2_S2_PT_PS6_iiii
; %bb.0:
	s_load_dword s0, s[4:5], 0x3c
	s_load_dwordx4 s[44:47], s[4:5], 0x20
	s_waitcnt lgkmcnt(0)
	s_lshr_b32 s0, s0, 16
	s_mul_i32 s6, s6, s0
	v_add_u32_e32 v9, s6, v1
	v_cmp_gt_u32_e32 vcc, s46, v9
	s_and_saveexec_b64 s[0:1], vcc
	s_cbranch_execz .LBB247_7
; %bb.1:
	s_load_dwordx2 s[50:51], s[4:5], 0x10
	s_ashr_i32 s0, s45, 31
	s_lshr_b32 s0, s0, 24
	s_add_i32 s0, s45, s0
	s_ashr_i32 s33, s0, 8
	v_lshrrev_b32_e32 v10, 3, v0
	s_mov_b32 s48, s7
	v_cmp_gt_u32_e32 vcc, s33, v10
	v_mov_b32_e32 v11, 0
	s_and_saveexec_b64 s[52:53], vcc
	s_cbranch_execz .LBB247_5
; %bb.2:
	s_load_dwordx2 s[0:1], s[4:5], 0x18
	v_cvt_f32_u32_e32 v1, s44
	s_mov_b32 s49, 0
	s_lshl_b64 s[2:3], s[48:49], 2
	v_mul_lo_u32 v12, v9, s33
	s_waitcnt lgkmcnt(0)
	s_add_u32 s6, s0, s2
	v_rcp_iflag_f32_e32 v1, v1
	s_addc_u32 s7, s1, s3
	s_load_dword s8, s[6:7], 0x0
	s_load_dwordx4 s[0:3], s[4:5], 0x0
	s_mul_i32 s4, s33, s46
	v_mul_f32_e32 v1, 0x4f7ffffe, v1
	v_cvt_u32_f32_e32 v1, v1
	s_waitcnt lgkmcnt(0)
	s_mul_i32 s4, s4, s8
	s_mul_hi_i32 s5, s4, 0x42
	s_mulk_i32 s4, 0x42
	s_add_u32 s0, s0, s4
	s_addc_u32 s1, s1, s5
	s_sub_i32 s4, 0, s44
	v_readfirstlane_b32 s5, v1
	s_mul_i32 s4, s4, s5
	s_mul_hi_u32 s4, s5, s4
	s_add_i32 s5, s5, s4
	s_mul_hi_u32 s4, s48, s5
	s_mul_i32 s5, s4, s44
	s_sub_i32 s5, s48, s5
	s_add_i32 s6, s4, 1
	s_sub_i32 s7, s5, s44
	s_cmp_ge_u32 s5, s44
	s_cselect_b32 s4, s6, s4
	s_cselect_b32 s5, s7, s5
	s_add_i32 s6, s4, 1
	s_cmp_ge_u32 s5, s44
	s_cselect_b32 s4, s6, s4
	s_mul_i32 s4, s4, s47
	s_mov_b32 s5, s49
	s_lshl_b64 s[4:5], s[4:5], 2
	s_add_u32 s2, s2, s4
	s_addc_u32 s3, s3, s5
	v_and_b32_e32 v1, 7, v0
	v_lshlrev_b32_e32 v5, 2, v1
	v_mad_u64_u32 v[1:2], s[2:3], v1, 36, s[2:3]
	v_mov_b32_e32 v4, s1
	s_movk_i32 s54, 0x42
	v_mov_b32_e32 v11, 0
	v_lshlrev_b32_e32 v13, 3, v10
	s_mov_b64 s[44:45], 0
	v_mov_b32_e32 v3, s0
	v_lshlrev_b32_e32 v14, 1, v5
	v_mov_b32_e32 v15, 3
.LBB247_3:                              ; =>This Inner Loop Header: Depth=1
	v_add_u32_e32 v5, v12, v10
	v_mad_i64_i32 v[5:6], s[2:3], v5, s54, v[3:4]
	v_mad_i64_i32 v[7:8], s[0:1], v13, 36, v[1:2]
	v_add_co_u32_e32 v53, vcc, v5, v14
	v_addc_co_u32_e32 v54, vcc, 0, v6, vcc
	global_load_dword v24, v[53:54], off offset:2
	s_getpc_b64 s[0:1]
	s_add_u32 s0, s0, _ZL11iq2xxs_grid@rel32@lo+4
	s_addc_u32 s1, s1, _ZL11iq2xxs_grid@rel32@hi+12
	global_load_dwordx4 v[16:19], v[7:8], off offset:4
	s_getpc_b64 s[6:7]
	s_add_u32 s6, s6, _ZL12ksigns_iq2xs@rel32@lo+4
	s_addc_u32 s7, s7, _ZL12ksigns_iq2xs@rel32@hi+12
	v_add_u32_e32 v10, 8, v10
	v_add_u32_e32 v13, 64, v13
	s_waitcnt vmcnt(1)
	v_lshlrev_b32_sdwa v25, v15, v24 dst_sel:DWORD dst_unused:UNUSED_PAD src0_sel:DWORD src1_sel:BYTE_0
	v_lshlrev_b32_sdwa v26, v15, v24 dst_sel:DWORD dst_unused:UNUSED_PAD src0_sel:DWORD src1_sel:BYTE_1
	global_load_dwordx2 v[20:21], v25, s[0:1]
	global_load_dwordx2 v[22:23], v26, s[0:1]
	s_waitcnt vmcnt(1)
	v_mul_i32_i24_sdwa v48, v20, sext(v16) dst_sel:DWORD dst_unused:UNUSED_PAD src0_sel:BYTE_0 src1_sel:BYTE_0
	v_mul_i32_i24_sdwa v47, v20, sext(v16) dst_sel:DWORD dst_unused:UNUSED_PAD src0_sel:BYTE_1 src1_sel:BYTE_1
	v_mul_i32_i24_sdwa v46, v20, sext(v16) dst_sel:DWORD dst_unused:UNUSED_PAD src0_sel:BYTE_2 src1_sel:BYTE_2
	v_mul_i32_i24_sdwa v45, v20, sext(v16) dst_sel:DWORD dst_unused:UNUSED_PAD src0_sel:BYTE_3 src1_sel:BYTE_3
	v_lshlrev_b32_sdwa v16, v15, v24 dst_sel:DWORD dst_unused:UNUSED_PAD src0_sel:DWORD src1_sel:BYTE_2
	v_mul_i32_i24_sdwa v44, v21, sext(v17) dst_sel:DWORD dst_unused:UNUSED_PAD src0_sel:BYTE_0 src1_sel:BYTE_0
	v_mul_i32_i24_sdwa v43, v21, sext(v17) dst_sel:DWORD dst_unused:UNUSED_PAD src0_sel:BYTE_1 src1_sel:BYTE_1
	v_mul_i32_i24_sdwa v42, v21, sext(v17) dst_sel:DWORD dst_unused:UNUSED_PAD src0_sel:BYTE_2 src1_sel:BYTE_2
	v_mul_i32_i24_sdwa v41, v21, sext(v17) dst_sel:DWORD dst_unused:UNUSED_PAD src0_sel:BYTE_3 src1_sel:BYTE_3
	global_load_dwordx2 v[16:17], v16, s[0:1]
	s_nop 0
	global_load_dwordx4 v[49:52], v[7:8], off offset:20
	s_waitcnt vmcnt(2)
	v_mul_i32_i24_sdwa v40, v22, sext(v18) dst_sel:DWORD dst_unused:UNUSED_PAD src0_sel:BYTE_0 src1_sel:BYTE_0
	v_mul_i32_i24_sdwa v38, v22, sext(v18) dst_sel:DWORD dst_unused:UNUSED_PAD src0_sel:BYTE_1 src1_sel:BYTE_1
	v_mul_i32_i24_sdwa v37, v22, sext(v18) dst_sel:DWORD dst_unused:UNUSED_PAD src0_sel:BYTE_2 src1_sel:BYTE_2
	v_mul_i32_i24_sdwa v36, v22, sext(v18) dst_sel:DWORD dst_unused:UNUSED_PAD src0_sel:BYTE_3 src1_sel:BYTE_3
	global_load_dword v39, v[53:54], off offset:6
	v_mul_i32_i24_sdwa v35, v23, sext(v19) dst_sel:DWORD dst_unused:UNUSED_PAD src0_sel:BYTE_0 src1_sel:BYTE_0
	v_mul_i32_i24_sdwa v34, v23, sext(v19) dst_sel:DWORD dst_unused:UNUSED_PAD src0_sel:BYTE_1 src1_sel:BYTE_1
	v_mul_i32_i24_sdwa v33, v23, sext(v19) dst_sel:DWORD dst_unused:UNUSED_PAD src0_sel:BYTE_2 src1_sel:BYTE_2
	v_mul_i32_i24_sdwa v29, v23, sext(v19) dst_sel:DWORD dst_unused:UNUSED_PAD src0_sel:BYTE_3 src1_sel:BYTE_3
	s_waitcnt vmcnt(1)
	v_mul_i32_i24_sdwa v32, v16, sext(v49) dst_sel:DWORD dst_unused:UNUSED_PAD src0_sel:BYTE_0 src1_sel:BYTE_0
	v_mul_i32_i24_sdwa v31, v16, sext(v49) dst_sel:DWORD dst_unused:UNUSED_PAD src0_sel:BYTE_1 src1_sel:BYTE_1
	v_mul_i32_i24_sdwa v30, v16, sext(v49) dst_sel:DWORD dst_unused:UNUSED_PAD src0_sel:BYTE_2 src1_sel:BYTE_2
	v_mul_i32_i24_sdwa v28, v16, sext(v49) dst_sel:DWORD dst_unused:UNUSED_PAD src0_sel:BYTE_3 src1_sel:BYTE_3
	v_lshlrev_b32_sdwa v16, v15, v24 dst_sel:DWORD dst_unused:UNUSED_PAD src0_sel:DWORD src1_sel:BYTE_3
	v_mul_i32_i24_sdwa v27, v17, sext(v50) dst_sel:DWORD dst_unused:UNUSED_PAD src0_sel:BYTE_0 src1_sel:BYTE_0
	v_mul_i32_i24_sdwa v26, v17, sext(v50) dst_sel:DWORD dst_unused:UNUSED_PAD src0_sel:BYTE_1 src1_sel:BYTE_1
	v_mul_i32_i24_sdwa v25, v17, sext(v50) dst_sel:DWORD dst_unused:UNUSED_PAD src0_sel:BYTE_2 src1_sel:BYTE_2
	v_mul_i32_i24_sdwa v22, v17, sext(v50) dst_sel:DWORD dst_unused:UNUSED_PAD src0_sel:BYTE_3 src1_sel:BYTE_3
	global_load_dwordx2 v[49:50], v16, s[0:1]
	s_waitcnt vmcnt(0)
	v_mul_i32_i24_sdwa v24, v49, sext(v51) dst_sel:DWORD dst_unused:UNUSED_PAD src0_sel:BYTE_0 src1_sel:BYTE_0
	v_mul_i32_i24_sdwa v23, v49, sext(v51) dst_sel:DWORD dst_unused:UNUSED_PAD src0_sel:BYTE_1 src1_sel:BYTE_1
	v_mul_i32_i24_sdwa v21, v49, sext(v51) dst_sel:DWORD dst_unused:UNUSED_PAD src0_sel:BYTE_2 src1_sel:BYTE_2
	v_mul_i32_i24_sdwa v20, v49, sext(v51) dst_sel:DWORD dst_unused:UNUSED_PAD src0_sel:BYTE_3 src1_sel:BYTE_3
	v_and_b32_e32 v49, 0x7f, v39
	v_mul_i32_i24_sdwa v19, v50, sext(v52) dst_sel:DWORD dst_unused:UNUSED_PAD src0_sel:BYTE_0 src1_sel:BYTE_0
	v_mul_i32_i24_sdwa v18, v50, sext(v52) dst_sel:DWORD dst_unused:UNUSED_PAD src0_sel:BYTE_1 src1_sel:BYTE_1
	v_mul_i32_i24_sdwa v17, v50, sext(v52) dst_sel:DWORD dst_unused:UNUSED_PAD src0_sel:BYTE_2 src1_sel:BYTE_2
	v_mul_i32_i24_sdwa v16, v50, sext(v52) dst_sel:DWORD dst_unused:UNUSED_PAD src0_sel:BYTE_3 src1_sel:BYTE_3
	global_load_sbyte v50, v49, s[6:7]
	s_waitcnt vmcnt(0)
	v_and_b32_e32 v51, 2, v50
	v_cmp_eq_u16_e32 vcc, 0, v51
	v_and_b32_e32 v51, 4, v50
	v_cmp_eq_u16_e64 s[0:1], 0, v51
	v_and_b32_e32 v51, 8, v50
	v_cmp_eq_u16_e64 s[2:3], 0, v51
	;; [unrolled: 2-line block ×3, first 2 shown]
	v_sub_u32_e32 v51, 0, v48
	v_cndmask_b32_e64 v48, v51, v48, s[4:5]
	v_sub_u32_e32 v51, 0, v47
	v_cndmask_b32_e32 v47, v51, v47, vcc
	v_sub_u32_e32 v51, 0, v46
	v_cndmask_b32_e64 v46, v51, v46, s[0:1]
	v_sub_u32_e32 v51, 0, v45
	v_cndmask_b32_e64 v45, v51, v45, s[2:3]
	v_add_u32_e32 v47, v47, v48
	v_add3_u32 v45, v47, v46, v45
	v_and_b32_e32 v46, 32, v50
	v_cmp_eq_u16_e32 vcc, 0, v46
	v_and_b32_e32 v46, 16, v50
	v_cmp_eq_u16_e64 s[0:1], 0, v46
	v_sub_u32_e32 v46, 0, v44
	v_cndmask_b32_e64 v44, v46, v44, s[0:1]
	v_sub_u32_e32 v46, 0, v43
	v_cndmask_b32_e32 v43, v46, v43, vcc
	v_add3_u32 v43, v45, v44, v43
	v_cmp_gt_u32_e32 vcc, 64, v49
	v_sub_u32_e32 v44, 0, v42
	v_cmp_gt_i16_e64 s[0:1], 0, v50
	v_cndmask_b32_e32 v42, v44, v42, vcc
	v_sub_u32_e32 v44, 0, v41
	v_cndmask_b32_e64 v41, v41, v44, s[0:1]
	v_add3_u32 v42, v43, v42, v41
	v_bfe_u32 v43, v39, 7, 7
	global_load_sbyte v41, v43, s[6:7]
	s_nop 0
	global_load_ushort v7, v[7:8], off
	s_nop 0
	global_load_ushort v6, v[5:6], off
	s_waitcnt vmcnt(2)
	v_and_b32_e32 v5, 8, v41
	v_cmp_eq_u16_e64 s[36:37], 0, v5
	v_and_b32_e32 v5, 4, v41
	v_cmp_eq_u16_e64 s[38:39], 0, v5
	v_and_b32_e32 v5, 32, v41
	v_cmp_eq_u16_e64 s[40:41], 0, v5
	v_and_b32_e32 v5, 16, v41
	v_cmp_eq_u16_e64 s[42:43], 0, v5
	v_bfe_u32 v5, v39, 14, 7
	v_cmp_gt_u32_e64 s[16:17], 64, v5
	global_load_sbyte v5, v5, s[6:7]
	v_and_b32_e32 v44, 2, v41
	v_cmp_eq_u16_e32 vcc, 0, v44
	v_and_b32_e32 v44, 1, v41
	v_cmp_eq_u16_e64 s[0:1], 0, v44
	v_sub_u32_e32 v44, 0, v40
	v_cndmask_b32_e64 v40, v44, v40, s[0:1]
	v_sub_u32_e32 v44, 0, v38
	v_cndmask_b32_e32 v38, v44, v38, vcc
	v_cmp_le_u32_e32 vcc, s33, v10
	s_or_b64 s[44:45], vcc, s[44:45]
	v_cmp_gt_u32_e64 s[0:1], 64, v43
	v_cmp_gt_i16_e64 s[20:21], 0, v41
	v_add3_u32 v38, v42, v40, v38
	s_waitcnt vmcnt(1)
	v_cvt_f32_f16_e32 v6, v6
	s_waitcnt vmcnt(0)
	v_and_b32_e32 v8, 2, v5
	v_cmp_eq_u16_e64 s[22:23], 0, v8
	v_and_b32_e32 v8, 1, v5
	v_cmp_eq_u16_e64 s[28:29], 0, v8
	;; [unrolled: 2-line block ×4, first 2 shown]
	v_and_b32_e32 v8, 32, v5
	v_cmp_gt_i16_e64 s[4:5], 0, v5
	v_and_b32_e32 v5, 16, v5
	v_cmp_eq_u16_e64 s[34:35], 0, v5
	v_bfe_u32 v5, v39, 21, 7
	v_cmp_eq_u16_e64 s[26:27], 0, v8
	global_load_sbyte v8, v5, s[6:7]
	v_cmp_gt_u32_e64 s[2:3], 64, v5
	s_waitcnt vmcnt(0)
	v_and_b32_e32 v5, 2, v8
	v_cmp_eq_u16_e64 s[6:7], 0, v5
	v_and_b32_e32 v5, 1, v8
	v_cmp_eq_u16_e64 s[14:15], 0, v5
	;; [unrolled: 2-line block ×4, first 2 shown]
	v_and_b32_e32 v5, 32, v8
	v_cmp_gt_i16_e32 vcc, 0, v8
	v_and_b32_e32 v8, 4, v8
	v_cmp_eq_u16_e64 s[18:19], 0, v8
	v_sub_u32_e32 v8, 0, v37
	v_cndmask_b32_e64 v8, v8, v37, s[38:39]
	v_sub_u32_e32 v37, 0, v36
	v_cndmask_b32_e64 v36, v37, v36, s[36:37]
	v_sub_u32_e32 v37, 0, v35
	v_cndmask_b32_e64 v35, v37, v35, s[42:43]
	v_sub_u32_e32 v37, 0, v34
	v_cndmask_b32_e64 v34, v37, v34, s[40:41]
	v_sub_u32_e32 v37, 0, v33
	v_cndmask_b32_e64 v33, v37, v33, s[0:1]
	v_sub_u32_e32 v37, 0, v29
	v_cndmask_b32_e64 v29, v29, v37, s[20:21]
	v_sub_u32_e32 v37, 0, v32
	v_cndmask_b32_e64 v32, v37, v32, s[28:29]
	v_sub_u32_e32 v37, 0, v31
	v_cndmask_b32_e64 v31, v37, v31, s[22:23]
	v_sub_u32_e32 v37, 0, v30
	v_cndmask_b32_e64 v30, v37, v30, s[30:31]
	v_sub_u32_e32 v37, 0, v28
	v_cndmask_b32_e64 v28, v37, v28, s[24:25]
	v_sub_u32_e32 v37, 0, v27
	v_cndmask_b32_e64 v27, v37, v27, s[34:35]
	v_sub_u32_e32 v37, 0, v26
	v_cndmask_b32_e64 v26, v37, v26, s[26:27]
	v_sub_u32_e32 v37, 0, v25
	v_cndmask_b32_e64 v25, v37, v25, s[16:17]
	v_sub_u32_e32 v37, 0, v22
	v_add3_u32 v8, v38, v8, v36
	v_cndmask_b32_e64 v22, v22, v37, s[4:5]
	v_sub_u32_e32 v37, 0, v24
	v_add3_u32 v8, v8, v35, v34
	v_cndmask_b32_e64 v24, v37, v24, s[14:15]
	;; [unrolled: 3-line block ×5, first 2 shown]
	v_sub_u32_e32 v37, 0, v19
	v_add3_u32 v8, v8, v27, v26
	v_cmp_eq_u16_e64 s[12:13], 0, v5
	v_cndmask_b32_e64 v19, v37, v19, s[10:11]
	v_sub_u32_e32 v37, 0, v18
	v_add3_u32 v8, v8, v25, v22
	v_cndmask_b32_e64 v18, v37, v18, s[12:13]
	v_sub_u32_e32 v37, 0, v17
	v_add3_u32 v8, v8, v24, v23
	;; [unrolled: 3-line block ×3, first 2 shown]
	v_cvt_f32_f16_e32 v5, v7
	v_lshrrev_b32_e32 v7, 28, v39
	v_cndmask_b32_e32 v16, v16, v37, vcc
	v_add3_u32 v8, v8, v19, v18
	v_cvt_f32_ubyte0_e32 v7, v7
	v_add3_u32 v8, v8, v17, v16
	v_add_f32_e32 v7, 0.5, v7
	v_cvt_f32_i32_e32 v8, v8
	v_mul_f32_e32 v6, v7, v6
	v_mul_f32_e32 v5, v6, v5
	;; [unrolled: 1-line block ×3, first 2 shown]
	v_fmac_f32_e32 v11, v5, v8
	s_andn2_b64 exec, exec, s[44:45]
	s_cbranch_execnz .LBB247_3
; %bb.4:
	s_or_b64 exec, exec, s[44:45]
.LBB247_5:
	s_or_b64 exec, exec, s[52:53]
	v_mbcnt_lo_u32_b32 v1, -1, 0
	v_mbcnt_hi_u32_b32 v2, -1, v1
	v_and_b32_e32 v1, 64, v2
	v_add_u32_e32 v3, 64, v1
	v_xor_b32_e32 v1, 32, v2
	v_cmp_lt_i32_e32 vcc, v1, v3
	v_cndmask_b32_e32 v1, v2, v1, vcc
	v_lshlrev_b32_e32 v1, 2, v1
	ds_bpermute_b32 v1, v1, v11
	v_xor_b32_e32 v4, 16, v2
	v_cmp_lt_i32_e32 vcc, v4, v3
	v_cndmask_b32_e32 v4, v2, v4, vcc
	v_lshlrev_b32_e32 v4, 2, v4
	s_waitcnt lgkmcnt(0)
	v_add_f32_e32 v1, v11, v1
	ds_bpermute_b32 v4, v4, v1
	v_xor_b32_e32 v5, 8, v2
	v_cmp_lt_i32_e32 vcc, v5, v3
	s_waitcnt lgkmcnt(0)
	v_add_f32_e32 v1, v1, v4
	v_cndmask_b32_e32 v4, v2, v5, vcc
	v_lshlrev_b32_e32 v4, 2, v4
	ds_bpermute_b32 v4, v4, v1
	v_xor_b32_e32 v5, 4, v2
	v_cmp_lt_i32_e32 vcc, v5, v3
	s_waitcnt lgkmcnt(0)
	v_add_f32_e32 v1, v1, v4
	v_cndmask_b32_e32 v4, v2, v5, vcc
	v_lshlrev_b32_e32 v4, 2, v4
	;; [unrolled: 7-line block ×3, first 2 shown]
	ds_bpermute_b32 v4, v4, v1
	v_xor_b32_e32 v5, 1, v2
	v_cmp_lt_i32_e32 vcc, v5, v3
	v_cndmask_b32_e32 v2, v2, v5, vcc
	v_lshlrev_b32_e32 v2, 2, v2
	s_waitcnt lgkmcnt(0)
	v_add_f32_e32 v1, v1, v4
	ds_bpermute_b32 v2, v2, v1
	v_cmp_eq_u32_e32 vcc, 0, v0
	s_and_b64 exec, exec, vcc
	s_cbranch_execz .LBB247_7
; %bb.6:
	s_mul_i32 s0, s46, s48
	s_waitcnt lgkmcnt(0)
	v_add_f32_e32 v2, v1, v2
	v_add_u32_e32 v0, s0, v9
	v_mov_b32_e32 v1, 0
	v_lshlrev_b64 v[0:1], 2, v[0:1]
	v_mov_b32_e32 v3, s51
	v_add_co_u32_e32 v0, vcc, s50, v0
	v_addc_co_u32_e32 v1, vcc, v3, v1, vcc
	global_store_dword v[0:1], v2, off
.LBB247_7:
	s_endpgm
	.section	.rodata,"a",@progbits
	.p2align	6, 0x0
	.amdhsa_kernel _ZL9moe_vec_qIfLi256ELi8E13block_iq2_xxsLi1EXadL_ZL20vec_dot_iq2_xxs_q8_1PKvPK10block_q8_1RKiEEEvS2_S2_PT_PS6_iiii
		.amdhsa_group_segment_fixed_size 0
		.amdhsa_private_segment_fixed_size 0
		.amdhsa_kernarg_size 304
		.amdhsa_user_sgpr_count 6
		.amdhsa_user_sgpr_private_segment_buffer 1
		.amdhsa_user_sgpr_dispatch_ptr 0
		.amdhsa_user_sgpr_queue_ptr 0
		.amdhsa_user_sgpr_kernarg_segment_ptr 1
		.amdhsa_user_sgpr_dispatch_id 0
		.amdhsa_user_sgpr_flat_scratch_init 0
		.amdhsa_user_sgpr_private_segment_size 0
		.amdhsa_uses_dynamic_stack 0
		.amdhsa_system_sgpr_private_segment_wavefront_offset 0
		.amdhsa_system_sgpr_workgroup_id_x 1
		.amdhsa_system_sgpr_workgroup_id_y 0
		.amdhsa_system_sgpr_workgroup_id_z 1
		.amdhsa_system_sgpr_workgroup_info 0
		.amdhsa_system_vgpr_workitem_id 1
		.amdhsa_next_free_vgpr 55
		.amdhsa_next_free_sgpr 55
		.amdhsa_reserve_vcc 1
		.amdhsa_reserve_flat_scratch 0
		.amdhsa_float_round_mode_32 0
		.amdhsa_float_round_mode_16_64 0
		.amdhsa_float_denorm_mode_32 3
		.amdhsa_float_denorm_mode_16_64 3
		.amdhsa_dx10_clamp 1
		.amdhsa_ieee_mode 1
		.amdhsa_fp16_overflow 0
		.amdhsa_exception_fp_ieee_invalid_op 0
		.amdhsa_exception_fp_denorm_src 0
		.amdhsa_exception_fp_ieee_div_zero 0
		.amdhsa_exception_fp_ieee_overflow 0
		.amdhsa_exception_fp_ieee_underflow 0
		.amdhsa_exception_fp_ieee_inexact 0
		.amdhsa_exception_int_div_zero 0
	.end_amdhsa_kernel
	.section	.text._ZL9moe_vec_qIfLi256ELi8E13block_iq2_xxsLi1EXadL_ZL20vec_dot_iq2_xxs_q8_1PKvPK10block_q8_1RKiEEEvS2_S2_PT_PS6_iiii,"axG",@progbits,_ZL9moe_vec_qIfLi256ELi8E13block_iq2_xxsLi1EXadL_ZL20vec_dot_iq2_xxs_q8_1PKvPK10block_q8_1RKiEEEvS2_S2_PT_PS6_iiii,comdat
.Lfunc_end247:
	.size	_ZL9moe_vec_qIfLi256ELi8E13block_iq2_xxsLi1EXadL_ZL20vec_dot_iq2_xxs_q8_1PKvPK10block_q8_1RKiEEEvS2_S2_PT_PS6_iiii, .Lfunc_end247-_ZL9moe_vec_qIfLi256ELi8E13block_iq2_xxsLi1EXadL_ZL20vec_dot_iq2_xxs_q8_1PKvPK10block_q8_1RKiEEEvS2_S2_PT_PS6_iiii
                                        ; -- End function
	.set _ZL9moe_vec_qIfLi256ELi8E13block_iq2_xxsLi1EXadL_ZL20vec_dot_iq2_xxs_q8_1PKvPK10block_q8_1RKiEEEvS2_S2_PT_PS6_iiii.num_vgpr, 55
	.set _ZL9moe_vec_qIfLi256ELi8E13block_iq2_xxsLi1EXadL_ZL20vec_dot_iq2_xxs_q8_1PKvPK10block_q8_1RKiEEEvS2_S2_PT_PS6_iiii.num_agpr, 0
	.set _ZL9moe_vec_qIfLi256ELi8E13block_iq2_xxsLi1EXadL_ZL20vec_dot_iq2_xxs_q8_1PKvPK10block_q8_1RKiEEEvS2_S2_PT_PS6_iiii.numbered_sgpr, 55
	.set _ZL9moe_vec_qIfLi256ELi8E13block_iq2_xxsLi1EXadL_ZL20vec_dot_iq2_xxs_q8_1PKvPK10block_q8_1RKiEEEvS2_S2_PT_PS6_iiii.num_named_barrier, 0
	.set _ZL9moe_vec_qIfLi256ELi8E13block_iq2_xxsLi1EXadL_ZL20vec_dot_iq2_xxs_q8_1PKvPK10block_q8_1RKiEEEvS2_S2_PT_PS6_iiii.private_seg_size, 0
	.set _ZL9moe_vec_qIfLi256ELi8E13block_iq2_xxsLi1EXadL_ZL20vec_dot_iq2_xxs_q8_1PKvPK10block_q8_1RKiEEEvS2_S2_PT_PS6_iiii.uses_vcc, 1
	.set _ZL9moe_vec_qIfLi256ELi8E13block_iq2_xxsLi1EXadL_ZL20vec_dot_iq2_xxs_q8_1PKvPK10block_q8_1RKiEEEvS2_S2_PT_PS6_iiii.uses_flat_scratch, 0
	.set _ZL9moe_vec_qIfLi256ELi8E13block_iq2_xxsLi1EXadL_ZL20vec_dot_iq2_xxs_q8_1PKvPK10block_q8_1RKiEEEvS2_S2_PT_PS6_iiii.has_dyn_sized_stack, 0
	.set _ZL9moe_vec_qIfLi256ELi8E13block_iq2_xxsLi1EXadL_ZL20vec_dot_iq2_xxs_q8_1PKvPK10block_q8_1RKiEEEvS2_S2_PT_PS6_iiii.has_recursion, 0
	.set _ZL9moe_vec_qIfLi256ELi8E13block_iq2_xxsLi1EXadL_ZL20vec_dot_iq2_xxs_q8_1PKvPK10block_q8_1RKiEEEvS2_S2_PT_PS6_iiii.has_indirect_call, 0
	.section	.AMDGPU.csdata,"",@progbits
; Kernel info:
; codeLenInByte = 2048
; TotalNumSgprs: 59
; NumVgprs: 55
; ScratchSize: 0
; MemoryBound: 0
; FloatMode: 240
; IeeeMode: 1
; LDSByteSize: 0 bytes/workgroup (compile time only)
; SGPRBlocks: 7
; VGPRBlocks: 13
; NumSGPRsForWavesPerEU: 59
; NumVGPRsForWavesPerEU: 55
; Occupancy: 4
; WaveLimiterHint : 1
; COMPUTE_PGM_RSRC2:SCRATCH_EN: 0
; COMPUTE_PGM_RSRC2:USER_SGPR: 6
; COMPUTE_PGM_RSRC2:TRAP_HANDLER: 0
; COMPUTE_PGM_RSRC2:TGID_X_EN: 1
; COMPUTE_PGM_RSRC2:TGID_Y_EN: 0
; COMPUTE_PGM_RSRC2:TGID_Z_EN: 1
; COMPUTE_PGM_RSRC2:TIDIG_COMP_CNT: 1
	.section	.text._ZL9moe_vec_qIfLi256ELi8E12block_iq2_xsLi1EXadL_ZL19vec_dot_iq2_xs_q8_1PKvPK10block_q8_1RKiEEEvS2_S2_PT_PS6_iiii,"axG",@progbits,_ZL9moe_vec_qIfLi256ELi8E12block_iq2_xsLi1EXadL_ZL19vec_dot_iq2_xs_q8_1PKvPK10block_q8_1RKiEEEvS2_S2_PT_PS6_iiii,comdat
	.globl	_ZL9moe_vec_qIfLi256ELi8E12block_iq2_xsLi1EXadL_ZL19vec_dot_iq2_xs_q8_1PKvPK10block_q8_1RKiEEEvS2_S2_PT_PS6_iiii ; -- Begin function _ZL9moe_vec_qIfLi256ELi8E12block_iq2_xsLi1EXadL_ZL19vec_dot_iq2_xs_q8_1PKvPK10block_q8_1RKiEEEvS2_S2_PT_PS6_iiii
	.p2align	8
	.type	_ZL9moe_vec_qIfLi256ELi8E12block_iq2_xsLi1EXadL_ZL19vec_dot_iq2_xs_q8_1PKvPK10block_q8_1RKiEEEvS2_S2_PT_PS6_iiii,@function
_ZL9moe_vec_qIfLi256ELi8E12block_iq2_xsLi1EXadL_ZL19vec_dot_iq2_xs_q8_1PKvPK10block_q8_1RKiEEEvS2_S2_PT_PS6_iiii: ; @_ZL9moe_vec_qIfLi256ELi8E12block_iq2_xsLi1EXadL_ZL19vec_dot_iq2_xs_q8_1PKvPK10block_q8_1RKiEEEvS2_S2_PT_PS6_iiii
; %bb.0:
	s_load_dword s0, s[4:5], 0x3c
	s_load_dwordx4 s[40:43], s[4:5], 0x20
	s_waitcnt lgkmcnt(0)
	s_lshr_b32 s0, s0, 16
	s_mul_i32 s6, s6, s0
	v_add_u32_e32 v11, s6, v1
	v_cmp_gt_u32_e32 vcc, s42, v11
	s_and_saveexec_b64 s[0:1], vcc
	s_cbranch_execz .LBB248_7
; %bb.1:
	s_load_dwordx2 s[46:47], s[4:5], 0x10
	s_ashr_i32 s0, s41, 31
	s_lshr_b32 s0, s0, 24
	s_add_i32 s0, s41, s0
	s_ashr_i32 s33, s0, 8
	v_lshrrev_b32_e32 v12, 3, v0
	s_mov_b32 s44, s7
	v_cmp_gt_u32_e32 vcc, s33, v12
	v_mov_b32_e32 v13, 0
	s_and_saveexec_b64 s[48:49], vcc
	s_cbranch_execz .LBB248_5
; %bb.2:
	s_load_dwordx2 s[0:1], s[4:5], 0x18
	v_cvt_f32_u32_e32 v1, s40
	s_mov_b32 s45, 0
	s_lshl_b64 s[2:3], s[44:45], 2
	v_and_b32_e32 v15, 7, v0
	s_waitcnt lgkmcnt(0)
	s_add_u32 s6, s0, s2
	v_rcp_iflag_f32_e32 v1, v1
	s_addc_u32 s7, s1, s3
	s_load_dword s8, s[6:7], 0x0
	s_load_dwordx4 s[0:3], s[4:5], 0x0
	s_mul_i32 s4, s33, s42
	v_mul_f32_e32 v1, 0x4f7ffffe, v1
	v_cvt_u32_f32_e32 v1, v1
	s_waitcnt lgkmcnt(0)
	s_mul_i32 s4, s4, s8
	s_mul_hi_i32 s5, s4, 0x4a
	s_mulk_i32 s4, 0x4a
	s_add_u32 s0, s0, s4
	s_addc_u32 s1, s1, s5
	s_sub_i32 s4, 0, s40
	v_readfirstlane_b32 s5, v1
	s_mul_i32 s4, s4, s5
	s_mul_hi_u32 s4, s5, s4
	s_add_i32 s5, s5, s4
	s_mul_hi_u32 s4, s44, s5
	s_mul_i32 s5, s4, s40
	s_sub_i32 s5, s44, s5
	s_add_i32 s6, s4, 1
	s_sub_i32 s7, s5, s40
	s_cmp_ge_u32 s5, s40
	s_cselect_b32 s4, s6, s4
	s_cselect_b32 s5, s7, s5
	s_add_i32 s6, s4, 1
	s_cmp_ge_u32 s5, s40
	s_cselect_b32 s4, s6, s4
	s_mul_i32 s4, s4, s43
	s_mov_b32 s5, s45
	s_lshl_b64 s[4:5], s[4:5], 2
	s_add_u32 s2, s2, s4
	s_addc_u32 s3, s3, s5
	v_mul_lo_u32 v14, v11, s33
	v_mad_u64_u32 v[1:2], s[2:3], v15, 36, s[2:3]
	v_lshlrev_b32_e32 v5, 2, v15
	v_mov_b32_e32 v4, s1
	s_movk_i32 s50, 0x4a
	v_mov_b32_e32 v16, 0
	v_lshlrev_b32_e32 v17, 3, v12
	s_mov_b64 s[40:41], 0
	v_mov_b32_e32 v3, s0
	v_lshlrev_b32_e32 v18, 1, v5
	v_mov_b32_e32 v13, 0
.LBB248_3:                              ; =>This Inner Loop Header: Depth=1
	v_add_u32_e32 v5, v14, v12
	v_mad_i64_i32 v[9:10], s[2:3], v5, s50, v[3:4]
	v_mad_i64_i32 v[7:8], s[0:1], v17, 36, v[1:2]
	v_add_co_u32_e32 v5, vcc, v9, v18
	v_addc_co_u32_e32 v6, vcc, 0, v10, vcc
	global_load_dwordx2 v[5:6], v[5:6], off offset:2
	s_getpc_b64 s[0:1]
	s_add_u32 s0, s0, _ZL10iq2xs_grid@rel32@lo+4
	s_addc_u32 s1, s1, _ZL10iq2xs_grid@rel32@hi+12
	global_load_dwordx4 v[25:28], v[7:8], off offset:4
	s_getpc_b64 s[8:9]
	s_add_u32 s8, s8, _ZL12ksigns_iq2xs@rel32@lo+4
	s_addc_u32 s9, s9, _ZL12ksigns_iq2xs@rel32@hi+12
	v_add_u32_e32 v12, 8, v12
	v_add_u32_e32 v17, 64, v17
	s_waitcnt vmcnt(1)
	v_and_b32_e32 v19, 0x1ff, v5
	v_lshrrev_b32_e32 v20, 13, v5
	v_lshlrev_b32_e32 v21, 3, v19
	v_and_b32_e32 v22, 0xff8, v20
	global_load_dwordx2 v[19:20], v21, s[0:1]
	global_load_dwordx2 v[31:32], v22, s[0:1]
	v_cmp_gt_i16_e64 s[6:7], 0, v5
	s_waitcnt vmcnt(1)
	v_mul_i32_i24_sdwa v49, v19, sext(v25) dst_sel:DWORD dst_unused:UNUSED_PAD src0_sel:BYTE_0 src1_sel:BYTE_0
	v_mul_i32_i24_sdwa v47, v19, sext(v25) dst_sel:DWORD dst_unused:UNUSED_PAD src0_sel:BYTE_1 src1_sel:BYTE_1
	v_mul_i32_i24_sdwa v45, v19, sext(v25) dst_sel:DWORD dst_unused:UNUSED_PAD src0_sel:BYTE_2 src1_sel:BYTE_2
	v_mul_i32_i24_sdwa v43, v19, sext(v25) dst_sel:DWORD dst_unused:UNUSED_PAD src0_sel:BYTE_3 src1_sel:BYTE_3
	v_mul_i32_i24_sdwa v40, v20, sext(v26) dst_sel:DWORD dst_unused:UNUSED_PAD src0_sel:BYTE_0 src1_sel:BYTE_0
	v_mul_i32_i24_sdwa v39, v20, sext(v26) dst_sel:DWORD dst_unused:UNUSED_PAD src0_sel:BYTE_1 src1_sel:BYTE_1
	v_mul_i32_i24_sdwa v30, v20, sext(v26) dst_sel:DWORD dst_unused:UNUSED_PAD src0_sel:BYTE_2 src1_sel:BYTE_2
	v_mul_i32_i24_sdwa v29, v20, sext(v26) dst_sel:DWORD dst_unused:UNUSED_PAD src0_sel:BYTE_3 src1_sel:BYTE_3
	s_waitcnt vmcnt(0)
	v_mul_i32_i24_sdwa v26, v31, sext(v27) dst_sel:DWORD dst_unused:UNUSED_PAD src0_sel:BYTE_0 src1_sel:BYTE_0
	v_mul_i32_i24_sdwa v25, v31, sext(v27) dst_sel:DWORD dst_unused:UNUSED_PAD src0_sel:BYTE_1 src1_sel:BYTE_1
	v_mul_i32_i24_sdwa v24, v31, sext(v27) dst_sel:DWORD dst_unused:UNUSED_PAD src0_sel:BYTE_2 src1_sel:BYTE_2
	v_mul_i32_i24_sdwa v23, v31, sext(v27) dst_sel:DWORD dst_unused:UNUSED_PAD src0_sel:BYTE_3 src1_sel:BYTE_3
	v_and_b32_e32 v27, 0x1ff, v6
	v_lshlrev_b32_e32 v27, 3, v27
	v_mul_i32_i24_sdwa v22, v32, sext(v28) dst_sel:DWORD dst_unused:UNUSED_PAD src0_sel:BYTE_0 src1_sel:BYTE_0
	v_mul_i32_i24_sdwa v21, v32, sext(v28) dst_sel:DWORD dst_unused:UNUSED_PAD src0_sel:BYTE_1 src1_sel:BYTE_1
	v_mul_i32_i24_sdwa v20, v32, sext(v28) dst_sel:DWORD dst_unused:UNUSED_PAD src0_sel:BYTE_2 src1_sel:BYTE_2
	v_mul_i32_i24_sdwa v19, v32, sext(v28) dst_sel:DWORD dst_unused:UNUSED_PAD src0_sel:BYTE_3 src1_sel:BYTE_3
	global_load_dwordx2 v[27:28], v27, s[0:1]
	s_nop 0
	global_load_dwordx4 v[51:54], v[7:8], off offset:20
	s_waitcnt vmcnt(0)
	v_mul_i32_i24_sdwa v50, v27, sext(v51) dst_sel:DWORD dst_unused:UNUSED_PAD src0_sel:BYTE_0 src1_sel:BYTE_0
	v_mul_i32_i24_sdwa v48, v27, sext(v51) dst_sel:DWORD dst_unused:UNUSED_PAD src0_sel:BYTE_1 src1_sel:BYTE_1
	v_mul_i32_i24_sdwa v46, v27, sext(v51) dst_sel:DWORD dst_unused:UNUSED_PAD src0_sel:BYTE_2 src1_sel:BYTE_2
	v_mul_i32_i24_sdwa v44, v27, sext(v51) dst_sel:DWORD dst_unused:UNUSED_PAD src0_sel:BYTE_3 src1_sel:BYTE_3
	v_lshrrev_b32_e32 v27, 13, v6
	v_and_b32_e32 v27, 0xff8, v27
	v_mul_i32_i24_sdwa v42, v28, sext(v52) dst_sel:DWORD dst_unused:UNUSED_PAD src0_sel:BYTE_0 src1_sel:BYTE_0
	v_mul_i32_i24_sdwa v41, v28, sext(v52) dst_sel:DWORD dst_unused:UNUSED_PAD src0_sel:BYTE_1 src1_sel:BYTE_1
	v_mul_i32_i24_sdwa v36, v28, sext(v52) dst_sel:DWORD dst_unused:UNUSED_PAD src0_sel:BYTE_2 src1_sel:BYTE_2
	v_mul_i32_i24_sdwa v35, v28, sext(v52) dst_sel:DWORD dst_unused:UNUSED_PAD src0_sel:BYTE_3 src1_sel:BYTE_3
	global_load_dwordx2 v[51:52], v27, s[0:1]
	s_waitcnt vmcnt(0)
	v_mul_i32_i24_sdwa v38, v51, sext(v53) dst_sel:DWORD dst_unused:UNUSED_PAD src0_sel:BYTE_0 src1_sel:BYTE_0
	v_mul_i32_i24_sdwa v37, v51, sext(v53) dst_sel:DWORD dst_unused:UNUSED_PAD src0_sel:BYTE_1 src1_sel:BYTE_1
	v_mul_i32_i24_sdwa v34, v51, sext(v53) dst_sel:DWORD dst_unused:UNUSED_PAD src0_sel:BYTE_2 src1_sel:BYTE_2
	v_mul_i32_i24_sdwa v33, v51, sext(v53) dst_sel:DWORD dst_unused:UNUSED_PAD src0_sel:BYTE_3 src1_sel:BYTE_3
	v_bfe_u32 v51, v5, 9, 7
	global_load_sbyte v51, v51, s[8:9]
	v_mul_i32_i24_sdwa v32, v52, sext(v54) dst_sel:DWORD dst_unused:UNUSED_PAD src0_sel:BYTE_0 src1_sel:BYTE_0
	v_mul_i32_i24_sdwa v31, v52, sext(v54) dst_sel:DWORD dst_unused:UNUSED_PAD src0_sel:BYTE_1 src1_sel:BYTE_1
	v_mul_i32_i24_sdwa v28, v52, sext(v54) dst_sel:DWORD dst_unused:UNUSED_PAD src0_sel:BYTE_2 src1_sel:BYTE_2
	v_mul_i32_i24_sdwa v27, v52, sext(v54) dst_sel:DWORD dst_unused:UNUSED_PAD src0_sel:BYTE_3 src1_sel:BYTE_3
	global_load_ushort v8, v[7:8], off
	s_waitcnt vmcnt(1)
	v_and_b32_e32 v52, 2, v51
	v_cmp_eq_u16_e32 vcc, 0, v52
	v_and_b32_e32 v52, 4, v51
	v_cmp_eq_u16_e64 s[0:1], 0, v52
	v_and_b32_e32 v52, 8, v51
	v_cmp_eq_u16_e64 s[2:3], 0, v52
	;; [unrolled: 2-line block ×3, first 2 shown]
	v_sub_u32_e32 v52, 0, v49
	v_cndmask_b32_e64 v49, v52, v49, s[4:5]
	v_sub_u32_e32 v52, 0, v47
	v_cndmask_b32_e32 v47, v52, v47, vcc
	v_sub_u32_e32 v52, 0, v45
	v_cndmask_b32_e64 v45, v52, v45, s[0:1]
	v_sub_u32_e32 v52, 0, v43
	v_cndmask_b32_e64 v43, v52, v43, s[2:3]
	v_add_u32_e32 v47, v47, v49
	v_add3_u32 v45, v47, v45, v43
	v_bfe_u32 v43, v6, 9, 7
	global_load_sbyte v43, v43, s[8:9]
	v_sub_u32_e32 v49, 0, v48
	v_cmp_gt_i16_e64 s[36:37], 0, v51
	s_waitcnt vmcnt(0)
	v_and_b32_e32 v47, 2, v43
	v_cmp_eq_u16_e32 vcc, 0, v47
	v_and_b32_e32 v47, 4, v43
	v_cmp_eq_u16_e64 s[0:1], 0, v47
	v_and_b32_e32 v47, 8, v43
	v_cmp_eq_u16_e64 s[2:3], 0, v47
	v_and_b32_e32 v47, 1, v43
	v_cmp_eq_u16_e64 s[4:5], 0, v47
	v_sub_u32_e32 v47, 0, v50
	v_cndmask_b32_e32 v48, v49, v48, vcc
	v_sub_u32_e32 v49, 0, v46
	v_cndmask_b32_e64 v47, v47, v50, s[4:5]
	v_cndmask_b32_e64 v46, v49, v46, s[0:1]
	v_sub_u32_e32 v49, 0, v44
	v_cndmask_b32_e64 v44, v49, v44, s[2:3]
	v_add_u32_e32 v47, v48, v47
	v_add3_u32 v44, v47, v46, v44
	v_and_b32_e32 v46, 32, v51
	v_cmp_eq_u16_e32 vcc, 0, v46
	v_and_b32_e32 v46, 16, v51
	v_cmp_eq_u16_e64 s[0:1], 0, v46
	v_sub_u32_e32 v46, 0, v40
	v_cndmask_b32_e64 v40, v46, v40, s[0:1]
	v_sub_u32_e32 v46, 0, v39
	v_cndmask_b32_e32 v39, v46, v39, vcc
	v_add3_u32 v39, v45, v40, v39
	v_and_b32_e32 v40, 32, v43
	v_cmp_eq_u16_e32 vcc, 0, v40
	v_and_b32_e32 v40, 16, v43
	v_cmp_eq_u16_e64 s[0:1], 0, v40
	v_sub_u32_e32 v40, 0, v42
	v_cndmask_b32_e64 v40, v40, v42, s[0:1]
	v_sub_u32_e32 v42, 0, v41
	v_cndmask_b32_e32 v41, v42, v41, vcc
	v_add3_u32 v40, v44, v40, v41
	v_add_co_u32_e32 v41, vcc, v9, v15
	v_cmp_gt_i16_e64 s[4:5], 0, v6
	v_cmp_lt_i16_sdwa s[2:3], v6, v16 src0_sel:WORD_1 src1_sel:DWORD
	v_lshrrev_b32_e32 v6, 25, v6
	v_addc_co_u32_e32 v42, vcc, 0, v10, vcc
	global_load_ushort v9, v[9:10], off
	s_nop 0
	global_load_ubyte v7, v[41:42], off offset:66
	v_cmp_lt_i16_sdwa s[0:1], v5, v16 src0_sel:WORD_1 src1_sel:DWORD
	global_load_sbyte v6, v6, s[8:9]
	v_lshrrev_b32_e32 v5, 25, v5
	v_cmp_le_u32_e32 vcc, s33, v12
	s_or_b64 s[40:41], vcc, s[40:41]
	v_cmp_gt_i16_e64 s[16:17], 0, v43
	s_waitcnt vmcnt(0)
	v_and_b32_e32 v10, 2, v6
	v_cmp_eq_u16_e64 s[10:11], 0, v10
	v_and_b32_e32 v10, 1, v6
	v_cmp_eq_u16_e64 s[24:25], 0, v10
	global_load_sbyte v10, v5, s[8:9]
	v_cmp_gt_i16_e64 s[8:9], 0, v6
	s_waitcnt vmcnt(0)
	v_and_b32_e32 v5, 2, v10
	v_cmp_eq_u16_e64 s[12:13], 0, v5
	v_and_b32_e32 v5, 1, v10
	v_cmp_eq_u16_e64 s[26:27], 0, v5
	;; [unrolled: 2-line block ×9, first 2 shown]
	v_cvt_f32_f16_e32 v5, v8
	v_cmp_gt_i16_e32 vcc, 0, v10
	v_and_b32_e32 v8, 16, v10
	v_sub_u32_e32 v10, 0, v36
	v_cndmask_b32_e64 v10, v36, v10, s[4:5]
	v_sub_u32_e32 v36, 0, v26
	v_cndmask_b32_e64 v26, v36, v26, s[26:27]
	;; [unrolled: 2-line block ×7, first 2 shown]
	v_sub_u32_e32 v36, 0, v32
	v_cvt_f32_f16_e32 v6, v9
	v_sub_u32_e32 v9, 0, v29
	v_cndmask_b32_e64 v32, v36, v32, s[34:35]
	v_sub_u32_e32 v36, 0, v31
	v_cmp_eq_u16_e64 s[38:39], 0, v8
	v_sub_u32_e32 v8, 0, v30
	v_cndmask_b32_e64 v9, v29, v9, s[36:37]
	v_sub_u32_e32 v29, 0, v35
	v_cndmask_b32_e64 v31, v36, v31, s[20:21]
	;; [unrolled: 2-line block ×3, first 2 shown]
	v_cndmask_b32_e64 v29, v35, v29, s[16:17]
	v_sub_u32_e32 v30, 0, v38
	v_sub_u32_e32 v35, 0, v37
	v_cndmask_b32_e64 v22, v36, v22, s[38:39]
	v_sub_u32_e32 v36, 0, v21
	v_cndmask_b32_e64 v30, v30, v38, s[24:25]
	v_cndmask_b32_e64 v35, v35, v37, s[10:11]
	v_cndmask_b32_e64 v21, v36, v21, s[22:23]
	v_sub_u32_e32 v36, 0, v28
	v_add3_u32 v8, v39, v8, v9
	v_add3_u32 v9, v40, v10, v29
	v_cndmask_b32_e64 v28, v28, v36, s[2:3]
	v_sub_u32_e32 v36, 0, v27
	v_add3_u32 v9, v9, v30, v35
	v_cndmask_b32_e64 v27, v27, v36, s[8:9]
	v_sub_u32_e32 v36, 0, v20
	v_add3_u32 v8, v8, v26, v25
	v_add3_u32 v9, v9, v34, v33
	v_cndmask_b32_e64 v20, v20, v36, s[0:1]
	v_sub_u32_e32 v36, 0, v19
	v_add3_u32 v8, v8, v24, v23
	v_add3_u32 v9, v9, v32, v31
	v_cndmask_b32_e32 v19, v19, v36, vcc
	v_add3_u32 v8, v8, v22, v21
	v_add3_u32 v9, v9, v28, v27
	;; [unrolled: 1-line block ×3, first 2 shown]
	v_cvt_f32_i32_e32 v9, v9
	v_lshrrev_b16_e32 v36, 4, v7
	v_cvt_f32_i32_e32 v8, v8
	v_and_b32_e32 v7, 15, v7
	v_cvt_f32_ubyte0_e32 v36, v36
	v_cvt_f32_ubyte0_e32 v7, v7
	v_add_f32_e32 v36, 0.5, v36
	v_add_f32_e32 v7, 0.5, v7
	v_mul_f32_e32 v5, v6, v5
	v_mul_f32_e32 v6, v36, v9
	;; [unrolled: 1-line block ×3, first 2 shown]
	v_fmac_f32_e32 v6, v7, v8
	v_fmac_f32_e32 v13, v5, v6
	s_andn2_b64 exec, exec, s[40:41]
	s_cbranch_execnz .LBB248_3
; %bb.4:
	s_or_b64 exec, exec, s[40:41]
.LBB248_5:
	s_or_b64 exec, exec, s[48:49]
	v_mbcnt_lo_u32_b32 v1, -1, 0
	v_mbcnt_hi_u32_b32 v2, -1, v1
	v_and_b32_e32 v1, 64, v2
	v_add_u32_e32 v3, 64, v1
	v_xor_b32_e32 v1, 32, v2
	v_cmp_lt_i32_e32 vcc, v1, v3
	v_cndmask_b32_e32 v1, v2, v1, vcc
	v_lshlrev_b32_e32 v1, 2, v1
	ds_bpermute_b32 v1, v1, v13
	v_xor_b32_e32 v4, 16, v2
	v_cmp_lt_i32_e32 vcc, v4, v3
	v_cndmask_b32_e32 v4, v2, v4, vcc
	v_lshlrev_b32_e32 v4, 2, v4
	s_waitcnt lgkmcnt(0)
	v_add_f32_e32 v1, v13, v1
	ds_bpermute_b32 v4, v4, v1
	v_xor_b32_e32 v5, 8, v2
	v_cmp_lt_i32_e32 vcc, v5, v3
	s_waitcnt lgkmcnt(0)
	v_add_f32_e32 v1, v1, v4
	v_cndmask_b32_e32 v4, v2, v5, vcc
	v_lshlrev_b32_e32 v4, 2, v4
	ds_bpermute_b32 v4, v4, v1
	v_xor_b32_e32 v5, 4, v2
	v_cmp_lt_i32_e32 vcc, v5, v3
	s_waitcnt lgkmcnt(0)
	v_add_f32_e32 v1, v1, v4
	v_cndmask_b32_e32 v4, v2, v5, vcc
	v_lshlrev_b32_e32 v4, 2, v4
	;; [unrolled: 7-line block ×3, first 2 shown]
	ds_bpermute_b32 v4, v4, v1
	v_xor_b32_e32 v5, 1, v2
	v_cmp_lt_i32_e32 vcc, v5, v3
	v_cndmask_b32_e32 v2, v2, v5, vcc
	v_lshlrev_b32_e32 v2, 2, v2
	s_waitcnt lgkmcnt(0)
	v_add_f32_e32 v1, v1, v4
	ds_bpermute_b32 v2, v2, v1
	v_cmp_eq_u32_e32 vcc, 0, v0
	s_and_b64 exec, exec, vcc
	s_cbranch_execz .LBB248_7
; %bb.6:
	s_mul_i32 s0, s42, s44
	s_waitcnt lgkmcnt(0)
	v_add_f32_e32 v2, v1, v2
	v_add_u32_e32 v0, s0, v11
	v_mov_b32_e32 v1, 0
	v_lshlrev_b64 v[0:1], 2, v[0:1]
	v_mov_b32_e32 v3, s47
	v_add_co_u32_e32 v0, vcc, s46, v0
	v_addc_co_u32_e32 v1, vcc, v3, v1, vcc
	global_store_dword v[0:1], v2, off
.LBB248_7:
	s_endpgm
	.section	.rodata,"a",@progbits
	.p2align	6, 0x0
	.amdhsa_kernel _ZL9moe_vec_qIfLi256ELi8E12block_iq2_xsLi1EXadL_ZL19vec_dot_iq2_xs_q8_1PKvPK10block_q8_1RKiEEEvS2_S2_PT_PS6_iiii
		.amdhsa_group_segment_fixed_size 0
		.amdhsa_private_segment_fixed_size 0
		.amdhsa_kernarg_size 304
		.amdhsa_user_sgpr_count 6
		.amdhsa_user_sgpr_private_segment_buffer 1
		.amdhsa_user_sgpr_dispatch_ptr 0
		.amdhsa_user_sgpr_queue_ptr 0
		.amdhsa_user_sgpr_kernarg_segment_ptr 1
		.amdhsa_user_sgpr_dispatch_id 0
		.amdhsa_user_sgpr_flat_scratch_init 0
		.amdhsa_user_sgpr_private_segment_size 0
		.amdhsa_uses_dynamic_stack 0
		.amdhsa_system_sgpr_private_segment_wavefront_offset 0
		.amdhsa_system_sgpr_workgroup_id_x 1
		.amdhsa_system_sgpr_workgroup_id_y 0
		.amdhsa_system_sgpr_workgroup_id_z 1
		.amdhsa_system_sgpr_workgroup_info 0
		.amdhsa_system_vgpr_workitem_id 1
		.amdhsa_next_free_vgpr 55
		.amdhsa_next_free_sgpr 51
		.amdhsa_reserve_vcc 1
		.amdhsa_reserve_flat_scratch 0
		.amdhsa_float_round_mode_32 0
		.amdhsa_float_round_mode_16_64 0
		.amdhsa_float_denorm_mode_32 3
		.amdhsa_float_denorm_mode_16_64 3
		.amdhsa_dx10_clamp 1
		.amdhsa_ieee_mode 1
		.amdhsa_fp16_overflow 0
		.amdhsa_exception_fp_ieee_invalid_op 0
		.amdhsa_exception_fp_denorm_src 0
		.amdhsa_exception_fp_ieee_div_zero 0
		.amdhsa_exception_fp_ieee_overflow 0
		.amdhsa_exception_fp_ieee_underflow 0
		.amdhsa_exception_fp_ieee_inexact 0
		.amdhsa_exception_int_div_zero 0
	.end_amdhsa_kernel
	.section	.text._ZL9moe_vec_qIfLi256ELi8E12block_iq2_xsLi1EXadL_ZL19vec_dot_iq2_xs_q8_1PKvPK10block_q8_1RKiEEEvS2_S2_PT_PS6_iiii,"axG",@progbits,_ZL9moe_vec_qIfLi256ELi8E12block_iq2_xsLi1EXadL_ZL19vec_dot_iq2_xs_q8_1PKvPK10block_q8_1RKiEEEvS2_S2_PT_PS6_iiii,comdat
.Lfunc_end248:
	.size	_ZL9moe_vec_qIfLi256ELi8E12block_iq2_xsLi1EXadL_ZL19vec_dot_iq2_xs_q8_1PKvPK10block_q8_1RKiEEEvS2_S2_PT_PS6_iiii, .Lfunc_end248-_ZL9moe_vec_qIfLi256ELi8E12block_iq2_xsLi1EXadL_ZL19vec_dot_iq2_xs_q8_1PKvPK10block_q8_1RKiEEEvS2_S2_PT_PS6_iiii
                                        ; -- End function
	.set _ZL9moe_vec_qIfLi256ELi8E12block_iq2_xsLi1EXadL_ZL19vec_dot_iq2_xs_q8_1PKvPK10block_q8_1RKiEEEvS2_S2_PT_PS6_iiii.num_vgpr, 55
	.set _ZL9moe_vec_qIfLi256ELi8E12block_iq2_xsLi1EXadL_ZL19vec_dot_iq2_xs_q8_1PKvPK10block_q8_1RKiEEEvS2_S2_PT_PS6_iiii.num_agpr, 0
	.set _ZL9moe_vec_qIfLi256ELi8E12block_iq2_xsLi1EXadL_ZL19vec_dot_iq2_xs_q8_1PKvPK10block_q8_1RKiEEEvS2_S2_PT_PS6_iiii.numbered_sgpr, 51
	.set _ZL9moe_vec_qIfLi256ELi8E12block_iq2_xsLi1EXadL_ZL19vec_dot_iq2_xs_q8_1PKvPK10block_q8_1RKiEEEvS2_S2_PT_PS6_iiii.num_named_barrier, 0
	.set _ZL9moe_vec_qIfLi256ELi8E12block_iq2_xsLi1EXadL_ZL19vec_dot_iq2_xs_q8_1PKvPK10block_q8_1RKiEEEvS2_S2_PT_PS6_iiii.private_seg_size, 0
	.set _ZL9moe_vec_qIfLi256ELi8E12block_iq2_xsLi1EXadL_ZL19vec_dot_iq2_xs_q8_1PKvPK10block_q8_1RKiEEEvS2_S2_PT_PS6_iiii.uses_vcc, 1
	.set _ZL9moe_vec_qIfLi256ELi8E12block_iq2_xsLi1EXadL_ZL19vec_dot_iq2_xs_q8_1PKvPK10block_q8_1RKiEEEvS2_S2_PT_PS6_iiii.uses_flat_scratch, 0
	.set _ZL9moe_vec_qIfLi256ELi8E12block_iq2_xsLi1EXadL_ZL19vec_dot_iq2_xs_q8_1PKvPK10block_q8_1RKiEEEvS2_S2_PT_PS6_iiii.has_dyn_sized_stack, 0
	.set _ZL9moe_vec_qIfLi256ELi8E12block_iq2_xsLi1EXadL_ZL19vec_dot_iq2_xs_q8_1PKvPK10block_q8_1RKiEEEvS2_S2_PT_PS6_iiii.has_recursion, 0
	.set _ZL9moe_vec_qIfLi256ELi8E12block_iq2_xsLi1EXadL_ZL19vec_dot_iq2_xs_q8_1PKvPK10block_q8_1RKiEEEvS2_S2_PT_PS6_iiii.has_indirect_call, 0
	.section	.AMDGPU.csdata,"",@progbits
; Kernel info:
; codeLenInByte = 2072
; TotalNumSgprs: 55
; NumVgprs: 55
; ScratchSize: 0
; MemoryBound: 0
; FloatMode: 240
; IeeeMode: 1
; LDSByteSize: 0 bytes/workgroup (compile time only)
; SGPRBlocks: 6
; VGPRBlocks: 13
; NumSGPRsForWavesPerEU: 55
; NumVGPRsForWavesPerEU: 55
; Occupancy: 4
; WaveLimiterHint : 1
; COMPUTE_PGM_RSRC2:SCRATCH_EN: 0
; COMPUTE_PGM_RSRC2:USER_SGPR: 6
; COMPUTE_PGM_RSRC2:TRAP_HANDLER: 0
; COMPUTE_PGM_RSRC2:TGID_X_EN: 1
; COMPUTE_PGM_RSRC2:TGID_Y_EN: 0
; COMPUTE_PGM_RSRC2:TGID_Z_EN: 1
; COMPUTE_PGM_RSRC2:TIDIG_COMP_CNT: 1
	.section	.text._ZL9moe_vec_qIfLi256ELi8E13block_iq3_xxsLi1EXadL_ZL20vec_dot_iq3_xxs_q8_1PKvPK10block_q8_1RKiEEEvS2_S2_PT_PS6_iiii,"axG",@progbits,_ZL9moe_vec_qIfLi256ELi8E13block_iq3_xxsLi1EXadL_ZL20vec_dot_iq3_xxs_q8_1PKvPK10block_q8_1RKiEEEvS2_S2_PT_PS6_iiii,comdat
	.globl	_ZL9moe_vec_qIfLi256ELi8E13block_iq3_xxsLi1EXadL_ZL20vec_dot_iq3_xxs_q8_1PKvPK10block_q8_1RKiEEEvS2_S2_PT_PS6_iiii ; -- Begin function _ZL9moe_vec_qIfLi256ELi8E13block_iq3_xxsLi1EXadL_ZL20vec_dot_iq3_xxs_q8_1PKvPK10block_q8_1RKiEEEvS2_S2_PT_PS6_iiii
	.p2align	8
	.type	_ZL9moe_vec_qIfLi256ELi8E13block_iq3_xxsLi1EXadL_ZL20vec_dot_iq3_xxs_q8_1PKvPK10block_q8_1RKiEEEvS2_S2_PT_PS6_iiii,@function
_ZL9moe_vec_qIfLi256ELi8E13block_iq3_xxsLi1EXadL_ZL20vec_dot_iq3_xxs_q8_1PKvPK10block_q8_1RKiEEEvS2_S2_PT_PS6_iiii: ; @_ZL9moe_vec_qIfLi256ELi8E13block_iq3_xxsLi1EXadL_ZL20vec_dot_iq3_xxs_q8_1PKvPK10block_q8_1RKiEEEvS2_S2_PT_PS6_iiii
; %bb.0:
	s_mov_b32 s8, s7
	s_load_dword s7, s[4:5], 0x3c
	s_load_dwordx4 s[0:3], s[4:5], 0x20
	s_waitcnt lgkmcnt(0)
	s_lshr_b32 s7, s7, 16
	s_mul_i32 s6, s6, s7
	v_add_u32_e32 v9, s6, v1
	v_cmp_gt_u32_e32 vcc, s2, v9
	s_and_saveexec_b64 s[6:7], vcc
	s_cbranch_execz .LBB249_7
; %bb.1:
	s_load_dwordx2 s[6:7], s[4:5], 0x10
	s_ashr_i32 s9, s1, 31
	s_lshr_b32 s9, s9, 24
	s_add_i32 s1, s1, s9
	s_ashr_i32 s14, s1, 8
	v_lshrrev_b32_e32 v10, 3, v0
	v_cmp_gt_u32_e32 vcc, s14, v10
	v_mov_b32_e32 v11, 0
	s_and_saveexec_b64 s[10:11], vcc
	s_cbranch_execz .LBB249_5
; %bb.2:
	s_load_dwordx2 s[12:13], s[4:5], 0x18
	v_cvt_f32_u32_e32 v1, s0
	s_mov_b32 s9, 0
	s_lshl_b64 s[16:17], s[8:9], 2
	v_mul_lo_u32 v12, v9, s14
	s_waitcnt lgkmcnt(0)
	s_add_u32 s12, s12, s16
	v_rcp_iflag_f32_e32 v1, v1
	s_addc_u32 s13, s13, s17
	s_load_dword s1, s[12:13], 0x0
	s_load_dwordx4 s[16:19], s[4:5], 0x0
	s_mul_i32 s4, s14, s2
	v_mul_f32_e32 v1, 0x4f7ffffe, v1
	v_cvt_u32_f32_e32 v1, v1
	s_waitcnt lgkmcnt(0)
	s_mul_i32 s1, s4, s1
	s_mul_hi_i32 s5, s1, 0x62
	s_mulk_i32 s1, 0x62
	s_add_u32 s4, s16, s1
	s_addc_u32 s5, s17, s5
	s_sub_i32 s1, 0, s0
	v_readfirstlane_b32 s12, v1
	s_mul_i32 s1, s1, s12
	s_mul_hi_u32 s1, s12, s1
	s_add_i32 s12, s12, s1
	s_mul_hi_u32 s1, s8, s12
	s_mul_i32 s12, s1, s0
	s_sub_i32 s12, s8, s12
	s_add_i32 s13, s1, 1
	s_sub_i32 s16, s12, s0
	s_cmp_ge_u32 s12, s0
	s_cselect_b32 s1, s13, s1
	s_cselect_b32 s12, s16, s12
	s_add_i32 s13, s1, 1
	s_cmp_ge_u32 s12, s0
	s_cselect_b32 s0, s13, s1
	s_mul_i32 s0, s0, s3
	s_mov_b32 s1, s9
	s_lshl_b64 s[0:1], s[0:1], 2
	s_add_u32 s0, s18, s0
	s_addc_u32 s1, s19, s1
	v_and_b32_e32 v1, 7, v0
	v_lshlrev_b32_e32 v13, 3, v1
	v_lshlrev_b32_e32 v5, 1, v1
	v_mad_u64_u32 v[1:2], s[0:1], v1, 36, s[0:1]
	v_mov_b32_e32 v3, s4
	s_movk_i32 s15, 0x62
	v_mov_b32_e32 v11, 0
	v_lshlrev_b32_e32 v14, 3, v10
	s_mov_b64 s[0:1], 0
	v_mov_b32_e32 v4, s5
	v_lshlrev_b32_e32 v15, 1, v5
	s_mov_b32 s3, 0xc060c00
	v_mov_b32_e32 v16, 2
	s_getpc_b64 s[4:5]
	s_add_u32 s4, s4, _ZL11iq3xxs_grid@rel32@lo+4
	s_addc_u32 s5, s5, _ZL11iq3xxs_grid@rel32@hi+12
.LBB249_3:                              ; =>This Inner Loop Header: Depth=1
	v_add_u32_e32 v7, v12, v10
	v_mad_i64_i32 v[19:20], s[16:17], v7, s15, v[3:4]
	s_getpc_b64 s[12:13]
	s_add_u32 s12, s12, _ZL8ksigns64@rel32@lo+4
	s_addc_u32 s13, s13, _ZL8ksigns64@rel32@hi+12
	v_mad_i64_i32 v[5:6], s[16:17], v14, 36, v[1:2]
	v_add_co_u32_e32 v21, vcc, v19, v13
	v_addc_co_u32_e32 v22, vcc, 0, v20, vcc
	v_add_co_u32_e32 v23, vcc, v19, v15
	v_addc_co_u32_e32 v24, vcc, 0, v20, vcc
	global_load_dwordx2 v[7:8], v[21:22], off offset:2
	global_load_dword v17, v[23:24], off offset:66
	global_load_ushort v18, v[19:20], off
	v_add_u32_e32 v10, 8, v10
	v_cmp_le_u32_e32 vcc, s14, v10
	v_add_u32_e32 v14, 64, v14
	s_or_b64 s[0:1], vcc, s[0:1]
	s_waitcnt vmcnt(2)
	v_lshlrev_b32_sdwa v19, v16, v7 dst_sel:DWORD dst_unused:UNUSED_PAD src0_sel:DWORD src1_sel:BYTE_0
	s_waitcnt vmcnt(1)
	v_and_b32_e32 v20, 0x7f, v17
	v_lshlrev_b32_sdwa v21, v16, v7 dst_sel:DWORD dst_unused:UNUSED_PAD src0_sel:DWORD src1_sel:BYTE_1
	v_lshlrev_b32_sdwa v22, v16, v7 dst_sel:DWORD dst_unused:UNUSED_PAD src0_sel:DWORD src1_sel:BYTE_2
	v_lshrrev_b32_e32 v23, 4, v17
	v_lshlrev_b32_sdwa v7, v16, v7 dst_sel:DWORD dst_unused:UNUSED_PAD src0_sel:DWORD src1_sel:BYTE_3
	v_lshlrev_b32_e32 v24, 3, v20
	global_load_dword v25, v19, s[4:5]
	global_load_dword v28, v21, s[4:5]
	v_and_b32_e32 v21, 0x3f8, v23
	global_load_dword v23, v22, s[4:5]
	global_load_dword v29, v7, s[4:5]
	global_load_dwordx2 v[19:20], v24, s[12:13]
	global_load_dwordx2 v[26:27], v21, s[12:13]
	s_waitcnt vmcnt(6)
	v_cvt_f32_f16_e32 v18, v18
	s_waitcnt vmcnt(1)
	v_xor_b32_e32 v7, v19, v25
	v_and_b32_e32 v21, 0xff000000, v19
	v_and_b32_e32 v22, 0xff0000, v19
	;; [unrolled: 1-line block ×3, first 2 shown]
	v_sub_u32_e32 v21, v7, v21
	v_sub_u32_e32 v22, v7, v22
	;; [unrolled: 1-line block ×4, first 2 shown]
	v_perm_b32 v7, v22, v7, s3
	v_and_b32_e32 v21, 0xff000000, v21
	v_and_b32_e32 v22, 0xff00, v24
	v_xor_b32_e32 v25, v20, v28
	v_or3_b32 v7, v7, v21, v22
	v_and_b32_e32 v21, 0xff0000, v20
	v_and_b32_e32 v19, 0xff000000, v20
	;; [unrolled: 1-line block ×3, first 2 shown]
	v_sub_u32_e32 v20, v25, v20
	v_sub_u32_e32 v21, v25, v21
	s_waitcnt vmcnt(0)
	v_xor_b32_e32 v23, v26, v23
	v_and_b32_e32 v24, 0xff000000, v26
	v_sub_u32_e32 v19, v25, v19
	v_sub_u32_e32 v22, v25, v22
	v_and_b32_e32 v25, 0xff0000, v26
	v_perm_b32 v20, v21, v20, s3
	v_and_b32_e32 v21, 0xff00, v26
	v_sub_u32_e32 v24, v23, v24
	v_sub_u32_e32 v25, v23, v25
	;; [unrolled: 1-line block ×4, first 2 shown]
	v_and_b32_e32 v19, 0xff000000, v19
	v_and_b32_e32 v22, 0xff00, v22
	v_perm_b32 v23, v25, v23, s3
	v_and_b32_e32 v24, 0xff000000, v24
	v_and_b32_e32 v21, 0xff00, v21
	v_or3_b32 v28, v20, v19, v22
	v_or3_b32 v30, v23, v24, v21
	global_load_dwordx4 v[19:22], v[5:6], off
	global_load_dwordx4 v[23:26], v[5:6], off offset:16
	s_waitcnt vmcnt(1)
	v_dot4_i32_i8 v7, v7, v20, 0
	v_dot4_i32_i8 v7, v28, v21, v7
	;; [unrolled: 1-line block ×3, first 2 shown]
	v_cvt_f32_f16_e32 v22, v19
	v_xor_b32_e32 v7, v27, v29
	v_and_b32_e32 v19, 0xff000000, v27
	v_and_b32_e32 v20, 0xff0000, v27
	;; [unrolled: 1-line block ×3, first 2 shown]
	v_sub_u32_e32 v27, v7, v27
	v_sub_u32_e32 v19, v7, v19
	;; [unrolled: 1-line block ×4, first 2 shown]
	v_lshrrev_b32_e32 v28, 11, v17
	v_perm_b32 v20, v20, v27, s3
	v_lshlrev_b32_sdwa v27, v16, v8 dst_sel:DWORD dst_unused:UNUSED_PAD src0_sel:DWORD src1_sel:BYTE_0
	v_and_b32_e32 v19, 0xff000000, v19
	v_and_b32_e32 v7, 0xff00, v7
	v_or3_b32 v29, v20, v19, v7
	v_lshlrev_b32_sdwa v7, v16, v8 dst_sel:DWORD dst_unused:UNUSED_PAD src0_sel:DWORD src1_sel:BYTE_1
	v_and_b32_e32 v28, 0x3f8, v28
	global_load_dword v30, v27, s[4:5]
	global_load_dword v31, v7, s[4:5]
	global_load_dwordx2 v[19:20], v28, s[12:13]
	s_waitcnt vmcnt(0)
	v_xor_b32_e32 v7, v19, v30
	v_and_b32_e32 v27, 0xff000000, v19
	v_and_b32_e32 v28, 0xff0000, v19
	;; [unrolled: 1-line block ×3, first 2 shown]
	v_sub_u32_e32 v27, v7, v27
	v_sub_u32_e32 v28, v7, v28
	;; [unrolled: 1-line block ×4, first 2 shown]
	v_perm_b32 v7, v28, v7, s3
	v_and_b32_e32 v19, 0xff000000, v27
	v_and_b32_e32 v27, 0xff00, v30
	v_or3_b32 v19, v7, v19, v27
	v_xor_b32_e32 v7, v20, v31
	v_and_b32_e32 v27, 0xff000000, v20
	v_and_b32_e32 v28, 0xff0000, v20
	;; [unrolled: 1-line block ×3, first 2 shown]
	v_sub_u32_e32 v20, v7, v20
	v_sub_u32_e32 v27, v7, v27
	;; [unrolled: 1-line block ×4, first 2 shown]
	v_perm_b32 v20, v28, v20, s3
	v_and_b32_e32 v27, 0xff000000, v27
	v_and_b32_e32 v7, 0xff00, v7
	v_or3_b32 v20, v20, v27, v7
	v_lshrrev_b32_e32 v7, 18, v17
	v_lshlrev_b32_sdwa v27, v16, v8 dst_sel:DWORD dst_unused:UNUSED_PAD src0_sel:DWORD src1_sel:BYTE_2
	v_lshlrev_b32_sdwa v28, v16, v8 dst_sel:DWORD dst_unused:UNUSED_PAD src0_sel:DWORD src1_sel:BYTE_3
	v_and_b32_e32 v30, 0x3f8, v7
	global_load_dword v27, v27, s[4:5]
	s_nop 0
	global_load_dword v31, v28, s[4:5]
	global_load_dwordx2 v[7:8], v30, s[12:13]
	v_lshrrev_b32_e32 v17, 28, v17
	global_load_dword v5, v[5:6], off offset:32
	v_cvt_f32_ubyte0_e32 v17, v17
	v_add_f32_e32 v17, 0.5, v17
	s_waitcnt vmcnt(1)
	v_xor_b32_e32 v27, v7, v27
	v_and_b32_e32 v28, 0xff000000, v7
	v_and_b32_e32 v30, 0xff0000, v7
	v_and_b32_e32 v32, 0xff00, v7
	v_sub_u32_e32 v28, v27, v28
	v_sub_u32_e32 v30, v27, v30
	;; [unrolled: 1-line block ×4, first 2 shown]
	v_perm_b32 v7, v30, v7, s3
	v_and_b32_e32 v27, 0xff000000, v28
	v_and_b32_e32 v28, 0xff00, v32
	v_or3_b32 v7, v7, v27, v28
	v_xor_b32_e32 v6, v8, v31
	v_and_b32_e32 v27, 0xff000000, v8
	v_and_b32_e32 v28, 0xff0000, v8
	;; [unrolled: 1-line block ×3, first 2 shown]
	v_sub_u32_e32 v8, v6, v8
	v_sub_u32_e32 v27, v6, v27
	v_sub_u32_e32 v28, v6, v28
	v_sub_u32_e32 v6, v6, v30
	v_and_b32_e32 v27, 0xff000000, v27
	v_and_b32_e32 v6, 0xff00, v6
	v_perm_b32 v8, v28, v8, s3
	v_or3_b32 v6, v8, v27, v6
	v_dot4_i32_i8 v8, v29, v23, v21
	v_dot4_i32_i8 v8, v19, v24, v8
	;; [unrolled: 1-line block ×4, first 2 shown]
	s_waitcnt vmcnt(0)
	v_dot4_i32_i8 v5, v6, v5, v7
	v_cvt_f32_i32_e32 v5, v5
	v_mul_f32_e32 v6, v17, v18
	v_mul_f32_e32 v6, v6, v22
	v_mul_f32_e32 v6, 0.5, v6
	v_fmac_f32_e32 v11, v6, v5
	s_andn2_b64 exec, exec, s[0:1]
	s_cbranch_execnz .LBB249_3
; %bb.4:
	s_or_b64 exec, exec, s[0:1]
.LBB249_5:
	s_or_b64 exec, exec, s[10:11]
	v_mbcnt_lo_u32_b32 v1, -1, 0
	v_mbcnt_hi_u32_b32 v2, -1, v1
	v_and_b32_e32 v1, 64, v2
	v_add_u32_e32 v3, 64, v1
	v_xor_b32_e32 v1, 32, v2
	v_cmp_lt_i32_e32 vcc, v1, v3
	v_cndmask_b32_e32 v1, v2, v1, vcc
	v_lshlrev_b32_e32 v1, 2, v1
	ds_bpermute_b32 v1, v1, v11
	v_xor_b32_e32 v4, 16, v2
	v_cmp_lt_i32_e32 vcc, v4, v3
	v_cndmask_b32_e32 v4, v2, v4, vcc
	v_lshlrev_b32_e32 v4, 2, v4
	s_waitcnt lgkmcnt(0)
	v_add_f32_e32 v1, v11, v1
	ds_bpermute_b32 v4, v4, v1
	v_xor_b32_e32 v5, 8, v2
	v_cmp_lt_i32_e32 vcc, v5, v3
	s_waitcnt lgkmcnt(0)
	v_add_f32_e32 v1, v1, v4
	v_cndmask_b32_e32 v4, v2, v5, vcc
	v_lshlrev_b32_e32 v4, 2, v4
	ds_bpermute_b32 v4, v4, v1
	v_xor_b32_e32 v5, 4, v2
	v_cmp_lt_i32_e32 vcc, v5, v3
	s_waitcnt lgkmcnt(0)
	v_add_f32_e32 v1, v1, v4
	v_cndmask_b32_e32 v4, v2, v5, vcc
	v_lshlrev_b32_e32 v4, 2, v4
	;; [unrolled: 7-line block ×3, first 2 shown]
	ds_bpermute_b32 v4, v4, v1
	v_xor_b32_e32 v5, 1, v2
	v_cmp_lt_i32_e32 vcc, v5, v3
	v_cndmask_b32_e32 v2, v2, v5, vcc
	v_lshlrev_b32_e32 v2, 2, v2
	s_waitcnt lgkmcnt(0)
	v_add_f32_e32 v1, v1, v4
	ds_bpermute_b32 v2, v2, v1
	v_cmp_eq_u32_e32 vcc, 0, v0
	s_and_b64 exec, exec, vcc
	s_cbranch_execz .LBB249_7
; %bb.6:
	s_mul_i32 s0, s2, s8
	s_waitcnt lgkmcnt(0)
	v_add_f32_e32 v2, v1, v2
	v_add_u32_e32 v0, s0, v9
	v_mov_b32_e32 v1, 0
	v_lshlrev_b64 v[0:1], 2, v[0:1]
	v_mov_b32_e32 v3, s7
	v_add_co_u32_e32 v0, vcc, s6, v0
	v_addc_co_u32_e32 v1, vcc, v3, v1, vcc
	global_store_dword v[0:1], v2, off
.LBB249_7:
	s_endpgm
	.section	.rodata,"a",@progbits
	.p2align	6, 0x0
	.amdhsa_kernel _ZL9moe_vec_qIfLi256ELi8E13block_iq3_xxsLi1EXadL_ZL20vec_dot_iq3_xxs_q8_1PKvPK10block_q8_1RKiEEEvS2_S2_PT_PS6_iiii
		.amdhsa_group_segment_fixed_size 0
		.amdhsa_private_segment_fixed_size 0
		.amdhsa_kernarg_size 304
		.amdhsa_user_sgpr_count 6
		.amdhsa_user_sgpr_private_segment_buffer 1
		.amdhsa_user_sgpr_dispatch_ptr 0
		.amdhsa_user_sgpr_queue_ptr 0
		.amdhsa_user_sgpr_kernarg_segment_ptr 1
		.amdhsa_user_sgpr_dispatch_id 0
		.amdhsa_user_sgpr_flat_scratch_init 0
		.amdhsa_user_sgpr_private_segment_size 0
		.amdhsa_uses_dynamic_stack 0
		.amdhsa_system_sgpr_private_segment_wavefront_offset 0
		.amdhsa_system_sgpr_workgroup_id_x 1
		.amdhsa_system_sgpr_workgroup_id_y 0
		.amdhsa_system_sgpr_workgroup_id_z 1
		.amdhsa_system_sgpr_workgroup_info 0
		.amdhsa_system_vgpr_workitem_id 1
		.amdhsa_next_free_vgpr 33
		.amdhsa_next_free_sgpr 20
		.amdhsa_reserve_vcc 1
		.amdhsa_reserve_flat_scratch 0
		.amdhsa_float_round_mode_32 0
		.amdhsa_float_round_mode_16_64 0
		.amdhsa_float_denorm_mode_32 3
		.amdhsa_float_denorm_mode_16_64 3
		.amdhsa_dx10_clamp 1
		.amdhsa_ieee_mode 1
		.amdhsa_fp16_overflow 0
		.amdhsa_exception_fp_ieee_invalid_op 0
		.amdhsa_exception_fp_denorm_src 0
		.amdhsa_exception_fp_ieee_div_zero 0
		.amdhsa_exception_fp_ieee_overflow 0
		.amdhsa_exception_fp_ieee_underflow 0
		.amdhsa_exception_fp_ieee_inexact 0
		.amdhsa_exception_int_div_zero 0
	.end_amdhsa_kernel
	.section	.text._ZL9moe_vec_qIfLi256ELi8E13block_iq3_xxsLi1EXadL_ZL20vec_dot_iq3_xxs_q8_1PKvPK10block_q8_1RKiEEEvS2_S2_PT_PS6_iiii,"axG",@progbits,_ZL9moe_vec_qIfLi256ELi8E13block_iq3_xxsLi1EXadL_ZL20vec_dot_iq3_xxs_q8_1PKvPK10block_q8_1RKiEEEvS2_S2_PT_PS6_iiii,comdat
.Lfunc_end249:
	.size	_ZL9moe_vec_qIfLi256ELi8E13block_iq3_xxsLi1EXadL_ZL20vec_dot_iq3_xxs_q8_1PKvPK10block_q8_1RKiEEEvS2_S2_PT_PS6_iiii, .Lfunc_end249-_ZL9moe_vec_qIfLi256ELi8E13block_iq3_xxsLi1EXadL_ZL20vec_dot_iq3_xxs_q8_1PKvPK10block_q8_1RKiEEEvS2_S2_PT_PS6_iiii
                                        ; -- End function
	.set _ZL9moe_vec_qIfLi256ELi8E13block_iq3_xxsLi1EXadL_ZL20vec_dot_iq3_xxs_q8_1PKvPK10block_q8_1RKiEEEvS2_S2_PT_PS6_iiii.num_vgpr, 33
	.set _ZL9moe_vec_qIfLi256ELi8E13block_iq3_xxsLi1EXadL_ZL20vec_dot_iq3_xxs_q8_1PKvPK10block_q8_1RKiEEEvS2_S2_PT_PS6_iiii.num_agpr, 0
	.set _ZL9moe_vec_qIfLi256ELi8E13block_iq3_xxsLi1EXadL_ZL20vec_dot_iq3_xxs_q8_1PKvPK10block_q8_1RKiEEEvS2_S2_PT_PS6_iiii.numbered_sgpr, 20
	.set _ZL9moe_vec_qIfLi256ELi8E13block_iq3_xxsLi1EXadL_ZL20vec_dot_iq3_xxs_q8_1PKvPK10block_q8_1RKiEEEvS2_S2_PT_PS6_iiii.num_named_barrier, 0
	.set _ZL9moe_vec_qIfLi256ELi8E13block_iq3_xxsLi1EXadL_ZL20vec_dot_iq3_xxs_q8_1PKvPK10block_q8_1RKiEEEvS2_S2_PT_PS6_iiii.private_seg_size, 0
	.set _ZL9moe_vec_qIfLi256ELi8E13block_iq3_xxsLi1EXadL_ZL20vec_dot_iq3_xxs_q8_1PKvPK10block_q8_1RKiEEEvS2_S2_PT_PS6_iiii.uses_vcc, 1
	.set _ZL9moe_vec_qIfLi256ELi8E13block_iq3_xxsLi1EXadL_ZL20vec_dot_iq3_xxs_q8_1PKvPK10block_q8_1RKiEEEvS2_S2_PT_PS6_iiii.uses_flat_scratch, 0
	.set _ZL9moe_vec_qIfLi256ELi8E13block_iq3_xxsLi1EXadL_ZL20vec_dot_iq3_xxs_q8_1PKvPK10block_q8_1RKiEEEvS2_S2_PT_PS6_iiii.has_dyn_sized_stack, 0
	.set _ZL9moe_vec_qIfLi256ELi8E13block_iq3_xxsLi1EXadL_ZL20vec_dot_iq3_xxs_q8_1PKvPK10block_q8_1RKiEEEvS2_S2_PT_PS6_iiii.has_recursion, 0
	.set _ZL9moe_vec_qIfLi256ELi8E13block_iq3_xxsLi1EXadL_ZL20vec_dot_iq3_xxs_q8_1PKvPK10block_q8_1RKiEEEvS2_S2_PT_PS6_iiii.has_indirect_call, 0
	.section	.AMDGPU.csdata,"",@progbits
; Kernel info:
; codeLenInByte = 1728
; TotalNumSgprs: 24
; NumVgprs: 33
; ScratchSize: 0
; MemoryBound: 0
; FloatMode: 240
; IeeeMode: 1
; LDSByteSize: 0 bytes/workgroup (compile time only)
; SGPRBlocks: 2
; VGPRBlocks: 8
; NumSGPRsForWavesPerEU: 24
; NumVGPRsForWavesPerEU: 33
; Occupancy: 7
; WaveLimiterHint : 1
; COMPUTE_PGM_RSRC2:SCRATCH_EN: 0
; COMPUTE_PGM_RSRC2:USER_SGPR: 6
; COMPUTE_PGM_RSRC2:TRAP_HANDLER: 0
; COMPUTE_PGM_RSRC2:TGID_X_EN: 1
; COMPUTE_PGM_RSRC2:TGID_Y_EN: 0
; COMPUTE_PGM_RSRC2:TGID_Z_EN: 1
; COMPUTE_PGM_RSRC2:TIDIG_COMP_CNT: 1
	.section	.text._ZL9moe_vec_qIfLi256ELi8E11block_iq1_sLi1EXadL_ZL18vec_dot_iq1_s_q8_1PKvPK10block_q8_1RKiEEEvS2_S2_PT_PS6_iiii,"axG",@progbits,_ZL9moe_vec_qIfLi256ELi8E11block_iq1_sLi1EXadL_ZL18vec_dot_iq1_s_q8_1PKvPK10block_q8_1RKiEEEvS2_S2_PT_PS6_iiii,comdat
	.globl	_ZL9moe_vec_qIfLi256ELi8E11block_iq1_sLi1EXadL_ZL18vec_dot_iq1_s_q8_1PKvPK10block_q8_1RKiEEEvS2_S2_PT_PS6_iiii ; -- Begin function _ZL9moe_vec_qIfLi256ELi8E11block_iq1_sLi1EXadL_ZL18vec_dot_iq1_s_q8_1PKvPK10block_q8_1RKiEEEvS2_S2_PT_PS6_iiii
	.p2align	8
	.type	_ZL9moe_vec_qIfLi256ELi8E11block_iq1_sLi1EXadL_ZL18vec_dot_iq1_s_q8_1PKvPK10block_q8_1RKiEEEvS2_S2_PT_PS6_iiii,@function
_ZL9moe_vec_qIfLi256ELi8E11block_iq1_sLi1EXadL_ZL18vec_dot_iq1_s_q8_1PKvPK10block_q8_1RKiEEEvS2_S2_PT_PS6_iiii: ; @_ZL9moe_vec_qIfLi256ELi8E11block_iq1_sLi1EXadL_ZL18vec_dot_iq1_s_q8_1PKvPK10block_q8_1RKiEEEvS2_S2_PT_PS6_iiii
; %bb.0:
	s_mov_b32 s8, s7
	s_load_dword s7, s[4:5], 0x3c
	s_load_dwordx4 s[0:3], s[4:5], 0x20
	s_waitcnt lgkmcnt(0)
	s_lshr_b32 s7, s7, 16
	s_mul_i32 s6, s6, s7
	v_add_u32_e32 v9, s6, v1
	v_cmp_gt_u32_e32 vcc, s2, v9
	s_and_saveexec_b64 s[6:7], vcc
	s_cbranch_execz .LBB250_7
; %bb.1:
	s_load_dwordx2 s[6:7], s[4:5], 0x10
	s_ashr_i32 s9, s1, 31
	s_lshr_b32 s9, s9, 24
	s_add_i32 s1, s1, s9
	s_ashr_i32 s12, s1, 8
	v_lshrrev_b32_e32 v10, 3, v0
	v_cmp_gt_u32_e32 vcc, s12, v10
	v_mov_b32_e32 v11, 0
	s_and_saveexec_b64 s[10:11], vcc
	s_cbranch_execz .LBB250_5
; %bb.2:
	s_load_dwordx2 s[14:15], s[4:5], 0x18
	v_cvt_f32_u32_e32 v1, s0
	s_mov_b32 s9, 0
	s_lshl_b64 s[16:17], s[8:9], 2
	v_mul_lo_u32 v12, v9, s12
	v_rcp_iflag_f32_e32 v1, v1
	s_waitcnt lgkmcnt(0)
	s_add_u32 s14, s14, s16
	s_addc_u32 s15, s15, s17
	s_load_dword s1, s[14:15], 0x0
	s_load_dwordx4 s[16:19], s[4:5], 0x0
	v_mul_f32_e32 v1, 0x4f7ffffe, v1
	s_mul_i32 s4, s12, s2
	v_cvt_u32_f32_e32 v1, v1
	s_waitcnt lgkmcnt(0)
	s_mul_i32 s1, s4, s1
	s_mul_hi_i32 s5, s1, 50
	s_mul_i32 s1, s1, 50
	s_add_u32 s4, s16, s1
	s_addc_u32 s5, s17, s5
	s_sub_i32 s1, 0, s0
	v_readfirstlane_b32 s13, v1
	s_mul_i32 s1, s1, s13
	s_mul_hi_u32 s1, s13, s1
	s_add_i32 s13, s13, s1
	s_mul_hi_u32 s1, s8, s13
	s_mul_i32 s13, s1, s0
	s_sub_i32 s13, s8, s13
	s_add_i32 s14, s1, 1
	s_sub_i32 s15, s13, s0
	s_cmp_ge_u32 s13, s0
	s_cselect_b32 s1, s14, s1
	s_cselect_b32 s13, s15, s13
	s_add_i32 s14, s1, 1
	s_cmp_ge_u32 s13, s0
	s_cselect_b32 s0, s14, s1
	s_mul_i32 s0, s0, s3
	s_mov_b32 s1, s9
	s_lshl_b64 s[0:1], s[0:1], 2
	s_add_u32 s0, s18, s0
	s_addc_u32 s1, s19, s1
	v_and_b32_e32 v1, 7, v0
	v_mad_u64_u32 v[5:6], s[0:1], v1, 36, s[0:1]
	v_lshlrev_b32_e32 v2, 1, v1
	v_mov_b32_e32 v11, 0
	v_lshlrev_b32_e32 v13, 3, v10
	s_mov_b64 s[0:1], 0
	v_lshlrev_b32_e32 v14, 1, v2
	v_lshlrev_b32_e32 v15, 1, v1
	s_movk_i32 s3, 0x700
.LBB250_3:                              ; =>This Inner Loop Header: Depth=1
	v_add_u32_e32 v1, v12, v10
	v_mad_i64_i32 v[7:8], s[14:15], v1, 50, s[4:5]
	v_mad_i64_i32 v[21:22], s[14:15], v13, 36, v[5:6]
	v_add_co_u32_e32 v1, vcc, v7, v14
	v_addc_co_u32_e32 v2, vcc, 0, v8, vcc
	v_add_co_u32_e32 v3, vcc, v7, v15
	v_addc_co_u32_e32 v4, vcc, 0, v8, vcc
	global_load_dword v17, v[1:2], off offset:2
	global_load_ushort v16, v[3:4], off offset:34
	s_nop 0
	global_load_dwordx4 v[1:4], v[21:22], off
	global_load_ushort v23, v[7:8], off
	s_getpc_b64 s[14:15]
	s_add_u32 s14, s14, _ZL13iq1s_grid_gpu@rel32@lo+4
	s_addc_u32 s15, s15, _ZL13iq1s_grid_gpu@rel32@hi+12
	v_add_u32_e32 v10, 8, v10
	v_cmp_le_u32_e32 vcc, s12, v10
	v_add_u32_e32 v13, 64, v13
	s_or_b64 s[0:1], vcc, s[0:1]
	s_waitcnt vmcnt(3)
	v_and_b32_e32 v7, 0xff, v17
	s_waitcnt vmcnt(2)
	v_lshlrev_b32_e32 v8, 8, v16
	v_bfe_u32 v18, v17, 8, 8
	v_lshlrev_b32_e32 v19, 5, v16
	v_bfe_u32 v20, v17, 16, 8
	v_lshlrev_b32_e32 v24, 2, v16
	v_lshrrev_b32_e32 v17, 24, v17
	v_lshrrev_b32_e32 v25, 1, v16
	v_and_or_b32 v7, v8, s3, v7
	v_and_or_b32 v8, v19, s3, v18
	;; [unrolled: 1-line block ×4, first 2 shown]
	v_lshlrev_b32_e32 v7, 3, v7
	global_load_dwordx4 v[17:20], v[21:22], off offset:16
	v_lshlrev_b32_e32 v8, 3, v8
	v_lshlrev_b32_e32 v24, 3, v24
	;; [unrolled: 1-line block ×3, first 2 shown]
	global_load_dword v26, v7, s[14:15]
	global_load_dword v27, v8, s[14:15]
	;; [unrolled: 1-line block ×4, first 2 shown]
	global_load_dword v30, v[21:22], off offset:32
	s_waitcnt vmcnt(4)
	v_and_b32_e32 v7, 0xf0f0f0f, v26
	v_lshrrev_b32_e32 v8, 4, v26
	v_and_b32_e32 v8, 0xf0f0f0f, v8
	v_dot4_i32_i8 v2, v7, v2, 0
	v_dot4_i32_i8 v2, v8, v3, v2
	s_waitcnt vmcnt(3)
	v_and_b32_e32 v3, 0xf0f0f0f, v27
	v_dot4_i32_i8 v2, v3, v4, v2
	v_lshrrev_b32_e32 v4, 4, v27
	v_and_b32_e32 v4, 0xf0f0f0f, v4
	v_dot4_i32_i8 v2, v4, v17, v2
	s_waitcnt vmcnt(2)
	v_and_b32_e32 v4, 0xf0f0f0f, v28
	v_lshrrev_b32_e32 v7, 4, v28
	v_dot4_i32_i8 v2, v4, v18, v2
	v_and_b32_e32 v7, 0xf0f0f0f, v7
	v_dot4_i32_i8 v2, v7, v19, v2
	s_waitcnt vmcnt(1)
	v_and_b32_e32 v7, 0xf0f0f0f, v29
	v_dot4_i32_i8 v2, v7, v20, v2
	v_and_b32_e32 v7, 0x8000, v16
	v_lshrrev_b32_e32 v17, 4, v29
	v_cvt_f32_u32_e32 v7, v7
	v_and_b32_e32 v17, 0xf0f0f0f, v17
	v_cvt_f32_f16_sdwa v4, v1 dst_sel:DWORD dst_unused:UNUSED_PAD src0_sel:WORD_1
	s_waitcnt vmcnt(0)
	v_dot4_i32_i8 v2, v17, v30, v2
	v_cvt_f32_f16_e32 v8, v23
	v_cvt_f32_i32_e32 v2, v2
	v_mov_b32_e32 v3, 0xbf600000
	v_lshrrev_b32_e32 v16, 11, v16
	v_and_or_b32 v16, v16, 14, 1
	v_fmac_f32_e32 v3, 0xb7000000, v7
	v_cvt_f32_ubyte0_e32 v16, v16
	v_mul_f32_e32 v3, v3, v4
	v_mul_f32_e32 v8, v16, v8
	v_fma_mix_f32 v1, v2, v1, v3 op_sel_hi:[0,1,0]
	v_fmac_f32_e32 v11, v8, v1
	s_andn2_b64 exec, exec, s[0:1]
	s_cbranch_execnz .LBB250_3
; %bb.4:
	s_or_b64 exec, exec, s[0:1]
.LBB250_5:
	s_or_b64 exec, exec, s[10:11]
	v_mbcnt_lo_u32_b32 v1, -1, 0
	v_mbcnt_hi_u32_b32 v2, -1, v1
	v_and_b32_e32 v1, 64, v2
	v_add_u32_e32 v3, 64, v1
	v_xor_b32_e32 v1, 32, v2
	v_cmp_lt_i32_e32 vcc, v1, v3
	v_cndmask_b32_e32 v1, v2, v1, vcc
	v_lshlrev_b32_e32 v1, 2, v1
	ds_bpermute_b32 v1, v1, v11
	v_xor_b32_e32 v4, 16, v2
	v_cmp_lt_i32_e32 vcc, v4, v3
	v_cndmask_b32_e32 v4, v2, v4, vcc
	v_lshlrev_b32_e32 v4, 2, v4
	s_waitcnt lgkmcnt(0)
	v_add_f32_e32 v1, v11, v1
	ds_bpermute_b32 v4, v4, v1
	v_xor_b32_e32 v5, 8, v2
	v_cmp_lt_i32_e32 vcc, v5, v3
	s_waitcnt lgkmcnt(0)
	v_add_f32_e32 v1, v1, v4
	v_cndmask_b32_e32 v4, v2, v5, vcc
	v_lshlrev_b32_e32 v4, 2, v4
	ds_bpermute_b32 v4, v4, v1
	v_xor_b32_e32 v5, 4, v2
	v_cmp_lt_i32_e32 vcc, v5, v3
	s_waitcnt lgkmcnt(0)
	v_add_f32_e32 v1, v1, v4
	v_cndmask_b32_e32 v4, v2, v5, vcc
	v_lshlrev_b32_e32 v4, 2, v4
	;; [unrolled: 7-line block ×3, first 2 shown]
	ds_bpermute_b32 v4, v4, v1
	v_xor_b32_e32 v5, 1, v2
	v_cmp_lt_i32_e32 vcc, v5, v3
	v_cndmask_b32_e32 v2, v2, v5, vcc
	v_lshlrev_b32_e32 v2, 2, v2
	s_waitcnt lgkmcnt(0)
	v_add_f32_e32 v1, v1, v4
	ds_bpermute_b32 v2, v2, v1
	v_cmp_eq_u32_e32 vcc, 0, v0
	s_and_b64 exec, exec, vcc
	s_cbranch_execz .LBB250_7
; %bb.6:
	s_mul_i32 s0, s2, s8
	s_waitcnt lgkmcnt(0)
	v_add_f32_e32 v2, v1, v2
	v_add_u32_e32 v0, s0, v9
	v_mov_b32_e32 v1, 0
	v_lshlrev_b64 v[0:1], 2, v[0:1]
	v_mov_b32_e32 v3, s7
	v_add_co_u32_e32 v0, vcc, s6, v0
	v_addc_co_u32_e32 v1, vcc, v3, v1, vcc
	global_store_dword v[0:1], v2, off
.LBB250_7:
	s_endpgm
	.section	.rodata,"a",@progbits
	.p2align	6, 0x0
	.amdhsa_kernel _ZL9moe_vec_qIfLi256ELi8E11block_iq1_sLi1EXadL_ZL18vec_dot_iq1_s_q8_1PKvPK10block_q8_1RKiEEEvS2_S2_PT_PS6_iiii
		.amdhsa_group_segment_fixed_size 0
		.amdhsa_private_segment_fixed_size 0
		.amdhsa_kernarg_size 304
		.amdhsa_user_sgpr_count 6
		.amdhsa_user_sgpr_private_segment_buffer 1
		.amdhsa_user_sgpr_dispatch_ptr 0
		.amdhsa_user_sgpr_queue_ptr 0
		.amdhsa_user_sgpr_kernarg_segment_ptr 1
		.amdhsa_user_sgpr_dispatch_id 0
		.amdhsa_user_sgpr_flat_scratch_init 0
		.amdhsa_user_sgpr_private_segment_size 0
		.amdhsa_uses_dynamic_stack 0
		.amdhsa_system_sgpr_private_segment_wavefront_offset 0
		.amdhsa_system_sgpr_workgroup_id_x 1
		.amdhsa_system_sgpr_workgroup_id_y 0
		.amdhsa_system_sgpr_workgroup_id_z 1
		.amdhsa_system_sgpr_workgroup_info 0
		.amdhsa_system_vgpr_workitem_id 1
		.amdhsa_next_free_vgpr 31
		.amdhsa_next_free_sgpr 20
		.amdhsa_reserve_vcc 1
		.amdhsa_reserve_flat_scratch 0
		.amdhsa_float_round_mode_32 0
		.amdhsa_float_round_mode_16_64 0
		.amdhsa_float_denorm_mode_32 3
		.amdhsa_float_denorm_mode_16_64 3
		.amdhsa_dx10_clamp 1
		.amdhsa_ieee_mode 1
		.amdhsa_fp16_overflow 0
		.amdhsa_exception_fp_ieee_invalid_op 0
		.amdhsa_exception_fp_denorm_src 0
		.amdhsa_exception_fp_ieee_div_zero 0
		.amdhsa_exception_fp_ieee_overflow 0
		.amdhsa_exception_fp_ieee_underflow 0
		.amdhsa_exception_fp_ieee_inexact 0
		.amdhsa_exception_int_div_zero 0
	.end_amdhsa_kernel
	.section	.text._ZL9moe_vec_qIfLi256ELi8E11block_iq1_sLi1EXadL_ZL18vec_dot_iq1_s_q8_1PKvPK10block_q8_1RKiEEEvS2_S2_PT_PS6_iiii,"axG",@progbits,_ZL9moe_vec_qIfLi256ELi8E11block_iq1_sLi1EXadL_ZL18vec_dot_iq1_s_q8_1PKvPK10block_q8_1RKiEEEvS2_S2_PT_PS6_iiii,comdat
.Lfunc_end250:
	.size	_ZL9moe_vec_qIfLi256ELi8E11block_iq1_sLi1EXadL_ZL18vec_dot_iq1_s_q8_1PKvPK10block_q8_1RKiEEEvS2_S2_PT_PS6_iiii, .Lfunc_end250-_ZL9moe_vec_qIfLi256ELi8E11block_iq1_sLi1EXadL_ZL18vec_dot_iq1_s_q8_1PKvPK10block_q8_1RKiEEEvS2_S2_PT_PS6_iiii
                                        ; -- End function
	.set _ZL9moe_vec_qIfLi256ELi8E11block_iq1_sLi1EXadL_ZL18vec_dot_iq1_s_q8_1PKvPK10block_q8_1RKiEEEvS2_S2_PT_PS6_iiii.num_vgpr, 31
	.set _ZL9moe_vec_qIfLi256ELi8E11block_iq1_sLi1EXadL_ZL18vec_dot_iq1_s_q8_1PKvPK10block_q8_1RKiEEEvS2_S2_PT_PS6_iiii.num_agpr, 0
	.set _ZL9moe_vec_qIfLi256ELi8E11block_iq1_sLi1EXadL_ZL18vec_dot_iq1_s_q8_1PKvPK10block_q8_1RKiEEEvS2_S2_PT_PS6_iiii.numbered_sgpr, 20
	.set _ZL9moe_vec_qIfLi256ELi8E11block_iq1_sLi1EXadL_ZL18vec_dot_iq1_s_q8_1PKvPK10block_q8_1RKiEEEvS2_S2_PT_PS6_iiii.num_named_barrier, 0
	.set _ZL9moe_vec_qIfLi256ELi8E11block_iq1_sLi1EXadL_ZL18vec_dot_iq1_s_q8_1PKvPK10block_q8_1RKiEEEvS2_S2_PT_PS6_iiii.private_seg_size, 0
	.set _ZL9moe_vec_qIfLi256ELi8E11block_iq1_sLi1EXadL_ZL18vec_dot_iq1_s_q8_1PKvPK10block_q8_1RKiEEEvS2_S2_PT_PS6_iiii.uses_vcc, 1
	.set _ZL9moe_vec_qIfLi256ELi8E11block_iq1_sLi1EXadL_ZL18vec_dot_iq1_s_q8_1PKvPK10block_q8_1RKiEEEvS2_S2_PT_PS6_iiii.uses_flat_scratch, 0
	.set _ZL9moe_vec_qIfLi256ELi8E11block_iq1_sLi1EXadL_ZL18vec_dot_iq1_s_q8_1PKvPK10block_q8_1RKiEEEvS2_S2_PT_PS6_iiii.has_dyn_sized_stack, 0
	.set _ZL9moe_vec_qIfLi256ELi8E11block_iq1_sLi1EXadL_ZL18vec_dot_iq1_s_q8_1PKvPK10block_q8_1RKiEEEvS2_S2_PT_PS6_iiii.has_recursion, 0
	.set _ZL9moe_vec_qIfLi256ELi8E11block_iq1_sLi1EXadL_ZL18vec_dot_iq1_s_q8_1PKvPK10block_q8_1RKiEEEvS2_S2_PT_PS6_iiii.has_indirect_call, 0
	.section	.AMDGPU.csdata,"",@progbits
; Kernel info:
; codeLenInByte = 1104
; TotalNumSgprs: 24
; NumVgprs: 31
; ScratchSize: 0
; MemoryBound: 0
; FloatMode: 240
; IeeeMode: 1
; LDSByteSize: 0 bytes/workgroup (compile time only)
; SGPRBlocks: 2
; VGPRBlocks: 7
; NumSGPRsForWavesPerEU: 24
; NumVGPRsForWavesPerEU: 31
; Occupancy: 8
; WaveLimiterHint : 1
; COMPUTE_PGM_RSRC2:SCRATCH_EN: 0
; COMPUTE_PGM_RSRC2:USER_SGPR: 6
; COMPUTE_PGM_RSRC2:TRAP_HANDLER: 0
; COMPUTE_PGM_RSRC2:TGID_X_EN: 1
; COMPUTE_PGM_RSRC2:TGID_Y_EN: 0
; COMPUTE_PGM_RSRC2:TGID_Z_EN: 1
; COMPUTE_PGM_RSRC2:TIDIG_COMP_CNT: 1
	.section	.text._ZL9moe_vec_qIfLi32ELi4E12block_iq4_nlLi2EXadL_ZL19vec_dot_iq4_nl_q8_1PKvPK10block_q8_1RKiEEEvS2_S2_PT_PS6_iiii,"axG",@progbits,_ZL9moe_vec_qIfLi32ELi4E12block_iq4_nlLi2EXadL_ZL19vec_dot_iq4_nl_q8_1PKvPK10block_q8_1RKiEEEvS2_S2_PT_PS6_iiii,comdat
	.globl	_ZL9moe_vec_qIfLi32ELi4E12block_iq4_nlLi2EXadL_ZL19vec_dot_iq4_nl_q8_1PKvPK10block_q8_1RKiEEEvS2_S2_PT_PS6_iiii ; -- Begin function _ZL9moe_vec_qIfLi32ELi4E12block_iq4_nlLi2EXadL_ZL19vec_dot_iq4_nl_q8_1PKvPK10block_q8_1RKiEEEvS2_S2_PT_PS6_iiii
	.p2align	8
	.type	_ZL9moe_vec_qIfLi32ELi4E12block_iq4_nlLi2EXadL_ZL19vec_dot_iq4_nl_q8_1PKvPK10block_q8_1RKiEEEvS2_S2_PT_PS6_iiii,@function
_ZL9moe_vec_qIfLi32ELi4E12block_iq4_nlLi2EXadL_ZL19vec_dot_iq4_nl_q8_1PKvPK10block_q8_1RKiEEEvS2_S2_PT_PS6_iiii: ; @_ZL9moe_vec_qIfLi32ELi4E12block_iq4_nlLi2EXadL_ZL19vec_dot_iq4_nl_q8_1PKvPK10block_q8_1RKiEEEvS2_S2_PT_PS6_iiii
; %bb.0:
	s_mov_b32 s8, s7
	s_load_dword s7, s[4:5], 0x3c
	s_load_dwordx4 s[0:3], s[4:5], 0x20
	s_waitcnt lgkmcnt(0)
	s_lshr_b32 s7, s7, 16
	s_mul_i32 s6, s6, s7
	v_add_u32_e32 v3, s6, v1
	v_cmp_gt_u32_e32 vcc, s2, v3
	s_and_saveexec_b64 s[6:7], vcc
	s_cbranch_execz .LBB251_7
; %bb.1:
	v_cvt_f32_u32_e32 v1, s0
	s_load_dwordx2 s[6:7], s[4:5], 0x10
	s_ashr_i32 s9, s1, 31
	s_lshr_b32 s9, s9, 27
	v_rcp_iflag_f32_e32 v1, v1
	s_add_i32 s1, s1, s9
	v_lshrrev_b32_e32 v4, 1, v0
	s_ashr_i32 s16, s1, 5
	v_mul_f32_e32 v1, 0x4f7ffffe, v1
	v_cvt_u32_f32_e32 v1, v1
	v_cmp_gt_u32_e32 vcc, s16, v4
	v_mov_b32_e32 v5, 0
	v_readfirstlane_b32 s1, v1
	s_and_saveexec_b64 s[10:11], vcc
	s_cbranch_execz .LBB251_5
; %bb.2:
	s_sub_i32 s12, 0, s0
	s_mul_i32 s17, s12, s1
	s_load_dwordx4 s[12:15], s[4:5], 0x0
	s_load_dwordx2 s[18:19], s[4:5], 0x18
	s_mov_b32 s9, 0
	s_mul_hi_u32 s4, s1, s17
	s_add_i32 s1, s1, s4
	s_lshl_b64 s[4:5], s[8:9], 2
	s_waitcnt lgkmcnt(0)
	s_add_u32 s4, s18, s4
	s_mul_hi_u32 s1, s8, s1
	s_addc_u32 s5, s19, s5
	s_load_dword s4, s[4:5], 0x0
	s_mul_i32 s5, s1, s0
	s_sub_i32 s5, s8, s5
	s_add_i32 s17, s1, 1
	s_sub_i32 s18, s5, s0
	s_cmp_ge_u32 s5, s0
	s_cselect_b32 s1, s17, s1
	s_cselect_b32 s5, s18, s5
	s_add_i32 s17, s1, 1
	s_cmp_ge_u32 s5, s0
	s_mul_i32 s0, s16, s2
	s_waitcnt lgkmcnt(0)
	s_mul_i32 s0, s0, s4
	s_cselect_b32 s5, s17, s1
	s_mul_hi_i32 s1, s0, 18
	s_mul_i32 s0, s0, 18
	s_add_u32 s0, s12, s0
	s_mul_i32 s4, s5, s3
	s_mov_b32 s5, s9
	v_mul_lo_u32 v6, v3, s16
	v_lshlrev_b32_e32 v1, 1, v0
	s_addc_u32 s1, s13, s1
	s_lshl_b64 s[4:5], s[4:5], 2
	v_and_b32_e32 v1, 2, v1
	s_add_u32 s4, s14, s4
	v_lshlrev_b32_e32 v2, 1, v1
	s_addc_u32 s5, s15, s5
	v_mov_b32_e32 v5, 0
	s_mov_b64 s[12:13], 0
	v_lshlrev_b32_e32 v7, 1, v2
	v_lshlrev_b32_e32 v8, 2, v1
	s_getpc_b64 s[14:15]
	s_add_u32 s14, s14, _ZL13kvalues_iq4nl@rel32@lo+4
	s_addc_u32 s15, s15, _ZL13kvalues_iq4nl@rel32@hi+12
.LBB251_3:                              ; =>This Inner Loop Header: Depth=1
	v_add_u32_e32 v1, v6, v4
	v_mad_i64_i32 v[1:2], s[18:19], v1, 18, s[0:1]
	v_add_co_u32_e32 v9, vcc, v1, v7
	v_addc_co_u32_e32 v10, vcc, 0, v2, vcc
	global_load_dwordx2 v[9:10], v[9:10], off offset:2
	s_waitcnt vmcnt(0)
	v_and_b32_e32 v12, 15, v9
	v_bfe_u32 v13, v9, 8, 4
	global_load_ubyte v15, v12, s[14:15]
	global_load_ubyte v16, v13, s[14:15]
	v_bfe_u32 v11, v9, 24, 4
	v_bfe_u32 v14, v9, 16, 4
	;; [unrolled: 1-line block ×3, first 2 shown]
	s_waitcnt vmcnt(0)
	v_lshl_or_b32 v12, v16, 8, v15
	global_load_ubyte v15, v11, s[14:15]
	global_load_ubyte v16, v14, s[14:15]
	s_waitcnt vmcnt(1)
	v_lshlrev_b32_e32 v11, 24, v15
	s_waitcnt vmcnt(0)
	v_lshlrev_b32_e32 v14, 16, v16
	v_or3_b32 v17, v12, v14, v11
	v_and_b32_e32 v11, 15, v10
	v_bfe_u32 v12, v10, 8, 4
	global_load_ubyte v14, v11, s[14:15]
	global_load_ubyte v15, v12, s[14:15]
	v_bfe_u32 v12, v10, 16, 4
	s_waitcnt vmcnt(0)
	v_lshl_or_b32 v11, v15, 8, v14
	global_load_ubyte v14, v13, s[14:15]
	global_load_ubyte v15, v12, s[14:15]
	s_waitcnt vmcnt(1)
	v_lshlrev_b32_e32 v12, 24, v14
	s_waitcnt vmcnt(0)
	v_lshlrev_b32_e32 v13, 16, v15
	v_or3_b32 v18, v11, v13, v12
	v_mad_i64_i32 v[11:12], s[18:19], v4, 36, s[4:5]
	v_add_u32_e32 v4, 32, v4
	v_add_co_u32_e32 v13, vcc, v11, v8
	v_addc_co_u32_e32 v14, vcc, 0, v12, vcc
	global_load_dwordx2 v[15:16], v[13:14], off offset:4
	v_cmp_le_u32_e32 vcc, s16, v4
	s_or_b64 s[12:13], vcc, s[12:13]
	s_waitcnt vmcnt(0)
	v_dot4_i32_i8 v15, v17, v15, 0
	v_dot4_i32_i8 v15, v18, v16, v15
	v_bfe_u32 v16, v9, 12, 4
	v_bfe_u32 v17, v9, 4, 4
	global_load_ubyte v16, v16, s[14:15]
	v_lshrrev_b32_e32 v18, 28, v10
	global_load_ubyte v17, v17, s[14:15]
	s_waitcnt vmcnt(0)
	v_lshl_or_b32 v16, v16, 8, v17
	v_lshrrev_b32_e32 v17, 28, v9
	v_bfe_u32 v9, v9, 20, 4
	global_load_ubyte v17, v17, s[14:15]
	s_nop 0
	global_load_ubyte v9, v9, s[14:15]
	s_waitcnt vmcnt(1)
	v_lshlrev_b32_e32 v17, 24, v17
	s_waitcnt vmcnt(0)
	v_lshlrev_b32_e32 v9, 16, v9
	v_or3_b32 v16, v16, v9, v17
	v_bfe_u32 v9, v10, 12, 4
	v_bfe_u32 v17, v10, 20, 4
	;; [unrolled: 1-line block ×3, first 2 shown]
	global_load_ubyte v19, v9, s[14:15]
	global_load_ubyte v20, v10, s[14:15]
	s_waitcnt vmcnt(0)
	v_lshl_or_b32 v9, v19, 8, v20
	global_load_ubyte v10, v18, s[14:15]
	global_load_ubyte v19, v17, s[14:15]
	s_waitcnt vmcnt(1)
	v_lshlrev_b32_e32 v10, 24, v10
	s_waitcnt vmcnt(0)
	v_lshlrev_b32_e32 v17, 16, v19
	v_or3_b32 v17, v9, v17, v10
	global_load_dword v18, v[11:12], off
	global_load_dwordx2 v[9:10], v[13:14], off offset:20
	global_load_ushort v19, v[1:2], off
	s_waitcnt vmcnt(2)
	v_cvt_f32_f16_e32 v1, v18
	s_waitcnt vmcnt(1)
	v_dot4_i32_i8 v9, v16, v9, 0
	v_dot4_i32_i8 v9, v17, v10, v9
	s_waitcnt vmcnt(0)
	v_cvt_f32_f16_e32 v2, v19
	v_add_u32_e32 v9, v9, v15
	v_cvt_f32_i32_e32 v9, v9
	v_mul_f32_e32 v1, v2, v1
	v_fmac_f32_e32 v5, v1, v9
	s_andn2_b64 exec, exec, s[12:13]
	s_cbranch_execnz .LBB251_3
; %bb.4:
	s_or_b64 exec, exec, s[12:13]
.LBB251_5:
	s_or_b64 exec, exec, s[10:11]
	v_mbcnt_lo_u32_b32 v1, -1, 0
	v_mbcnt_hi_u32_b32 v2, -1, v1
	v_and_b32_e32 v1, 64, v2
	v_add_u32_e32 v4, 64, v1
	v_xor_b32_e32 v1, 32, v2
	v_cmp_lt_i32_e32 vcc, v1, v4
	v_cndmask_b32_e32 v1, v2, v1, vcc
	v_lshlrev_b32_e32 v1, 2, v1
	ds_bpermute_b32 v1, v1, v5
	v_xor_b32_e32 v6, 16, v2
	v_cmp_lt_i32_e32 vcc, v6, v4
	s_waitcnt lgkmcnt(0)
	v_add_f32_e32 v1, v5, v1
	v_cndmask_b32_e32 v5, v2, v6, vcc
	v_lshlrev_b32_e32 v5, 2, v5
	ds_bpermute_b32 v5, v5, v1
	v_xor_b32_e32 v6, 8, v2
	v_cmp_lt_i32_e32 vcc, v6, v4
	s_waitcnt lgkmcnt(0)
	v_add_f32_e32 v1, v1, v5
	;; [unrolled: 7-line block ×4, first 2 shown]
	v_cndmask_b32_e32 v5, v2, v6, vcc
	v_lshlrev_b32_e32 v5, 2, v5
	ds_bpermute_b32 v5, v5, v1
	v_xor_b32_e32 v6, 1, v2
	v_cmp_lt_i32_e32 vcc, v6, v4
	v_cndmask_b32_e32 v2, v2, v6, vcc
	v_lshlrev_b32_e32 v2, 2, v2
	s_waitcnt lgkmcnt(0)
	v_add_f32_e32 v1, v1, v5
	ds_bpermute_b32 v2, v2, v1
	v_cmp_eq_u32_e32 vcc, 0, v0
	s_and_b64 exec, exec, vcc
	s_cbranch_execz .LBB251_7
; %bb.6:
	s_mul_i32 s0, s2, s8
	s_waitcnt lgkmcnt(0)
	v_add_f32_e32 v2, v1, v2
	v_add_u32_e32 v0, s0, v3
	v_mov_b32_e32 v1, 0
	v_lshlrev_b64 v[0:1], 2, v[0:1]
	v_mov_b32_e32 v3, s7
	v_add_co_u32_e32 v0, vcc, s6, v0
	v_addc_co_u32_e32 v1, vcc, v3, v1, vcc
	global_store_dword v[0:1], v2, off
.LBB251_7:
	s_endpgm
	.section	.rodata,"a",@progbits
	.p2align	6, 0x0
	.amdhsa_kernel _ZL9moe_vec_qIfLi32ELi4E12block_iq4_nlLi2EXadL_ZL19vec_dot_iq4_nl_q8_1PKvPK10block_q8_1RKiEEEvS2_S2_PT_PS6_iiii
		.amdhsa_group_segment_fixed_size 0
		.amdhsa_private_segment_fixed_size 0
		.amdhsa_kernarg_size 304
		.amdhsa_user_sgpr_count 6
		.amdhsa_user_sgpr_private_segment_buffer 1
		.amdhsa_user_sgpr_dispatch_ptr 0
		.amdhsa_user_sgpr_queue_ptr 0
		.amdhsa_user_sgpr_kernarg_segment_ptr 1
		.amdhsa_user_sgpr_dispatch_id 0
		.amdhsa_user_sgpr_flat_scratch_init 0
		.amdhsa_user_sgpr_private_segment_size 0
		.amdhsa_uses_dynamic_stack 0
		.amdhsa_system_sgpr_private_segment_wavefront_offset 0
		.amdhsa_system_sgpr_workgroup_id_x 1
		.amdhsa_system_sgpr_workgroup_id_y 0
		.amdhsa_system_sgpr_workgroup_id_z 1
		.amdhsa_system_sgpr_workgroup_info 0
		.amdhsa_system_vgpr_workitem_id 1
		.amdhsa_next_free_vgpr 21
		.amdhsa_next_free_sgpr 20
		.amdhsa_reserve_vcc 1
		.amdhsa_reserve_flat_scratch 0
		.amdhsa_float_round_mode_32 0
		.amdhsa_float_round_mode_16_64 0
		.amdhsa_float_denorm_mode_32 3
		.amdhsa_float_denorm_mode_16_64 3
		.amdhsa_dx10_clamp 1
		.amdhsa_ieee_mode 1
		.amdhsa_fp16_overflow 0
		.amdhsa_exception_fp_ieee_invalid_op 0
		.amdhsa_exception_fp_denorm_src 0
		.amdhsa_exception_fp_ieee_div_zero 0
		.amdhsa_exception_fp_ieee_overflow 0
		.amdhsa_exception_fp_ieee_underflow 0
		.amdhsa_exception_fp_ieee_inexact 0
		.amdhsa_exception_int_div_zero 0
	.end_amdhsa_kernel
	.section	.text._ZL9moe_vec_qIfLi32ELi4E12block_iq4_nlLi2EXadL_ZL19vec_dot_iq4_nl_q8_1PKvPK10block_q8_1RKiEEEvS2_S2_PT_PS6_iiii,"axG",@progbits,_ZL9moe_vec_qIfLi32ELi4E12block_iq4_nlLi2EXadL_ZL19vec_dot_iq4_nl_q8_1PKvPK10block_q8_1RKiEEEvS2_S2_PT_PS6_iiii,comdat
.Lfunc_end251:
	.size	_ZL9moe_vec_qIfLi32ELi4E12block_iq4_nlLi2EXadL_ZL19vec_dot_iq4_nl_q8_1PKvPK10block_q8_1RKiEEEvS2_S2_PT_PS6_iiii, .Lfunc_end251-_ZL9moe_vec_qIfLi32ELi4E12block_iq4_nlLi2EXadL_ZL19vec_dot_iq4_nl_q8_1PKvPK10block_q8_1RKiEEEvS2_S2_PT_PS6_iiii
                                        ; -- End function
	.set _ZL9moe_vec_qIfLi32ELi4E12block_iq4_nlLi2EXadL_ZL19vec_dot_iq4_nl_q8_1PKvPK10block_q8_1RKiEEEvS2_S2_PT_PS6_iiii.num_vgpr, 21
	.set _ZL9moe_vec_qIfLi32ELi4E12block_iq4_nlLi2EXadL_ZL19vec_dot_iq4_nl_q8_1PKvPK10block_q8_1RKiEEEvS2_S2_PT_PS6_iiii.num_agpr, 0
	.set _ZL9moe_vec_qIfLi32ELi4E12block_iq4_nlLi2EXadL_ZL19vec_dot_iq4_nl_q8_1PKvPK10block_q8_1RKiEEEvS2_S2_PT_PS6_iiii.numbered_sgpr, 20
	.set _ZL9moe_vec_qIfLi32ELi4E12block_iq4_nlLi2EXadL_ZL19vec_dot_iq4_nl_q8_1PKvPK10block_q8_1RKiEEEvS2_S2_PT_PS6_iiii.num_named_barrier, 0
	.set _ZL9moe_vec_qIfLi32ELi4E12block_iq4_nlLi2EXadL_ZL19vec_dot_iq4_nl_q8_1PKvPK10block_q8_1RKiEEEvS2_S2_PT_PS6_iiii.private_seg_size, 0
	.set _ZL9moe_vec_qIfLi32ELi4E12block_iq4_nlLi2EXadL_ZL19vec_dot_iq4_nl_q8_1PKvPK10block_q8_1RKiEEEvS2_S2_PT_PS6_iiii.uses_vcc, 1
	.set _ZL9moe_vec_qIfLi32ELi4E12block_iq4_nlLi2EXadL_ZL19vec_dot_iq4_nl_q8_1PKvPK10block_q8_1RKiEEEvS2_S2_PT_PS6_iiii.uses_flat_scratch, 0
	.set _ZL9moe_vec_qIfLi32ELi4E12block_iq4_nlLi2EXadL_ZL19vec_dot_iq4_nl_q8_1PKvPK10block_q8_1RKiEEEvS2_S2_PT_PS6_iiii.has_dyn_sized_stack, 0
	.set _ZL9moe_vec_qIfLi32ELi4E12block_iq4_nlLi2EXadL_ZL19vec_dot_iq4_nl_q8_1PKvPK10block_q8_1RKiEEEvS2_S2_PT_PS6_iiii.has_recursion, 0
	.set _ZL9moe_vec_qIfLi32ELi4E12block_iq4_nlLi2EXadL_ZL19vec_dot_iq4_nl_q8_1PKvPK10block_q8_1RKiEEEvS2_S2_PT_PS6_iiii.has_indirect_call, 0
	.section	.AMDGPU.csdata,"",@progbits
; Kernel info:
; codeLenInByte = 1164
; TotalNumSgprs: 24
; NumVgprs: 21
; ScratchSize: 0
; MemoryBound: 0
; FloatMode: 240
; IeeeMode: 1
; LDSByteSize: 0 bytes/workgroup (compile time only)
; SGPRBlocks: 2
; VGPRBlocks: 5
; NumSGPRsForWavesPerEU: 24
; NumVGPRsForWavesPerEU: 21
; Occupancy: 10
; WaveLimiterHint : 1
; COMPUTE_PGM_RSRC2:SCRATCH_EN: 0
; COMPUTE_PGM_RSRC2:USER_SGPR: 6
; COMPUTE_PGM_RSRC2:TRAP_HANDLER: 0
; COMPUTE_PGM_RSRC2:TGID_X_EN: 1
; COMPUTE_PGM_RSRC2:TGID_Y_EN: 0
; COMPUTE_PGM_RSRC2:TGID_Z_EN: 1
; COMPUTE_PGM_RSRC2:TIDIG_COMP_CNT: 1
	.section	.text._ZL9moe_vec_qIfLi256ELi8E11block_iq3_sLi1EXadL_ZL18vec_dot_iq3_s_q8_1PKvPK10block_q8_1RKiEEEvS2_S2_PT_PS6_iiii,"axG",@progbits,_ZL9moe_vec_qIfLi256ELi8E11block_iq3_sLi1EXadL_ZL18vec_dot_iq3_s_q8_1PKvPK10block_q8_1RKiEEEvS2_S2_PT_PS6_iiii,comdat
	.globl	_ZL9moe_vec_qIfLi256ELi8E11block_iq3_sLi1EXadL_ZL18vec_dot_iq3_s_q8_1PKvPK10block_q8_1RKiEEEvS2_S2_PT_PS6_iiii ; -- Begin function _ZL9moe_vec_qIfLi256ELi8E11block_iq3_sLi1EXadL_ZL18vec_dot_iq3_s_q8_1PKvPK10block_q8_1RKiEEEvS2_S2_PT_PS6_iiii
	.p2align	8
	.type	_ZL9moe_vec_qIfLi256ELi8E11block_iq3_sLi1EXadL_ZL18vec_dot_iq3_s_q8_1PKvPK10block_q8_1RKiEEEvS2_S2_PT_PS6_iiii,@function
_ZL9moe_vec_qIfLi256ELi8E11block_iq3_sLi1EXadL_ZL18vec_dot_iq3_s_q8_1PKvPK10block_q8_1RKiEEEvS2_S2_PT_PS6_iiii: ; @_ZL9moe_vec_qIfLi256ELi8E11block_iq3_sLi1EXadL_ZL18vec_dot_iq3_s_q8_1PKvPK10block_q8_1RKiEEEvS2_S2_PT_PS6_iiii
; %bb.0:
	s_load_dword s0, s[4:5], 0x3c
	s_load_dwordx4 s[8:11], s[4:5], 0x20
	s_waitcnt lgkmcnt(0)
	s_lshr_b32 s0, s0, 16
	s_mul_i32 s6, s6, s0
	v_add_u32_e32 v19, s6, v1
	v_cmp_gt_u32_e32 vcc, s10, v19
	s_and_saveexec_b64 s[0:1], vcc
	s_cbranch_execz .LBB252_9
; %bb.1:
	s_mov_b32 s12, s7
	s_load_dwordx2 s[6:7], s[4:5], 0x10
	s_ashr_i32 s0, s9, 31
	s_lshr_b32 s0, s0, 24
	s_add_i32 s0, s9, s0
	s_ashr_i32 s16, s0, 8
	v_lshrrev_b32_e32 v20, 3, v0
	v_cmp_gt_u32_e32 vcc, s16, v20
	v_mov_b32_e32 v21, 0
	s_and_saveexec_b64 s[14:15], vcc
	s_cbranch_execz .LBB252_7
; %bb.2:
	s_load_dwordx2 s[18:19], s[4:5], 0x18
	s_load_dwordx4 s[0:3], s[4:5], 0x0
	v_cvt_f32_u32_e32 v1, s8
	s_mov_b32 s13, 0
	s_lshl_b64 s[4:5], s[12:13], 2
	s_waitcnt lgkmcnt(0)
	s_add_u32 s4, s18, s4
	s_addc_u32 s5, s19, s5
	v_rcp_iflag_f32_e32 v1, v1
	s_load_dword s4, s[4:5], 0x0
	s_mul_i32 s5, s16, s10
	v_and_b32_e32 v23, 7, v0
	v_mul_f32_e32 v1, 0x4f7ffffe, v1
	v_cvt_u32_f32_e32 v1, v1
	s_waitcnt lgkmcnt(0)
	s_mul_i32 s4, s5, s4
	s_mul_hi_i32 s5, s4, 0x6e
	s_mulk_i32 s4, 0x6e
	s_add_u32 s0, s0, s4
	s_addc_u32 s1, s1, s5
	s_sub_i32 s4, 0, s8
	v_readfirstlane_b32 s5, v1
	s_mul_i32 s4, s4, s5
	s_mul_hi_u32 s4, s5, s4
	s_add_i32 s5, s5, s4
	s_mul_hi_u32 s4, s12, s5
	s_mul_i32 s5, s4, s8
	s_sub_i32 s5, s12, s5
	s_add_i32 s9, s4, 1
	s_sub_i32 s18, s5, s8
	s_cmp_ge_u32 s5, s8
	s_cselect_b32 s4, s9, s4
	s_cselect_b32 s5, s18, s5
	s_add_i32 s9, s4, 1
	s_cmp_ge_u32 s5, s8
	s_cselect_b32 s4, s9, s4
	s_mul_i32 s4, s4, s11
	s_mov_b32 s5, s13
	s_lshl_b64 s[4:5], s[4:5], 2
	s_add_u32 s2, s2, s4
	v_lshlrev_b32_e32 v3, 2, v0
	s_addc_u32 s3, s3, s5
	v_and_b32_e32 v25, 4, v3
	v_lshlrev_b32_e32 v3, 2, v23
	v_mad_u64_u32 v[1:2], s[2:3], v23, 36, s[2:3]
	v_mov_b32_e32 v4, s1
	v_add_co_u32_e32 v3, vcc, s0, v3
	v_addc_co_u32_e32 v4, vcc, 0, v4, vcc
	s_movk_i32 s2, 0x4a
	v_add_co_u32_e32 v3, vcc, s2, v3
	v_mul_lo_u32 v22, v19, s16
	v_lshlrev_b32_e32 v5, 3, v23
	v_addc_co_u32_e32 v4, vcc, 0, v4, vcc
	v_mov_b32_e32 v6, s1
	v_add_co_u32_e32 v5, vcc, s0, v5
	v_addc_co_u32_e32 v6, vcc, 0, v6, vcc
	v_add_co_u32_e32 v5, vcc, 2, v5
	v_mov_b32_e32 v8, s1
	s_movk_i32 s17, 0x6e
	v_mov_b32_e32 v21, 0
	v_bfe_u32 v24, v0, 1, 2
	v_add_u32_e32 v26, v20, v22
	v_addc_co_u32_e32 v6, vcc, 0, v6, vcc
	s_mov_b64 s[8:9], 0
	s_movk_i32 s11, 0x100
	s_mov_b32 s13, 0x1010101
	s_mov_b32 s18, 0x1000000
	;; [unrolled: 1-line block ×3, first 2 shown]
	v_mov_b32_e32 v7, s0
	v_mov_b32_e32 v27, 0xff0000
	;; [unrolled: 1-line block ×4, first 2 shown]
.LBB252_3:                              ; =>This Loop Header: Depth=1
                                        ;     Child Loop BB252_4 Depth 2
	v_add_u32_e32 v9, v20, v22
	v_mad_i64_i32 v[9:10], s[0:1], v9, s17, v[7:8]
	v_mad_i64_i32 v[13:14], s[0:1], v26, s17, v[3:4]
	v_add_co_u32_e32 v11, vcc, v9, v23
	v_addc_co_u32_e32 v12, vcc, 0, v10, vcc
	global_load_ubyte v31, v[11:12], off offset:66
	v_lshlrev_b32_e32 v11, 3, v20
	v_mad_i64_i32 v[11:12], s[0:1], v11, 36, v[1:2]
	v_mad_i64_i32 v[15:16], s[0:1], v26, s17, v[5:6]
	v_add_co_u32_e32 v17, vcc, 4, v11
	v_addc_co_u32_e32 v18, vcc, 0, v12, vcc
	s_mov_b32 s20, 7
	v_mov_b32_e32 v30, 0
.LBB252_4:                              ;   Parent Loop BB252_3 Depth=1
                                        ; =>  This Inner Loop Header: Depth=2
	global_load_ushort v32, v[15:16], off
	global_load_ubyte v34, v[13:14], off
	s_add_i32 s2, s20, 1
	s_waitcnt vmcnt(2)
	v_lshlrev_b32_e32 v33, s20, v31
	v_lshlrev_b32_e32 v35, s2, v31
	s_getpc_b64 s[0:1]
	s_add_u32 s0, s0, _ZL10iq3xs_grid@rel32@lo+4
	s_addc_u32 s1, s1, _ZL10iq3xs_grid@rel32@hi+12
	v_add_co_u32_e64 v15, s[2:3], 2, v15
	s_add_i32 s20, s20, -2
	s_cmp_lg_u32 s20, -1
	s_waitcnt vmcnt(1)
	v_and_b32_e32 v36, 0xff, v32
	v_lshrrev_b16_e32 v32, 8, v32
	v_and_or_b32 v35, v35, s11, v36
	v_and_or_b32 v32, v33, s11, v32
	v_lshlrev_b32_e32 v33, 2, v35
	v_lshlrev_b32_e32 v32, 2, v32
	global_load_dword v35, v33, s[0:1]
	global_load_dword v36, v32, s[0:1]
	s_nop 0
	global_load_dwordx2 v[32:33], v[17:18], off
	s_waitcnt vmcnt(3)
	v_and_b32_e32 v37, 15, v34
	v_lshrrev_b16_e32 v34, 4, v34
	v_and_b32_e32 v37, 0xffff, v37
	v_mul_lo_u32 v34, v34, s13
	v_mul_lo_u32 v37, v37, s13
	v_add_co_u32_e32 v17, vcc, 8, v17
	v_add_co_u32_e64 v13, s[0:1], 1, v13
	v_not_b32_e32 v34, v34
	v_addc_co_u32_e32 v18, vcc, 0, v18, vcc
	v_addc_co_u32_e64 v14, vcc, 0, v14, s[0:1]
	v_addc_co_u32_e64 v16, vcc, 0, v16, s[2:3]
	v_not_b32_e32 v37, v37
	v_and_b32_e32 v38, 0x8040201, v34
	v_and_b32_e32 v39, 0x40000, v34
	;; [unrolled: 1-line block ×8, first 2 shown]
	v_cmp_gt_u32_e32 vcc, s18, v38
	v_cmp_eq_u32_e64 s[2:3], 0, v40
	v_cmp_eq_u32_e64 s[4:5], 0, v34
	;; [unrolled: 1-line block ×3, first 2 shown]
	v_cndmask_b32_e64 v34, 0, -1, vcc
	v_cndmask_b32_e64 v39, 0, v28, s[2:3]
	v_cndmask_b32_e64 v40, 0, v29, s[4:5]
	v_cmp_gt_u32_e32 vcc, s18, v41
	v_cmp_eq_u32_e64 s[2:3], 0, v43
	v_cmp_eq_u32_e64 s[4:5], 0, v37
	v_cndmask_b32_e64 v38, 0, v27, s[0:1]
	v_cmp_eq_u32_e64 s[0:1], 0, v42
	v_cndmask_b32_e64 v37, 0, -1, vcc
	v_cndmask_b32_e64 v42, 0, v28, s[2:3]
	v_cndmask_b32_e64 v43, 0, v29, s[4:5]
	;; [unrolled: 1-line block ×3, first 2 shown]
	v_lshlrev_b32_e32 v37, 24, v37
	v_or_b32_e32 v45, v42, v43
	v_lshlrev_b32_e32 v34, 24, v34
	v_or_b32_e32 v44, v39, v40
	v_or3_b32 v45, v45, v41, v37
	v_or3_b32 v44, v44, v38, v34
	s_waitcnt vmcnt(2)
	v_xor_b32_e32 v35, v45, v35
	s_waitcnt vmcnt(1)
	v_xor_b32_e32 v36, v44, v36
	v_sub_u32_e32 v37, v35, v37
	v_sub_u32_e32 v41, v35, v41
	;; [unrolled: 1-line block ×8, first 2 shown]
	v_and_b32_e32 v37, 0xff000000, v37
	v_and_b32_e32 v40, 0xff00, v42
	v_perm_b32 v35, v41, v35, s19
	v_and_b32_e32 v34, 0xff000000, v34
	v_and_b32_e32 v39, 0xff00, v39
	v_perm_b32 v36, v38, v36, s19
	v_or3_b32 v35, v35, v37, v40
	v_or3_b32 v34, v36, v34, v39
	s_waitcnt vmcnt(0)
	v_dot4_i32_i8 v30, v35, v32, v30
	v_dot4_i32_i8 v30, v34, v33, v30
	s_cbranch_scc1 .LBB252_4
; %bb.5:                                ;   in Loop: Header=BB252_3 Depth=1
	global_load_ushort v13, v[9:10], off
	v_add_co_u32_e32 v9, vcc, v9, v24
	v_addc_co_u32_e32 v10, vcc, 0, v10, vcc
	global_load_dword v14, v[11:12], off
	global_load_ubyte v15, v[9:10], off offset:106
	v_cvt_f32_i32_e32 v9, v30
	v_add_u32_e32 v20, 8, v20
	v_cmp_le_u32_e32 vcc, s16, v20
	s_or_b64 s[8:9], vcc, s[8:9]
	v_add_u32_e32 v26, 8, v26
	s_waitcnt vmcnt(2)
	v_cvt_f32_f16_e32 v10, v13
	s_waitcnt vmcnt(1)
	v_cvt_f32_f16_e32 v11, v14
	s_waitcnt vmcnt(0)
	v_bfe_u32 v12, v15, v25, 4
	v_cvt_f32_ubyte0_e32 v12, v12
	v_add_f32_e32 v12, 0.5, v12
	v_mul_f32_e32 v10, v12, v10
	v_mul_f32_e32 v10, v10, v11
	v_mul_f32_e32 v10, 0.5, v10
	v_fmac_f32_e32 v21, v10, v9
	s_andn2_b64 exec, exec, s[8:9]
	s_cbranch_execnz .LBB252_3
; %bb.6:
	s_or_b64 exec, exec, s[8:9]
.LBB252_7:
	s_or_b64 exec, exec, s[14:15]
	v_mbcnt_lo_u32_b32 v1, -1, 0
	v_mbcnt_hi_u32_b32 v2, -1, v1
	v_and_b32_e32 v1, 64, v2
	v_add_u32_e32 v3, 64, v1
	v_xor_b32_e32 v1, 32, v2
	v_cmp_lt_i32_e32 vcc, v1, v3
	v_cndmask_b32_e32 v1, v2, v1, vcc
	v_lshlrev_b32_e32 v1, 2, v1
	ds_bpermute_b32 v1, v1, v21
	v_xor_b32_e32 v4, 16, v2
	v_cmp_lt_i32_e32 vcc, v4, v3
	v_cndmask_b32_e32 v4, v2, v4, vcc
	v_lshlrev_b32_e32 v4, 2, v4
	s_waitcnt lgkmcnt(0)
	v_add_f32_e32 v1, v21, v1
	ds_bpermute_b32 v4, v4, v1
	v_xor_b32_e32 v5, 8, v2
	v_cmp_lt_i32_e32 vcc, v5, v3
	s_waitcnt lgkmcnt(0)
	v_add_f32_e32 v1, v1, v4
	v_cndmask_b32_e32 v4, v2, v5, vcc
	v_lshlrev_b32_e32 v4, 2, v4
	ds_bpermute_b32 v4, v4, v1
	v_xor_b32_e32 v5, 4, v2
	v_cmp_lt_i32_e32 vcc, v5, v3
	s_waitcnt lgkmcnt(0)
	v_add_f32_e32 v1, v1, v4
	v_cndmask_b32_e32 v4, v2, v5, vcc
	v_lshlrev_b32_e32 v4, 2, v4
	;; [unrolled: 7-line block ×3, first 2 shown]
	ds_bpermute_b32 v4, v4, v1
	v_xor_b32_e32 v5, 1, v2
	v_cmp_lt_i32_e32 vcc, v5, v3
	v_cndmask_b32_e32 v2, v2, v5, vcc
	v_lshlrev_b32_e32 v2, 2, v2
	s_waitcnt lgkmcnt(0)
	v_add_f32_e32 v1, v1, v4
	ds_bpermute_b32 v2, v2, v1
	v_cmp_eq_u32_e32 vcc, 0, v0
	s_and_b64 exec, exec, vcc
	s_cbranch_execz .LBB252_9
; %bb.8:
	s_mul_i32 s0, s10, s12
	s_waitcnt lgkmcnt(0)
	v_add_f32_e32 v2, v1, v2
	v_add_u32_e32 v0, s0, v19
	v_mov_b32_e32 v1, 0
	v_lshlrev_b64 v[0:1], 2, v[0:1]
	v_mov_b32_e32 v3, s7
	v_add_co_u32_e32 v0, vcc, s6, v0
	v_addc_co_u32_e32 v1, vcc, v3, v1, vcc
	global_store_dword v[0:1], v2, off
.LBB252_9:
	s_endpgm
	.section	.rodata,"a",@progbits
	.p2align	6, 0x0
	.amdhsa_kernel _ZL9moe_vec_qIfLi256ELi8E11block_iq3_sLi1EXadL_ZL18vec_dot_iq3_s_q8_1PKvPK10block_q8_1RKiEEEvS2_S2_PT_PS6_iiii
		.amdhsa_group_segment_fixed_size 0
		.amdhsa_private_segment_fixed_size 0
		.amdhsa_kernarg_size 304
		.amdhsa_user_sgpr_count 6
		.amdhsa_user_sgpr_private_segment_buffer 1
		.amdhsa_user_sgpr_dispatch_ptr 0
		.amdhsa_user_sgpr_queue_ptr 0
		.amdhsa_user_sgpr_kernarg_segment_ptr 1
		.amdhsa_user_sgpr_dispatch_id 0
		.amdhsa_user_sgpr_flat_scratch_init 0
		.amdhsa_user_sgpr_private_segment_size 0
		.amdhsa_uses_dynamic_stack 0
		.amdhsa_system_sgpr_private_segment_wavefront_offset 0
		.amdhsa_system_sgpr_workgroup_id_x 1
		.amdhsa_system_sgpr_workgroup_id_y 0
		.amdhsa_system_sgpr_workgroup_id_z 1
		.amdhsa_system_sgpr_workgroup_info 0
		.amdhsa_system_vgpr_workitem_id 1
		.amdhsa_next_free_vgpr 46
		.amdhsa_next_free_sgpr 21
		.amdhsa_reserve_vcc 1
		.amdhsa_reserve_flat_scratch 0
		.amdhsa_float_round_mode_32 0
		.amdhsa_float_round_mode_16_64 0
		.amdhsa_float_denorm_mode_32 3
		.amdhsa_float_denorm_mode_16_64 3
		.amdhsa_dx10_clamp 1
		.amdhsa_ieee_mode 1
		.amdhsa_fp16_overflow 0
		.amdhsa_exception_fp_ieee_invalid_op 0
		.amdhsa_exception_fp_denorm_src 0
		.amdhsa_exception_fp_ieee_div_zero 0
		.amdhsa_exception_fp_ieee_overflow 0
		.amdhsa_exception_fp_ieee_underflow 0
		.amdhsa_exception_fp_ieee_inexact 0
		.amdhsa_exception_int_div_zero 0
	.end_amdhsa_kernel
	.section	.text._ZL9moe_vec_qIfLi256ELi8E11block_iq3_sLi1EXadL_ZL18vec_dot_iq3_s_q8_1PKvPK10block_q8_1RKiEEEvS2_S2_PT_PS6_iiii,"axG",@progbits,_ZL9moe_vec_qIfLi256ELi8E11block_iq3_sLi1EXadL_ZL18vec_dot_iq3_s_q8_1PKvPK10block_q8_1RKiEEEvS2_S2_PT_PS6_iiii,comdat
.Lfunc_end252:
	.size	_ZL9moe_vec_qIfLi256ELi8E11block_iq3_sLi1EXadL_ZL18vec_dot_iq3_s_q8_1PKvPK10block_q8_1RKiEEEvS2_S2_PT_PS6_iiii, .Lfunc_end252-_ZL9moe_vec_qIfLi256ELi8E11block_iq3_sLi1EXadL_ZL18vec_dot_iq3_s_q8_1PKvPK10block_q8_1RKiEEEvS2_S2_PT_PS6_iiii
                                        ; -- End function
	.set _ZL9moe_vec_qIfLi256ELi8E11block_iq3_sLi1EXadL_ZL18vec_dot_iq3_s_q8_1PKvPK10block_q8_1RKiEEEvS2_S2_PT_PS6_iiii.num_vgpr, 46
	.set _ZL9moe_vec_qIfLi256ELi8E11block_iq3_sLi1EXadL_ZL18vec_dot_iq3_s_q8_1PKvPK10block_q8_1RKiEEEvS2_S2_PT_PS6_iiii.num_agpr, 0
	.set _ZL9moe_vec_qIfLi256ELi8E11block_iq3_sLi1EXadL_ZL18vec_dot_iq3_s_q8_1PKvPK10block_q8_1RKiEEEvS2_S2_PT_PS6_iiii.numbered_sgpr, 21
	.set _ZL9moe_vec_qIfLi256ELi8E11block_iq3_sLi1EXadL_ZL18vec_dot_iq3_s_q8_1PKvPK10block_q8_1RKiEEEvS2_S2_PT_PS6_iiii.num_named_barrier, 0
	.set _ZL9moe_vec_qIfLi256ELi8E11block_iq3_sLi1EXadL_ZL18vec_dot_iq3_s_q8_1PKvPK10block_q8_1RKiEEEvS2_S2_PT_PS6_iiii.private_seg_size, 0
	.set _ZL9moe_vec_qIfLi256ELi8E11block_iq3_sLi1EXadL_ZL18vec_dot_iq3_s_q8_1PKvPK10block_q8_1RKiEEEvS2_S2_PT_PS6_iiii.uses_vcc, 1
	.set _ZL9moe_vec_qIfLi256ELi8E11block_iq3_sLi1EXadL_ZL18vec_dot_iq3_s_q8_1PKvPK10block_q8_1RKiEEEvS2_S2_PT_PS6_iiii.uses_flat_scratch, 0
	.set _ZL9moe_vec_qIfLi256ELi8E11block_iq3_sLi1EXadL_ZL18vec_dot_iq3_s_q8_1PKvPK10block_q8_1RKiEEEvS2_S2_PT_PS6_iiii.has_dyn_sized_stack, 0
	.set _ZL9moe_vec_qIfLi256ELi8E11block_iq3_sLi1EXadL_ZL18vec_dot_iq3_s_q8_1PKvPK10block_q8_1RKiEEEvS2_S2_PT_PS6_iiii.has_recursion, 0
	.set _ZL9moe_vec_qIfLi256ELi8E11block_iq3_sLi1EXadL_ZL18vec_dot_iq3_s_q8_1PKvPK10block_q8_1RKiEEEvS2_S2_PT_PS6_iiii.has_indirect_call, 0
	.section	.AMDGPU.csdata,"",@progbits
; Kernel info:
; codeLenInByte = 1456
; TotalNumSgprs: 25
; NumVgprs: 46
; ScratchSize: 0
; MemoryBound: 0
; FloatMode: 240
; IeeeMode: 1
; LDSByteSize: 0 bytes/workgroup (compile time only)
; SGPRBlocks: 3
; VGPRBlocks: 11
; NumSGPRsForWavesPerEU: 25
; NumVGPRsForWavesPerEU: 46
; Occupancy: 5
; WaveLimiterHint : 1
; COMPUTE_PGM_RSRC2:SCRATCH_EN: 0
; COMPUTE_PGM_RSRC2:USER_SGPR: 6
; COMPUTE_PGM_RSRC2:TRAP_HANDLER: 0
; COMPUTE_PGM_RSRC2:TGID_X_EN: 1
; COMPUTE_PGM_RSRC2:TGID_Y_EN: 0
; COMPUTE_PGM_RSRC2:TGID_Z_EN: 1
; COMPUTE_PGM_RSRC2:TIDIG_COMP_CNT: 1
	.section	.text._ZL9moe_vec_qIfLi256ELi8E11block_iq2_sLi1EXadL_ZL18vec_dot_iq2_s_q8_1PKvPK10block_q8_1RKiEEEvS2_S2_PT_PS6_iiii,"axG",@progbits,_ZL9moe_vec_qIfLi256ELi8E11block_iq2_sLi1EXadL_ZL18vec_dot_iq2_s_q8_1PKvPK10block_q8_1RKiEEEvS2_S2_PT_PS6_iiii,comdat
	.globl	_ZL9moe_vec_qIfLi256ELi8E11block_iq2_sLi1EXadL_ZL18vec_dot_iq2_s_q8_1PKvPK10block_q8_1RKiEEEvS2_S2_PT_PS6_iiii ; -- Begin function _ZL9moe_vec_qIfLi256ELi8E11block_iq2_sLi1EXadL_ZL18vec_dot_iq2_s_q8_1PKvPK10block_q8_1RKiEEEvS2_S2_PT_PS6_iiii
	.p2align	8
	.type	_ZL9moe_vec_qIfLi256ELi8E11block_iq2_sLi1EXadL_ZL18vec_dot_iq2_s_q8_1PKvPK10block_q8_1RKiEEEvS2_S2_PT_PS6_iiii,@function
_ZL9moe_vec_qIfLi256ELi8E11block_iq2_sLi1EXadL_ZL18vec_dot_iq2_s_q8_1PKvPK10block_q8_1RKiEEEvS2_S2_PT_PS6_iiii: ; @_ZL9moe_vec_qIfLi256ELi8E11block_iq2_sLi1EXadL_ZL18vec_dot_iq2_s_q8_1PKvPK10block_q8_1RKiEEEvS2_S2_PT_PS6_iiii
; %bb.0:
	s_mov_b32 s8, s7
	s_load_dword s7, s[4:5], 0x3c
	s_load_dwordx4 s[0:3], s[4:5], 0x20
	s_waitcnt lgkmcnt(0)
	s_lshr_b32 s7, s7, 16
	s_mul_i32 s6, s6, s7
	v_add_u32_e32 v11, s6, v1
	v_cmp_gt_u32_e32 vcc, s2, v11
	s_and_saveexec_b64 s[6:7], vcc
	s_cbranch_execz .LBB253_7
; %bb.1:
	s_load_dwordx2 s[6:7], s[4:5], 0x10
	s_ashr_i32 s9, s1, 31
	s_lshr_b32 s9, s9, 24
	s_add_i32 s1, s1, s9
	s_ashr_i32 s12, s1, 8
	v_lshrrev_b32_e32 v12, 3, v0
	v_cmp_gt_u32_e32 vcc, s12, v12
	v_mov_b32_e32 v13, 0
	s_and_saveexec_b64 s[10:11], vcc
	s_cbranch_execz .LBB253_5
; %bb.2:
	s_load_dwordx2 s[14:15], s[4:5], 0x18
	v_cvt_f32_u32_e32 v1, s0
	s_mov_b32 s9, 0
	s_lshl_b64 s[16:17], s[8:9], 2
	v_and_b32_e32 v15, 7, v0
	s_waitcnt lgkmcnt(0)
	s_add_u32 s14, s14, s16
	v_rcp_iflag_f32_e32 v1, v1
	s_addc_u32 s15, s15, s17
	s_load_dword s1, s[14:15], 0x0
	s_load_dwordx4 s[16:19], s[4:5], 0x0
	s_mul_i32 s4, s12, s2
	v_mul_f32_e32 v1, 0x4f7ffffe, v1
	v_cvt_u32_f32_e32 v1, v1
	s_waitcnt lgkmcnt(0)
	s_mul_i32 s1, s4, s1
	s_mul_hi_i32 s4, s1, 0x52
	s_mulk_i32 s1, 0x52
	s_add_u32 s14, s16, s1
	s_addc_u32 s15, s17, s4
	s_sub_i32 s1, 0, s0
	v_readfirstlane_b32 s4, v1
	s_mul_i32 s1, s1, s4
	s_mul_hi_u32 s1, s4, s1
	s_add_i32 s4, s4, s1
	s_mul_hi_u32 s1, s8, s4
	s_mul_i32 s4, s1, s0
	s_sub_i32 s4, s8, s4
	s_add_i32 s5, s1, 1
	s_sub_i32 s16, s4, s0
	s_cmp_ge_u32 s4, s0
	s_cselect_b32 s1, s5, s1
	s_cselect_b32 s4, s16, s4
	s_add_i32 s5, s1, 1
	s_cmp_ge_u32 s4, s0
	s_cselect_b32 s0, s5, s1
	s_mul_i32 s0, s0, s3
	s_mov_b32 s1, s9
	s_lshl_b64 s[0:1], s[0:1], 2
	s_add_u32 s0, s18, s0
	s_addc_u32 s1, s19, s1
	v_mul_lo_u32 v14, v11, s12
	v_mad_u64_u32 v[1:2], s[0:1], v15, 36, s[0:1]
	v_mov_b32_e32 v3, s14
	s_movk_i32 s13, 0x52
	v_mov_b32_e32 v13, 0
	v_lshlrev_b32_e32 v16, 2, v15
	v_lshlrev_b32_e32 v17, 3, v12
	s_mov_b64 s[4:5], 0
	v_mov_b32_e32 v4, s15
	s_movk_i32 s3, 0x300
	s_mov_b32 s9, 0x1010101
	s_mov_b32 s14, 0x1000000
	v_mov_b32_e32 v18, 0xff0000
	v_mov_b32_e32 v19, 0xff00
	;; [unrolled: 1-line block ×3, first 2 shown]
	s_mov_b32 s15, 0xc060c00
	v_mov_b32_e32 v21, 4
.LBB253_3:                              ; =>This Inner Loop Header: Depth=1
	v_add_u32_e32 v7, v14, v12
	v_mad_i64_i32 v[7:8], s[16:17], v7, s13, v[3:4]
	s_getpc_b64 s[0:1]
	s_add_u32 s0, s0, _ZL9iq2s_grid@rel32@lo+4
	s_addc_u32 s1, s1, _ZL9iq2s_grid@rel32@hi+12
	v_mad_i64_i32 v[5:6], s[16:17], v17, 36, v[1:2]
	v_add_co_u32_e32 v9, vcc, v7, v16
	v_addc_co_u32_e32 v10, vcc, 0, v8, vcc
	v_add_co_u32_e32 v24, vcc, v7, v15
	v_addc_co_u32_e32 v25, vcc, 0, v8, vcc
	global_load_ushort v23, v[7:8], off
	global_load_dword v26, v[9:10], off offset:2
	global_load_ubyte v27, v[24:25], off offset:66
	global_load_ubyte v22, v[24:25], off offset:74
	global_load_dword v28, v[9:10], off offset:34
	v_add_u32_e32 v12, 8, v12
	v_add_u32_e32 v17, 64, v17
	s_waitcnt vmcnt(4)
	v_cvt_f32_f16_e32 v23, v23
	s_waitcnt vmcnt(3)
	v_and_b32_e32 v7, 0xff, v26
	s_waitcnt vmcnt(2)
	v_lshlrev_b32_e32 v8, 8, v27
	v_bfe_u32 v9, v26, 8, 8
	v_lshlrev_b32_e32 v10, 6, v27
	s_waitcnt vmcnt(0)
	v_lshrrev_b16_e32 v25, 4, v28
	v_lshrrev_b32_e32 v30, 8, v28
	v_bfe_u32 v29, v28, 8, 4
	v_bfe_u32 v31, v26, 16, 8
	v_lshlrev_b32_e32 v32, 4, v27
	v_lshrrev_b32_e32 v26, 24, v26
	v_lshlrev_b32_e32 v27, 2, v27
	v_and_or_b32 v7, v8, s3, v7
	v_and_or_b32 v8, v10, s3, v9
	v_and_b32_e32 v9, 15, v25
	v_lshrrev_b16_e32 v10, 4, v30
	v_bfe_u32 v33, v28, 16, 4
	v_bfe_u32 v35, v28, 24, 4
	v_mul_lo_u32 v25, v29, s9
	v_and_or_b32 v29, v32, s3, v31
	v_and_or_b32 v26, v27, s3, v26
	v_and_b32_e32 v9, 0xffff, v9
	v_lshlrev_b32_e32 v7, 3, v7
	v_lshlrev_b32_e32 v8, 3, v8
	v_and_b32_e32 v10, 15, v10
	v_mul_lo_u32 v36, v33, s9
	v_mul_lo_u32 v27, v35, s9
	v_lshlrev_b32_e32 v29, 3, v29
	v_lshlrev_b32_e32 v26, 3, v26
	v_mul_lo_u32 v35, v9, s9
	v_and_b32_e32 v37, 0xffff, v10
	global_load_dwordx2 v[30:31], v7, s[0:1]
	global_load_dwordx2 v[32:33], v8, s[0:1]
	;; [unrolled: 1-line block ×3, first 2 shown]
	s_nop 0
	global_load_dwordx2 v[7:8], v26, s[0:1]
	v_and_b32_e32 v24, 15, v28
	v_bfe_u32 v34, v28, 20, 4
	v_mul_lo_u32 v24, v24, s9
	v_mul_lo_u32 v34, v34, s9
	v_not_b32_e32 v26, v36
	v_not_b32_e32 v25, v25
	;; [unrolled: 1-line block ×4, first 2 shown]
	v_and_b32_e32 v34, 0x8040201, v24
	v_and_b32_e32 v36, 0x40000, v24
	v_cmp_gt_u32_e32 vcc, s14, v34
	v_and_b32_e32 v38, 0x200, v24
	v_cndmask_b32_e64 v34, 0, -1, vcc
	v_cmp_eq_u32_e32 vcc, 0, v36
	v_and_b32_e32 v24, 1, v24
	v_cndmask_b32_e32 v36, 0, v18, vcc
	v_cmp_eq_u32_e32 vcc, 0, v38
	v_and_b32_e32 v39, 0x8040201, v25
	v_cndmask_b32_e32 v38, 0, v19, vcc
	;; [unrolled: 3-line block ×3, first 2 shown]
	v_cmp_gt_u32_e32 vcc, s14, v39
	v_and_b32_e32 v41, 0x200, v25
	v_cndmask_b32_e64 v39, 0, -1, vcc
	v_cmp_eq_u32_e32 vcc, 0, v40
	v_and_b32_e32 v42, 1, v25
	v_cndmask_b32_e32 v24, 0, v18, vcc
	v_cmp_eq_u32_e32 vcc, 0, v41
	v_and_b32_e32 v49, 0x8040201, v26
	v_cndmask_b32_e32 v25, 0, v19, vcc
	v_cmp_eq_u32_e32 vcc, 0, v42
	v_and_b32_e32 v43, 0x40000, v26
	v_and_b32_e32 v44, 0x200, v26
	;; [unrolled: 1-line block ×4, first 2 shown]
	v_cndmask_b32_e32 v26, 0, v20, vcc
	v_cmp_gt_u32_e32 vcc, s14, v49
	v_cndmask_b32_e64 v40, 0, -1, vcc
	v_cmp_gt_u32_e32 vcc, s14, v46
	v_lshrrev_b16_sdwa v28, v21, v28 dst_sel:DWORD dst_unused:UNUSED_PAD src0_sel:DWORD src1_sel:BYTE_3
	v_cndmask_b32_e64 v41, 0, -1, vcc
	v_cmp_eq_u32_e32 vcc, 0, v43
	v_mul_lo_u32 v28, v28, s9
	v_cndmask_b32_e32 v42, 0, v18, vcc
	v_cmp_eq_u32_e32 vcc, 0, v44
	v_and_b32_e32 v47, 0x40000, v29
	v_cndmask_b32_e32 v43, 0, v19, vcc
	v_cmp_eq_u32_e32 vcc, 0, v45
	v_and_b32_e32 v48, 0x200, v29
	v_cndmask_b32_e32 v44, 0, v20, vcc
	v_cmp_eq_u32_e32 vcc, 0, v47
	v_not_b32_e32 v27, v27
	v_and_b32_e32 v29, 1, v29
	v_cndmask_b32_e32 v45, 0, v18, vcc
	v_cmp_eq_u32_e32 vcc, 0, v48
	v_not_b32_e32 v28, v28
	v_and_b32_e32 v50, 0x40000, v27
	v_and_b32_e32 v51, 0x200, v27
	;; [unrolled: 1-line block ×4, first 2 shown]
	v_cndmask_b32_e32 v46, 0, v19, vcc
	v_cmp_eq_u32_e32 vcc, 0, v29
	v_and_b32_e32 v53, 0x40000, v28
	v_and_b32_e32 v54, 0x200, v28
	;; [unrolled: 1-line block ×4, first 2 shown]
	v_cndmask_b32_e32 v47, 0, v20, vcc
	v_cmp_gt_u32_e32 vcc, s14, v27
	v_cndmask_b32_e64 v48, 0, -1, vcc
	v_cmp_gt_u32_e32 vcc, s14, v28
	v_cndmask_b32_e64 v49, 0, -1, vcc
	v_cmp_eq_u32_e32 vcc, 0, v50
	v_cndmask_b32_e32 v50, 0, v18, vcc
	v_cmp_eq_u32_e32 vcc, 0, v51
	v_cndmask_b32_e32 v51, 0, v19, vcc
	;; [unrolled: 2-line block ×3, first 2 shown]
	v_cmp_eq_u32_e32 vcc, 0, v53
	v_mul_lo_u32 v37, v37, s9
	v_not_b32_e32 v35, v35
	v_cndmask_b32_e32 v27, 0, v18, vcc
	v_cmp_eq_u32_e32 vcc, 0, v54
	v_cndmask_b32_e32 v28, 0, v19, vcc
	v_cmp_eq_u32_e32 vcc, 0, v55
	v_and_b32_e32 v53, 0x8040201, v35
	v_cndmask_b32_e32 v29, 0, v20, vcc
	v_and_b32_e32 v54, 0x40000, v35
	v_cmp_gt_u32_e32 vcc, s14, v53
	v_and_b32_e32 v55, 0x200, v35
	v_cndmask_b32_e64 v53, 0, -1, vcc
	v_cmp_eq_u32_e32 vcc, 0, v54
	v_and_b32_e32 v35, 1, v35
	v_not_b32_e32 v37, v37
	v_cndmask_b32_e32 v54, 0, v18, vcc
	v_cmp_eq_u32_e32 vcc, 0, v55
	v_cndmask_b32_e32 v55, 0, v19, vcc
	v_cmp_eq_u32_e32 vcc, 0, v35
	v_and_b32_e32 v59, 0x8040201, v37
	v_cndmask_b32_e32 v35, 0, v20, vcc
	v_and_b32_e32 v60, 0x40000, v37
	v_and_b32_e32 v61, 0x200, v37
	;; [unrolled: 1-line block ×3, first 2 shown]
	v_cmp_gt_u32_e64 s[0:1], s14, v59
	v_lshlrev_b32_e32 v53, 24, v53
	v_cmp_eq_u32_e32 vcc, 0, v37
	v_or_b32_e32 v37, v55, v35
	v_cndmask_b32_e64 v59, 0, -1, s[0:1]
	v_cmp_eq_u32_e64 s[0:1], 0, v60
	v_lshlrev_b32_e32 v34, 24, v34
	v_or_b32_e32 v57, v38, v56
	v_cndmask_b32_e64 v60, 0, v18, s[0:1]
	v_cmp_eq_u32_e64 s[0:1], 0, v61
	v_or3_b32 v37, v37, v54, v53
	v_lshlrev_b32_e32 v39, 24, v39
	v_or_b32_e32 v58, v25, v26
	v_or3_b32 v57, v57, v36, v34
	v_cndmask_b32_e64 v61, 0, v19, s[0:1]
	s_waitcnt vmcnt(3)
	v_xor_b32_e32 v31, v37, v31
	v_cndmask_b32_e32 v37, 0, v20, vcc
	v_or3_b32 v58, v58, v24, v39
	v_xor_b32_e32 v30, v57, v30
	v_lshlrev_b32_e32 v57, 24, v59
	v_or_b32_e32 v59, v61, v37
	v_lshlrev_b32_e32 v40, 24, v40
	v_or3_b32 v59, v59, v60, v57
	s_waitcnt vmcnt(2)
	v_xor_b32_e32 v58, v58, v32
	v_or_b32_e32 v32, v43, v44
	v_lshlrev_b32_e32 v41, 24, v41
	v_xor_b32_e32 v59, v59, v33
	v_or_b32_e32 v33, v46, v47
	v_or3_b32 v32, v32, v42, v40
	v_lshlrev_b32_e32 v48, 24, v48
	v_or3_b32 v33, v33, v45, v41
	s_waitcnt vmcnt(1)
	v_xor_b32_e32 v9, v32, v9
	v_or_b32_e32 v32, v51, v52
	v_lshlrev_b32_e32 v49, 24, v49
	v_xor_b32_e32 v10, v33, v10
	v_or_b32_e32 v33, v28, v29
	v_or3_b32 v32, v32, v50, v48
	v_or3_b32 v33, v33, v27, v49
	s_waitcnt vmcnt(0)
	v_xor_b32_e32 v32, v32, v7
	v_xor_b32_e32 v62, v33, v8
	v_sub_u32_e32 v40, v9, v40
	v_sub_u32_e32 v42, v9, v42
	;; [unrolled: 1-line block ×8, first 2 shown]
	global_load_dwordx4 v[7:10], v[5:6], off offset:16
	v_sub_u32_e32 v48, v32, v48
	v_sub_u32_e32 v50, v32, v50
	;; [unrolled: 1-line block ×12, first 2 shown]
	global_load_dwordx4 v[30:33], v[5:6], off
	global_load_dword v63, v[5:6], off offset:32
	v_sub_u32_e32 v6, v58, v24
	v_sub_u32_e32 v24, v58, v25
	;; [unrolled: 1-line block ×3, first 2 shown]
	v_perm_b32 v42, v42, v44, s15
	v_and_b32_e32 v40, 0xff000000, v40
	v_and_b32_e32 v43, 0xff00, v43
	v_perm_b32 v36, v36, v56, s15
	v_perm_b32 v6, v6, v25, s15
	v_and_b32_e32 v25, 0xff000000, v34
	v_and_b32_e32 v34, 0xff00, v38
	v_sub_u32_e32 v5, v58, v39
	v_perm_b32 v44, v45, v47, s15
	v_and_b32_e32 v41, 0xff000000, v41
	v_and_b32_e32 v45, 0xff00, v46
	v_perm_b32 v46, v50, v52, s15
	v_perm_b32 v35, v54, v35, s15
	v_and_b32_e32 v38, 0xff000000, v53
	v_and_b32_e32 v50, 0xff00, v55
	v_or3_b32 v40, v42, v40, v43
	v_or3_b32 v25, v36, v25, v34
	v_sub_u32_e32 v39, v59, v60
	v_sub_u32_e32 v37, v59, v37
	;; [unrolled: 1-line block ×6, first 2 shown]
	v_and_b32_e32 v47, 0xff000000, v48
	v_and_b32_e32 v48, 0xff00, v51
	;; [unrolled: 1-line block ×4, first 2 shown]
	v_or3_b32 v41, v44, v41, v45
	v_or3_b32 v34, v35, v38, v50
	v_perm_b32 v37, v39, v37, s15
	v_perm_b32 v27, v27, v29, s15
	v_and_b32_e32 v29, 0xff000000, v49
	v_and_b32_e32 v28, 0xff00, v28
	v_or3_b32 v42, v46, v47, v48
	v_or3_b32 v5, v6, v5, v24
	;; [unrolled: 1-line block ×3, first 2 shown]
	v_lshrrev_b16_e32 v58, 4, v22
	v_and_b32_e32 v22, 15, v22
	v_cvt_f32_ubyte0_e32 v58, v58
	v_cvt_f32_ubyte0_e32 v22, v22
	v_add_f32_e32 v58, 0.5, v58
	v_add_f32_e32 v22, 0.5, v22
	v_cmp_le_u32_e32 vcc, s12, v12
	s_or_b64 s[4:5], vcc, s[4:5]
	s_waitcnt vmcnt(2)
	v_dot4_i32_i8 v8, v40, v8, 0
	v_dot4_i32_i8 v8, v41, v9, v8
	;; [unrolled: 1-line block ×3, first 2 shown]
	s_waitcnt vmcnt(1)
	v_cvt_f32_f16_e32 v26, v30
	v_sub_u32_e32 v30, v59, v57
	v_sub_u32_e32 v57, v59, v61
	v_dot4_i32_i8 v25, v25, v31, 0
	v_and_b32_e32 v30, 0xff000000, v30
	v_and_b32_e32 v39, 0xff00, v57
	v_dot4_i32_i8 v9, v34, v32, v25
	v_or3_b32 v6, v37, v30, v39
	v_dot4_i32_i8 v5, v5, v33, v9
	v_dot4_i32_i8 v5, v6, v7, v5
	s_waitcnt vmcnt(0)
	v_dot4_i32_i8 v6, v24, v63, v8
	v_cvt_f32_i32_e32 v6, v6
	v_cvt_f32_i32_e32 v5, v5
	v_mul_f32_e32 v7, v23, v26
	v_mul_f32_e32 v7, 0x3e800000, v7
	;; [unrolled: 1-line block ×3, first 2 shown]
	v_fmac_f32_e32 v6, v22, v5
	v_fmac_f32_e32 v13, v7, v6
	s_andn2_b64 exec, exec, s[4:5]
	s_cbranch_execnz .LBB253_3
; %bb.4:
	s_or_b64 exec, exec, s[4:5]
.LBB253_5:
	s_or_b64 exec, exec, s[10:11]
	v_mbcnt_lo_u32_b32 v1, -1, 0
	v_mbcnt_hi_u32_b32 v2, -1, v1
	v_and_b32_e32 v1, 64, v2
	v_add_u32_e32 v3, 64, v1
	v_xor_b32_e32 v1, 32, v2
	v_cmp_lt_i32_e32 vcc, v1, v3
	v_cndmask_b32_e32 v1, v2, v1, vcc
	v_lshlrev_b32_e32 v1, 2, v1
	ds_bpermute_b32 v1, v1, v13
	v_xor_b32_e32 v4, 16, v2
	v_cmp_lt_i32_e32 vcc, v4, v3
	v_cndmask_b32_e32 v4, v2, v4, vcc
	v_lshlrev_b32_e32 v4, 2, v4
	s_waitcnt lgkmcnt(0)
	v_add_f32_e32 v1, v13, v1
	ds_bpermute_b32 v4, v4, v1
	v_xor_b32_e32 v5, 8, v2
	v_cmp_lt_i32_e32 vcc, v5, v3
	s_waitcnt lgkmcnt(0)
	v_add_f32_e32 v1, v1, v4
	v_cndmask_b32_e32 v4, v2, v5, vcc
	v_lshlrev_b32_e32 v4, 2, v4
	ds_bpermute_b32 v4, v4, v1
	v_xor_b32_e32 v5, 4, v2
	v_cmp_lt_i32_e32 vcc, v5, v3
	s_waitcnt lgkmcnt(0)
	v_add_f32_e32 v1, v1, v4
	v_cndmask_b32_e32 v4, v2, v5, vcc
	v_lshlrev_b32_e32 v4, 2, v4
	;; [unrolled: 7-line block ×3, first 2 shown]
	ds_bpermute_b32 v4, v4, v1
	v_xor_b32_e32 v5, 1, v2
	v_cmp_lt_i32_e32 vcc, v5, v3
	v_cndmask_b32_e32 v2, v2, v5, vcc
	v_lshlrev_b32_e32 v2, 2, v2
	s_waitcnt lgkmcnt(0)
	v_add_f32_e32 v1, v1, v4
	ds_bpermute_b32 v2, v2, v1
	v_cmp_eq_u32_e32 vcc, 0, v0
	s_and_b64 exec, exec, vcc
	s_cbranch_execz .LBB253_7
; %bb.6:
	s_mul_i32 s0, s2, s8
	s_waitcnt lgkmcnt(0)
	v_add_f32_e32 v2, v1, v2
	v_add_u32_e32 v0, s0, v11
	v_mov_b32_e32 v1, 0
	v_lshlrev_b64 v[0:1], 2, v[0:1]
	v_mov_b32_e32 v3, s7
	v_add_co_u32_e32 v0, vcc, s6, v0
	v_addc_co_u32_e32 v1, vcc, v3, v1, vcc
	global_store_dword v[0:1], v2, off
.LBB253_7:
	s_endpgm
	.section	.rodata,"a",@progbits
	.p2align	6, 0x0
	.amdhsa_kernel _ZL9moe_vec_qIfLi256ELi8E11block_iq2_sLi1EXadL_ZL18vec_dot_iq2_s_q8_1PKvPK10block_q8_1RKiEEEvS2_S2_PT_PS6_iiii
		.amdhsa_group_segment_fixed_size 0
		.amdhsa_private_segment_fixed_size 0
		.amdhsa_kernarg_size 304
		.amdhsa_user_sgpr_count 6
		.amdhsa_user_sgpr_private_segment_buffer 1
		.amdhsa_user_sgpr_dispatch_ptr 0
		.amdhsa_user_sgpr_queue_ptr 0
		.amdhsa_user_sgpr_kernarg_segment_ptr 1
		.amdhsa_user_sgpr_dispatch_id 0
		.amdhsa_user_sgpr_flat_scratch_init 0
		.amdhsa_user_sgpr_private_segment_size 0
		.amdhsa_uses_dynamic_stack 0
		.amdhsa_system_sgpr_private_segment_wavefront_offset 0
		.amdhsa_system_sgpr_workgroup_id_x 1
		.amdhsa_system_sgpr_workgroup_id_y 0
		.amdhsa_system_sgpr_workgroup_id_z 1
		.amdhsa_system_sgpr_workgroup_info 0
		.amdhsa_system_vgpr_workitem_id 1
		.amdhsa_next_free_vgpr 64
		.amdhsa_next_free_sgpr 20
		.amdhsa_reserve_vcc 1
		.amdhsa_reserve_flat_scratch 0
		.amdhsa_float_round_mode_32 0
		.amdhsa_float_round_mode_16_64 0
		.amdhsa_float_denorm_mode_32 3
		.amdhsa_float_denorm_mode_16_64 3
		.amdhsa_dx10_clamp 1
		.amdhsa_ieee_mode 1
		.amdhsa_fp16_overflow 0
		.amdhsa_exception_fp_ieee_invalid_op 0
		.amdhsa_exception_fp_denorm_src 0
		.amdhsa_exception_fp_ieee_div_zero 0
		.amdhsa_exception_fp_ieee_overflow 0
		.amdhsa_exception_fp_ieee_underflow 0
		.amdhsa_exception_fp_ieee_inexact 0
		.amdhsa_exception_int_div_zero 0
	.end_amdhsa_kernel
	.section	.text._ZL9moe_vec_qIfLi256ELi8E11block_iq2_sLi1EXadL_ZL18vec_dot_iq2_s_q8_1PKvPK10block_q8_1RKiEEEvS2_S2_PT_PS6_iiii,"axG",@progbits,_ZL9moe_vec_qIfLi256ELi8E11block_iq2_sLi1EXadL_ZL18vec_dot_iq2_s_q8_1PKvPK10block_q8_1RKiEEEvS2_S2_PT_PS6_iiii,comdat
.Lfunc_end253:
	.size	_ZL9moe_vec_qIfLi256ELi8E11block_iq2_sLi1EXadL_ZL18vec_dot_iq2_s_q8_1PKvPK10block_q8_1RKiEEEvS2_S2_PT_PS6_iiii, .Lfunc_end253-_ZL9moe_vec_qIfLi256ELi8E11block_iq2_sLi1EXadL_ZL18vec_dot_iq2_s_q8_1PKvPK10block_q8_1RKiEEEvS2_S2_PT_PS6_iiii
                                        ; -- End function
	.set _ZL9moe_vec_qIfLi256ELi8E11block_iq2_sLi1EXadL_ZL18vec_dot_iq2_s_q8_1PKvPK10block_q8_1RKiEEEvS2_S2_PT_PS6_iiii.num_vgpr, 64
	.set _ZL9moe_vec_qIfLi256ELi8E11block_iq2_sLi1EXadL_ZL18vec_dot_iq2_s_q8_1PKvPK10block_q8_1RKiEEEvS2_S2_PT_PS6_iiii.num_agpr, 0
	.set _ZL9moe_vec_qIfLi256ELi8E11block_iq2_sLi1EXadL_ZL18vec_dot_iq2_s_q8_1PKvPK10block_q8_1RKiEEEvS2_S2_PT_PS6_iiii.numbered_sgpr, 20
	.set _ZL9moe_vec_qIfLi256ELi8E11block_iq2_sLi1EXadL_ZL18vec_dot_iq2_s_q8_1PKvPK10block_q8_1RKiEEEvS2_S2_PT_PS6_iiii.num_named_barrier, 0
	.set _ZL9moe_vec_qIfLi256ELi8E11block_iq2_sLi1EXadL_ZL18vec_dot_iq2_s_q8_1PKvPK10block_q8_1RKiEEEvS2_S2_PT_PS6_iiii.private_seg_size, 0
	.set _ZL9moe_vec_qIfLi256ELi8E11block_iq2_sLi1EXadL_ZL18vec_dot_iq2_s_q8_1PKvPK10block_q8_1RKiEEEvS2_S2_PT_PS6_iiii.uses_vcc, 1
	.set _ZL9moe_vec_qIfLi256ELi8E11block_iq2_sLi1EXadL_ZL18vec_dot_iq2_s_q8_1PKvPK10block_q8_1RKiEEEvS2_S2_PT_PS6_iiii.uses_flat_scratch, 0
	.set _ZL9moe_vec_qIfLi256ELi8E11block_iq2_sLi1EXadL_ZL18vec_dot_iq2_s_q8_1PKvPK10block_q8_1RKiEEEvS2_S2_PT_PS6_iiii.has_dyn_sized_stack, 0
	.set _ZL9moe_vec_qIfLi256ELi8E11block_iq2_sLi1EXadL_ZL18vec_dot_iq2_s_q8_1PKvPK10block_q8_1RKiEEEvS2_S2_PT_PS6_iiii.has_recursion, 0
	.set _ZL9moe_vec_qIfLi256ELi8E11block_iq2_sLi1EXadL_ZL18vec_dot_iq2_s_q8_1PKvPK10block_q8_1RKiEEEvS2_S2_PT_PS6_iiii.has_indirect_call, 0
	.section	.AMDGPU.csdata,"",@progbits
; Kernel info:
; codeLenInByte = 2352
; TotalNumSgprs: 24
; NumVgprs: 64
; ScratchSize: 0
; MemoryBound: 0
; FloatMode: 240
; IeeeMode: 1
; LDSByteSize: 0 bytes/workgroup (compile time only)
; SGPRBlocks: 2
; VGPRBlocks: 15
; NumSGPRsForWavesPerEU: 24
; NumVGPRsForWavesPerEU: 64
; Occupancy: 4
; WaveLimiterHint : 1
; COMPUTE_PGM_RSRC2:SCRATCH_EN: 0
; COMPUTE_PGM_RSRC2:USER_SGPR: 6
; COMPUTE_PGM_RSRC2:TRAP_HANDLER: 0
; COMPUTE_PGM_RSRC2:TGID_X_EN: 1
; COMPUTE_PGM_RSRC2:TGID_Y_EN: 0
; COMPUTE_PGM_RSRC2:TGID_Z_EN: 1
; COMPUTE_PGM_RSRC2:TIDIG_COMP_CNT: 1
	.section	.text._ZL9moe_vec_qIfLi256ELi8E12block_iq4_xsLi1EXadL_ZL19vec_dot_iq4_xs_q8_1PKvPK10block_q8_1RKiEEEvS2_S2_PT_PS6_iiii,"axG",@progbits,_ZL9moe_vec_qIfLi256ELi8E12block_iq4_xsLi1EXadL_ZL19vec_dot_iq4_xs_q8_1PKvPK10block_q8_1RKiEEEvS2_S2_PT_PS6_iiii,comdat
	.globl	_ZL9moe_vec_qIfLi256ELi8E12block_iq4_xsLi1EXadL_ZL19vec_dot_iq4_xs_q8_1PKvPK10block_q8_1RKiEEEvS2_S2_PT_PS6_iiii ; -- Begin function _ZL9moe_vec_qIfLi256ELi8E12block_iq4_xsLi1EXadL_ZL19vec_dot_iq4_xs_q8_1PKvPK10block_q8_1RKiEEEvS2_S2_PT_PS6_iiii
	.p2align	8
	.type	_ZL9moe_vec_qIfLi256ELi8E12block_iq4_xsLi1EXadL_ZL19vec_dot_iq4_xs_q8_1PKvPK10block_q8_1RKiEEEvS2_S2_PT_PS6_iiii,@function
_ZL9moe_vec_qIfLi256ELi8E12block_iq4_xsLi1EXadL_ZL19vec_dot_iq4_xs_q8_1PKvPK10block_q8_1RKiEEEvS2_S2_PT_PS6_iiii: ; @_ZL9moe_vec_qIfLi256ELi8E12block_iq4_xsLi1EXadL_ZL19vec_dot_iq4_xs_q8_1PKvPK10block_q8_1RKiEEEvS2_S2_PT_PS6_iiii
; %bb.0:
	s_mov_b32 s8, s7
	s_load_dword s7, s[4:5], 0x3c
	s_load_dwordx4 s[0:3], s[4:5], 0x20
	s_waitcnt lgkmcnt(0)
	s_lshr_b32 s7, s7, 16
	s_mul_i32 s6, s6, s7
	v_add_u32_e32 v9, s6, v1
	v_cmp_gt_u32_e32 vcc, s2, v9
	s_and_saveexec_b64 s[6:7], vcc
	s_cbranch_execz .LBB254_7
; %bb.1:
	s_load_dwordx2 s[6:7], s[4:5], 0x10
	s_ashr_i32 s9, s1, 31
	s_lshr_b32 s9, s9, 24
	s_add_i32 s1, s1, s9
	s_ashr_i32 s12, s1, 8
	v_lshrrev_b32_e32 v10, 3, v0
	v_cmp_gt_u32_e32 vcc, s12, v10
	v_mov_b32_e32 v11, 0
	s_and_saveexec_b64 s[10:11], vcc
	s_cbranch_execz .LBB254_5
; %bb.2:
	s_load_dwordx2 s[14:15], s[4:5], 0x18
	s_load_dwordx4 s[16:19], s[4:5], 0x0
	v_cvt_f32_u32_e32 v1, s0
	s_mov_b32 s9, 0
	s_lshl_b64 s[4:5], s[8:9], 2
	s_waitcnt lgkmcnt(0)
	s_add_u32 s4, s14, s4
	s_addc_u32 s5, s15, s5
	v_rcp_iflag_f32_e32 v1, v1
	s_load_dword s1, s[4:5], 0x0
	s_mul_i32 s5, s12, s2
	v_and_b32_e32 v3, 7, v0
	v_mul_f32_e32 v1, 0x4f7ffffe, v1
	v_cvt_u32_f32_e32 v1, v1
	s_waitcnt lgkmcnt(0)
	s_mul_i32 s1, s5, s1
	s_mul_hi_i32 s5, s1, 0x88
	s_mulk_i32 s1, 0x88
	s_add_u32 s14, s16, s1
	s_addc_u32 s15, s17, s5
	s_sub_i32 s1, 0, s0
	v_readfirstlane_b32 s5, v1
	s_mul_i32 s1, s1, s5
	s_mul_hi_u32 s1, s5, s1
	s_add_i32 s5, s5, s1
	s_mul_hi_u32 s1, s8, s5
	s_mul_i32 s5, s1, s0
	s_sub_i32 s5, s8, s5
	s_add_i32 s13, s1, 1
	s_sub_i32 s16, s5, s0
	s_cmp_ge_u32 s5, s0
	s_cselect_b32 s1, s13, s1
	s_cselect_b32 s5, s16, s5
	s_add_i32 s13, s1, 1
	s_cmp_ge_u32 s5, s0
	s_cselect_b32 s0, s13, s1
	s_mul_i32 s0, s0, s3
	s_mov_b32 s1, s9
	s_lshl_b64 s[0:1], s[0:1], 2
	s_add_u32 s0, s18, s0
	s_addc_u32 s1, s19, s1
	v_mad_u64_u32 v[1:2], s[0:1], v3, 36, s[0:1]
	v_lshlrev_b32_e32 v4, 2, v0
	v_lshlrev_b32_e32 v5, 2, v3
	v_and_b32_e32 v12, 4, v4
	v_lshlrev_b32_e32 v13, 1, v3
	v_mov_b32_e32 v3, s14
	s_movk_i32 s4, 0x88
	v_mov_b32_e32 v11, 0
	v_lshlrev_b32_e32 v14, 3, v10
	s_mov_b64 s[0:1], 0
	v_mov_b32_e32 v4, s15
	v_lshlrev_b32_e32 v15, 2, v5
.LBB254_3:                              ; =>This Inner Loop Header: Depth=1
	v_mul_lo_u32 v5, v9, s12
	v_bfe_u32 v16, v0, 1, 2
	v_add_u32_e32 v5, v5, v10
	v_mad_i64_i32 v[5:6], s[14:15], v5, s4, v[3:4]
	s_getpc_b64 s[14:15]
	s_add_u32 s14, s14, _ZL13kvalues_iq4nl@rel32@lo+4
	s_addc_u32 s15, s15, _ZL13kvalues_iq4nl@rel32@hi+12
	v_add_u32_e32 v10, 8, v10
	v_add_co_u32_e32 v7, vcc, v5, v15
	v_addc_co_u32_e32 v8, vcc, 0, v6, vcc
	v_add_co_u32_e32 v20, vcc, v5, v16
	v_addc_co_u32_e32 v21, vcc, 0, v6, vcc
	global_load_dwordx4 v[16:19], v[7:8], off offset:8
	global_load_ubyte v22, v[20:21], off offset:4
	global_load_dword v47, v[5:6], off
	v_cmp_le_u32_e32 vcc, s12, v10
	s_or_b64 s[0:1], vcc, s[0:1]
	s_waitcnt vmcnt(2)
	v_and_b32_e32 v7, 15, v16
	v_bfe_u32 v8, v16, 8, 4
	s_waitcnt vmcnt(0)
	v_lshrrev_b32_sdwa v6, v13, v47 dst_sel:DWORD dst_unused:UNUSED_PAD src0_sel:DWORD src1_sel:WORD_1
	v_bfe_u32 v20, v16, 16, 4
	v_bfe_u32 v21, v16, 12, 4
	;; [unrolled: 1-line block ×3, first 2 shown]
	v_lshrrev_b32_e32 v24, 28, v16
	v_bfe_u32 v5, v22, v12, 4
	v_lshlrev_b32_e32 v6, 4, v6
	v_bfe_u32 v25, v16, 24, 4
	v_bfe_u32 v16, v16, 4, 4
	v_and_or_b32 v22, v6, 48, v5
	global_load_ubyte v5, v7, s[14:15]
	global_load_ubyte v6, v8, s[14:15]
	s_nop 0
	global_load_ubyte v7, v16, s[14:15]
	global_load_ubyte v8, v21, s[14:15]
	s_nop 0
	global_load_ubyte v20, v20, s[14:15]
	s_nop 0
	;; [unrolled: 2-line block ×4, first 2 shown]
	global_load_ubyte v24, v25, s[14:15]
	v_and_b32_e32 v26, 15, v17
	v_bfe_u32 v27, v17, 8, 4
	v_bfe_u32 v28, v17, 16, 4
	v_bfe_u32 v29, v17, 12, 4
	v_bfe_u32 v30, v17, 20, 4
	v_lshrrev_b32_e32 v31, 28, v17
	v_bfe_u32 v32, v17, 24, 4
	v_bfe_u32 v17, v17, 4, 4
	v_and_b32_e32 v33, 15, v18
	v_bfe_u32 v34, v18, 8, 4
	v_bfe_u32 v35, v18, 16, 4
	v_bfe_u32 v36, v18, 12, 4
	v_bfe_u32 v37, v18, 20, 4
	v_lshrrev_b32_e32 v38, 28, v18
	v_bfe_u32 v39, v18, 24, 4
	v_bfe_u32 v18, v18, 4, 4
	;; [unrolled: 8-line block ×3, first 2 shown]
	v_subrev_u32_e32 v22, 32, v22
	v_cvt_f32_i32_e32 v22, v22
	s_waitcnt vmcnt(6)
	v_lshl_or_b32 v5, v6, 8, v5
	s_waitcnt vmcnt(4)
	v_lshl_or_b32 v25, v8, 8, v7
	global_load_ubyte v6, v26, s[14:15]
	global_load_ubyte v7, v27, s[14:15]
	;; [unrolled: 1-line block ×4, first 2 shown]
	s_nop 0
	global_load_ubyte v26, v28, s[14:15]
	global_load_ubyte v27, v30, s[14:15]
	s_nop 0
	global_load_ubyte v28, v31, s[14:15]
	global_load_ubyte v29, v32, s[14:15]
	s_waitcnt vmcnt(11)
	v_lshlrev_b32_e32 v20, 16, v20
	s_waitcnt vmcnt(8)
	v_lshlrev_b32_e32 v24, 24, v24
	v_or3_b32 v20, v5, v20, v24
	s_waitcnt vmcnt(6)
	v_lshl_or_b32 v30, v7, 8, v6
	s_waitcnt vmcnt(4)
	v_lshl_or_b32 v31, v8, 8, v16
	global_load_ubyte v6, v33, s[14:15]
	global_load_ubyte v7, v34, s[14:15]
	;; [unrolled: 1-line block ×3, first 2 shown]
	s_nop 0
	global_load_ubyte v18, v18, s[14:15]
	s_nop 0
	global_load_ubyte v32, v35, s[14:15]
	global_load_ubyte v33, v37, s[14:15]
	;; [unrolled: 1-line block ×3, first 2 shown]
	s_nop 0
	global_load_ubyte v35, v39, s[14:15]
	v_mad_i64_i32 v[16:17], s[16:17], v14, 36, v[1:2]
	s_waitcnt vmcnt(8)
	v_lshlrev_b32_e32 v29, 24, v29
	v_lshlrev_b32_e32 v26, 16, v26
	;; [unrolled: 1-line block ×4, first 2 shown]
	v_or3_b32 v26, v30, v26, v29
	v_or3_b32 v27, v31, v27, v28
	v_add_u32_e32 v14, 64, v14
	s_waitcnt vmcnt(6)
	v_lshl_or_b32 v36, v7, 8, v6
	s_waitcnt vmcnt(4)
	v_lshl_or_b32 v37, v8, 8, v18
	global_load_dwordx4 v[5:8], v[16:17], off
	global_load_ubyte v18, v40, s[14:15]
	global_load_ubyte v24, v41, s[14:15]
	;; [unrolled: 1-line block ×4, first 2 shown]
	s_nop 0
	global_load_ubyte v40, v42, s[14:15]
	global_load_ubyte v41, v44, s[14:15]
	s_nop 0
	global_load_ubyte v42, v45, s[14:15]
	global_load_ubyte v43, v46, s[14:15]
	v_lshlrev_b32_e32 v19, 16, v21
	global_load_dword v44, v[16:17], off offset:32
	s_waitcnt vmcnt(10)
	v_lshlrev_b32_e32 v35, 24, v35
	v_lshlrev_b32_e32 v32, 16, v32
	;; [unrolled: 1-line block ×4, first 2 shown]
	v_or3_b32 v28, v36, v32, v35
	v_or3_b32 v29, v37, v33, v34
	s_waitcnt vmcnt(9)
	v_dot4_i32_i8 v6, v20, v6, 0
	v_dot4_i32_i8 v6, v26, v7, v6
	s_waitcnt vmcnt(7)
	v_lshl_or_b32 v24, v24, 8, v18
	v_lshlrev_b32_e32 v18, 24, v23
	v_or3_b32 v21, v25, v19, v18
	global_load_dwordx4 v[16:19], v[16:17], off offset:16
	s_waitcnt vmcnt(6)
	v_lshl_or_b32 v23, v39, 8, v38
	s_waitcnt vmcnt(5)
	v_lshlrev_b32_e32 v39, 16, v40
	s_waitcnt vmcnt(2)
	v_lshlrev_b32_e32 v38, 24, v43
	v_lshlrev_b32_e32 v40, 24, v42
	;; [unrolled: 1-line block ×3, first 2 shown]
	v_or3_b32 v24, v24, v39, v38
	v_or3_b32 v23, v23, v41, v40
	v_dot4_i32_i8 v6, v28, v8, v6
	v_cvt_f32_f16_e32 v25, v47
	v_cvt_f32_f16_e32 v5, v5
	s_waitcnt vmcnt(0)
	v_dot4_i32_i8 v17, v21, v17, 0
	v_dot4_i32_i8 v7, v27, v18, v17
	;; [unrolled: 1-line block ×5, first 2 shown]
	v_add_u32_e32 v6, v7, v6
	v_cvt_f32_i32_e32 v6, v6
	v_mul_f32_e32 v7, v25, v22
	v_mul_f32_e32 v5, v7, v5
	v_fmac_f32_e32 v11, v5, v6
	s_andn2_b64 exec, exec, s[0:1]
	s_cbranch_execnz .LBB254_3
; %bb.4:
	s_or_b64 exec, exec, s[0:1]
.LBB254_5:
	s_or_b64 exec, exec, s[10:11]
	v_mbcnt_lo_u32_b32 v1, -1, 0
	v_mbcnt_hi_u32_b32 v2, -1, v1
	v_and_b32_e32 v1, 64, v2
	v_add_u32_e32 v3, 64, v1
	v_xor_b32_e32 v1, 32, v2
	v_cmp_lt_i32_e32 vcc, v1, v3
	v_cndmask_b32_e32 v1, v2, v1, vcc
	v_lshlrev_b32_e32 v1, 2, v1
	ds_bpermute_b32 v1, v1, v11
	v_xor_b32_e32 v4, 16, v2
	v_cmp_lt_i32_e32 vcc, v4, v3
	v_cndmask_b32_e32 v4, v2, v4, vcc
	v_lshlrev_b32_e32 v4, 2, v4
	s_waitcnt lgkmcnt(0)
	v_add_f32_e32 v1, v11, v1
	ds_bpermute_b32 v4, v4, v1
	v_xor_b32_e32 v5, 8, v2
	v_cmp_lt_i32_e32 vcc, v5, v3
	s_waitcnt lgkmcnt(0)
	v_add_f32_e32 v1, v1, v4
	v_cndmask_b32_e32 v4, v2, v5, vcc
	v_lshlrev_b32_e32 v4, 2, v4
	ds_bpermute_b32 v4, v4, v1
	v_xor_b32_e32 v5, 4, v2
	v_cmp_lt_i32_e32 vcc, v5, v3
	s_waitcnt lgkmcnt(0)
	v_add_f32_e32 v1, v1, v4
	v_cndmask_b32_e32 v4, v2, v5, vcc
	v_lshlrev_b32_e32 v4, 2, v4
	;; [unrolled: 7-line block ×3, first 2 shown]
	ds_bpermute_b32 v4, v4, v1
	v_xor_b32_e32 v5, 1, v2
	v_cmp_lt_i32_e32 vcc, v5, v3
	v_cndmask_b32_e32 v2, v2, v5, vcc
	v_lshlrev_b32_e32 v2, 2, v2
	s_waitcnt lgkmcnt(0)
	v_add_f32_e32 v1, v1, v4
	ds_bpermute_b32 v2, v2, v1
	v_cmp_eq_u32_e32 vcc, 0, v0
	s_and_b64 exec, exec, vcc
	s_cbranch_execz .LBB254_7
; %bb.6:
	s_mul_i32 s0, s2, s8
	s_waitcnt lgkmcnt(0)
	v_add_f32_e32 v2, v1, v2
	v_add_u32_e32 v0, s0, v9
	v_mov_b32_e32 v1, 0
	v_lshlrev_b64 v[0:1], 2, v[0:1]
	v_mov_b32_e32 v3, s7
	v_add_co_u32_e32 v0, vcc, s6, v0
	v_addc_co_u32_e32 v1, vcc, v3, v1, vcc
	global_store_dword v[0:1], v2, off
.LBB254_7:
	s_endpgm
	.section	.rodata,"a",@progbits
	.p2align	6, 0x0
	.amdhsa_kernel _ZL9moe_vec_qIfLi256ELi8E12block_iq4_xsLi1EXadL_ZL19vec_dot_iq4_xs_q8_1PKvPK10block_q8_1RKiEEEvS2_S2_PT_PS6_iiii
		.amdhsa_group_segment_fixed_size 0
		.amdhsa_private_segment_fixed_size 0
		.amdhsa_kernarg_size 304
		.amdhsa_user_sgpr_count 6
		.amdhsa_user_sgpr_private_segment_buffer 1
		.amdhsa_user_sgpr_dispatch_ptr 0
		.amdhsa_user_sgpr_queue_ptr 0
		.amdhsa_user_sgpr_kernarg_segment_ptr 1
		.amdhsa_user_sgpr_dispatch_id 0
		.amdhsa_user_sgpr_flat_scratch_init 0
		.amdhsa_user_sgpr_private_segment_size 0
		.amdhsa_uses_dynamic_stack 0
		.amdhsa_system_sgpr_private_segment_wavefront_offset 0
		.amdhsa_system_sgpr_workgroup_id_x 1
		.amdhsa_system_sgpr_workgroup_id_y 0
		.amdhsa_system_sgpr_workgroup_id_z 1
		.amdhsa_system_sgpr_workgroup_info 0
		.amdhsa_system_vgpr_workitem_id 1
		.amdhsa_next_free_vgpr 48
		.amdhsa_next_free_sgpr 20
		.amdhsa_reserve_vcc 1
		.amdhsa_reserve_flat_scratch 0
		.amdhsa_float_round_mode_32 0
		.amdhsa_float_round_mode_16_64 0
		.amdhsa_float_denorm_mode_32 3
		.amdhsa_float_denorm_mode_16_64 3
		.amdhsa_dx10_clamp 1
		.amdhsa_ieee_mode 1
		.amdhsa_fp16_overflow 0
		.amdhsa_exception_fp_ieee_invalid_op 0
		.amdhsa_exception_fp_denorm_src 0
		.amdhsa_exception_fp_ieee_div_zero 0
		.amdhsa_exception_fp_ieee_overflow 0
		.amdhsa_exception_fp_ieee_underflow 0
		.amdhsa_exception_fp_ieee_inexact 0
		.amdhsa_exception_int_div_zero 0
	.end_amdhsa_kernel
	.section	.text._ZL9moe_vec_qIfLi256ELi8E12block_iq4_xsLi1EXadL_ZL19vec_dot_iq4_xs_q8_1PKvPK10block_q8_1RKiEEEvS2_S2_PT_PS6_iiii,"axG",@progbits,_ZL9moe_vec_qIfLi256ELi8E12block_iq4_xsLi1EXadL_ZL19vec_dot_iq4_xs_q8_1PKvPK10block_q8_1RKiEEEvS2_S2_PT_PS6_iiii,comdat
.Lfunc_end254:
	.size	_ZL9moe_vec_qIfLi256ELi8E12block_iq4_xsLi1EXadL_ZL19vec_dot_iq4_xs_q8_1PKvPK10block_q8_1RKiEEEvS2_S2_PT_PS6_iiii, .Lfunc_end254-_ZL9moe_vec_qIfLi256ELi8E12block_iq4_xsLi1EXadL_ZL19vec_dot_iq4_xs_q8_1PKvPK10block_q8_1RKiEEEvS2_S2_PT_PS6_iiii
                                        ; -- End function
	.set _ZL9moe_vec_qIfLi256ELi8E12block_iq4_xsLi1EXadL_ZL19vec_dot_iq4_xs_q8_1PKvPK10block_q8_1RKiEEEvS2_S2_PT_PS6_iiii.num_vgpr, 48
	.set _ZL9moe_vec_qIfLi256ELi8E12block_iq4_xsLi1EXadL_ZL19vec_dot_iq4_xs_q8_1PKvPK10block_q8_1RKiEEEvS2_S2_PT_PS6_iiii.num_agpr, 0
	.set _ZL9moe_vec_qIfLi256ELi8E12block_iq4_xsLi1EXadL_ZL19vec_dot_iq4_xs_q8_1PKvPK10block_q8_1RKiEEEvS2_S2_PT_PS6_iiii.numbered_sgpr, 20
	.set _ZL9moe_vec_qIfLi256ELi8E12block_iq4_xsLi1EXadL_ZL19vec_dot_iq4_xs_q8_1PKvPK10block_q8_1RKiEEEvS2_S2_PT_PS6_iiii.num_named_barrier, 0
	.set _ZL9moe_vec_qIfLi256ELi8E12block_iq4_xsLi1EXadL_ZL19vec_dot_iq4_xs_q8_1PKvPK10block_q8_1RKiEEEvS2_S2_PT_PS6_iiii.private_seg_size, 0
	.set _ZL9moe_vec_qIfLi256ELi8E12block_iq4_xsLi1EXadL_ZL19vec_dot_iq4_xs_q8_1PKvPK10block_q8_1RKiEEEvS2_S2_PT_PS6_iiii.uses_vcc, 1
	.set _ZL9moe_vec_qIfLi256ELi8E12block_iq4_xsLi1EXadL_ZL19vec_dot_iq4_xs_q8_1PKvPK10block_q8_1RKiEEEvS2_S2_PT_PS6_iiii.uses_flat_scratch, 0
	.set _ZL9moe_vec_qIfLi256ELi8E12block_iq4_xsLi1EXadL_ZL19vec_dot_iq4_xs_q8_1PKvPK10block_q8_1RKiEEEvS2_S2_PT_PS6_iiii.has_dyn_sized_stack, 0
	.set _ZL9moe_vec_qIfLi256ELi8E12block_iq4_xsLi1EXadL_ZL19vec_dot_iq4_xs_q8_1PKvPK10block_q8_1RKiEEEvS2_S2_PT_PS6_iiii.has_recursion, 0
	.set _ZL9moe_vec_qIfLi256ELi8E12block_iq4_xsLi1EXadL_ZL19vec_dot_iq4_xs_q8_1PKvPK10block_q8_1RKiEEEvS2_S2_PT_PS6_iiii.has_indirect_call, 0
	.section	.AMDGPU.csdata,"",@progbits
; Kernel info:
; codeLenInByte = 1672
; TotalNumSgprs: 24
; NumVgprs: 48
; ScratchSize: 0
; MemoryBound: 0
; FloatMode: 240
; IeeeMode: 1
; LDSByteSize: 0 bytes/workgroup (compile time only)
; SGPRBlocks: 2
; VGPRBlocks: 11
; NumSGPRsForWavesPerEU: 24
; NumVGPRsForWavesPerEU: 48
; Occupancy: 5
; WaveLimiterHint : 1
; COMPUTE_PGM_RSRC2:SCRATCH_EN: 0
; COMPUTE_PGM_RSRC2:USER_SGPR: 6
; COMPUTE_PGM_RSRC2:TRAP_HANDLER: 0
; COMPUTE_PGM_RSRC2:TGID_X_EN: 1
; COMPUTE_PGM_RSRC2:TGID_Y_EN: 0
; COMPUTE_PGM_RSRC2:TGID_Z_EN: 1
; COMPUTE_PGM_RSRC2:TIDIG_COMP_CNT: 1
	.section	.text._ZL9moe_vec_qIfLi256ELi8E11block_iq1_mLi1EXadL_ZL18vec_dot_iq1_m_q8_1PKvPK10block_q8_1RKiEEEvS2_S2_PT_PS6_iiii,"axG",@progbits,_ZL9moe_vec_qIfLi256ELi8E11block_iq1_mLi1EXadL_ZL18vec_dot_iq1_m_q8_1PKvPK10block_q8_1RKiEEEvS2_S2_PT_PS6_iiii,comdat
	.globl	_ZL9moe_vec_qIfLi256ELi8E11block_iq1_mLi1EXadL_ZL18vec_dot_iq1_m_q8_1PKvPK10block_q8_1RKiEEEvS2_S2_PT_PS6_iiii ; -- Begin function _ZL9moe_vec_qIfLi256ELi8E11block_iq1_mLi1EXadL_ZL18vec_dot_iq1_m_q8_1PKvPK10block_q8_1RKiEEEvS2_S2_PT_PS6_iiii
	.p2align	8
	.type	_ZL9moe_vec_qIfLi256ELi8E11block_iq1_mLi1EXadL_ZL18vec_dot_iq1_m_q8_1PKvPK10block_q8_1RKiEEEvS2_S2_PT_PS6_iiii,@function
_ZL9moe_vec_qIfLi256ELi8E11block_iq1_mLi1EXadL_ZL18vec_dot_iq1_m_q8_1PKvPK10block_q8_1RKiEEEvS2_S2_PT_PS6_iiii: ; @_ZL9moe_vec_qIfLi256ELi8E11block_iq1_mLi1EXadL_ZL18vec_dot_iq1_m_q8_1PKvPK10block_q8_1RKiEEEvS2_S2_PT_PS6_iiii
; %bb.0:
	s_mov_b32 s8, s7
	s_load_dword s7, s[4:5], 0x3c
	s_load_dwordx4 s[0:3], s[4:5], 0x20
	s_waitcnt lgkmcnt(0)
	s_lshr_b32 s7, s7, 16
	s_mul_i32 s6, s6, s7
	v_add_u32_e32 v13, s6, v1
	v_cmp_gt_u32_e32 vcc, s2, v13
	s_and_saveexec_b64 s[6:7], vcc
	s_cbranch_execz .LBB255_7
; %bb.1:
	s_load_dwordx2 s[6:7], s[4:5], 0x10
	s_ashr_i32 s9, s1, 31
	s_lshr_b32 s9, s9, 24
	s_add_i32 s1, s1, s9
	s_ashr_i32 s14, s1, 8
	v_lshrrev_b32_e32 v14, 3, v0
	v_cmp_gt_u32_e32 vcc, s14, v14
	v_mov_b32_e32 v15, 0
	s_and_saveexec_b64 s[10:11], vcc
	s_cbranch_execz .LBB255_5
; %bb.2:
	s_load_dwordx2 s[12:13], s[4:5], 0x18
	v_cvt_f32_u32_e32 v1, s0
	s_mov_b32 s9, 0
	s_lshl_b64 s[16:17], s[8:9], 2
	v_mul_lo_u32 v16, v13, s14
	v_rcp_iflag_f32_e32 v1, v1
	s_waitcnt lgkmcnt(0)
	s_add_u32 s12, s12, s16
	s_addc_u32 s13, s13, s17
	s_load_dword s1, s[12:13], 0x0
	s_load_dwordx4 s[16:19], s[4:5], 0x0
	v_mul_f32_e32 v1, 0x4f7ffffe, v1
	s_mul_i32 s4, s14, s2
	v_cvt_u32_f32_e32 v1, v1
	s_waitcnt lgkmcnt(0)
	s_mul_i32 s1, s4, s1
	s_mul_hi_i32 s5, s1, 56
	s_mul_i32 s1, s1, 56
	s_add_u32 s4, s16, s1
	s_addc_u32 s5, s17, s5
	s_sub_i32 s1, 0, s0
	v_readfirstlane_b32 s12, v1
	s_mul_i32 s1, s1, s12
	s_mul_hi_u32 s1, s12, s1
	s_add_i32 s12, s12, s1
	s_mul_hi_u32 s1, s8, s12
	s_mul_i32 s12, s1, s0
	s_sub_i32 s12, s8, s12
	s_add_i32 s13, s1, 1
	s_sub_i32 s15, s12, s0
	s_cmp_ge_u32 s12, s0
	s_cselect_b32 s1, s13, s1
	s_cselect_b32 s12, s15, s12
	s_add_i32 s13, s1, 1
	s_cmp_ge_u32 s12, s0
	s_cselect_b32 s0, s13, s1
	s_mul_i32 s0, s0, s3
	s_mov_b32 s1, s9
	s_lshl_b64 s[0:1], s[0:1], 2
	s_add_u32 s0, s18, s0
	s_addc_u32 s1, s19, s1
	v_and_b32_e32 v1, 7, v0
	v_mad_u64_u32 v[9:10], s[0:1], v1, 36, s[0:1]
	v_and_b32_e32 v3, 1, v0
	v_bfe_u32 v2, v0, 1, 2
	v_cmp_eq_u32_e32 vcc, 1, v3
	v_mov_b32_e32 v15, 0
	v_lshlrev_b32_e32 v17, 1, v1
	v_cndmask_b32_e64 v18, 0, 6, vcc
	v_lshlrev_b32_e32 v19, 3, v14
	s_mov_b64 s[0:1], 0
	v_lshlrev_b32_e32 v20, 2, v1
	s_mov_b32 s3, 0x1010101
	s_mov_b32 s9, 0x8000c
	s_movk_i32 s15, 0xf0
	v_lshlrev_b32_e32 v21, 1, v2
	s_movk_i32 s16, 0x700
	v_mov_b32_e32 v22, 4
	v_mov_b32_e32 v23, 8
.LBB255_3:                              ; =>This Inner Loop Header: Depth=1
	v_add_u32_e32 v1, v16, v14
	v_mad_i64_i32 v[11:12], s[12:13], v1, 56, s[4:5]
	v_mad_i64_i32 v[27:28], s[12:13], v19, 36, v[9:10]
	v_add_co_u32_e32 v1, vcc, v11, v20
	v_addc_co_u32_e32 v2, vcc, 0, v12, vcc
	v_add_co_u32_e32 v3, vcc, v11, v17
	v_addc_co_u32_e32 v4, vcc, 0, v12, vcc
	global_load_dword v26, v[1:2], off
	global_load_ushort v24, v[3:4], off offset:32
	s_nop 0
	global_load_dwordx4 v[1:4], v[27:28], off offset:16
	global_load_dword v25, v[27:28], off offset:32
	global_load_dwordx4 v[5:8], v[27:28], off
	v_add_co_u32_e32 v27, vcc, v11, v21
	v_addc_co_u32_e32 v28, vcc, 0, v12, vcc
	global_load_dwordx2 v[11:12], v[11:12], off offset:48
	s_nop 0
	global_load_ushort v27, v[27:28], off offset:48
	v_mov_b32_e32 v29, 0xbf600000
	s_getpc_b64 s[12:13]
	s_add_u32 s12, s12, _ZL13iq1s_grid_gpu@rel32@lo+4
	s_addc_u32 s13, s13, _ZL13iq1s_grid_gpu@rel32@hi+12
	v_mov_b32_e32 v30, 0xbf600000
	v_add_u32_e32 v14, 8, v14
	v_cmp_le_u32_e32 vcc, s14, v14
	v_add_u32_e32 v19, 64, v19
	s_or_b64 s[0:1], vcc, s[0:1]
	s_waitcnt vmcnt(6)
	v_and_b32_e32 v28, 0xff, v26
	s_waitcnt vmcnt(5)
	v_lshlrev_b32_e32 v31, 8, v24
	v_bfe_u32 v32, v26, 8, 8
	v_lshlrev_b32_e32 v33, 4, v24
	v_and_or_b32 v28, v31, s16, v28
	v_bfe_u32 v31, v26, 16, 8
	v_and_or_b32 v32, v33, s16, v32
	v_lshlrev_b32_sdwa v33, v23, v24 dst_sel:DWORD dst_unused:UNUSED_PAD src0_sel:DWORD src1_sel:BYTE_1
	v_and_or_b32 v31, v33, s16, v31
	v_and_b32_sdwa v33, v24, v23 dst_sel:DWORD dst_unused:UNUSED_PAD src0_sel:BYTE_1 src1_sel:DWORD
	v_cvt_f32_ubyte0_e32 v33, v33
	v_fmac_f32_e32 v29, 0xbd000000, v33
	v_lshrrev_b32_sdwa v33, v22, v24 dst_sel:DWORD dst_unused:UNUSED_PAD src0_sel:DWORD src1_sel:BYTE_1
	v_alignbit_b32 v26, v33, v26, 24
	v_lshlrev_b32_e32 v28, 3, v28
	v_and_b32_e32 v26, 0x7ff, v26
	global_load_dword v28, v28, s[12:13]
	v_lshlrev_b32_e32 v31, 3, v31
	v_lshlrev_b32_e32 v32, 3, v32
	;; [unrolled: 1-line block ×3, first 2 shown]
	global_load_dword v31, v31, s[12:13]
	s_nop 0
	global_load_dword v26, v26, s[12:13]
	s_nop 0
	global_load_dword v32, v32, s[12:13]
	v_and_b32_e32 v33, 8, v33
	v_cvt_f32_ubyte0_e32 v33, v33
	v_fmac_f32_e32 v30, 0xbd000000, v33
	s_waitcnt vmcnt(8)
	v_dot4_i32_i8 v33, v2, s3, 0
	v_dot4_i32_i8 v33, v3, s3, v33
	v_cvt_f32_i32_e32 v33, v33
	s_waitcnt vmcnt(5)
	v_pk_lshrrev_b16 v11, s9, v11
	s_waitcnt vmcnt(4)
	v_lshrrev_b32_e32 v27, v18, v27
	v_pk_lshrrev_b16 v12, 4, v12
	v_fma_f32 v29, v29, v33, 0
	v_dot4_i32_i8 v33, v4, s3, 0
	v_dot4_i32_i8 v33, v25, s3, v33
	v_cvt_f32_i32_e32 v33, v33
	v_and_b32_e32 v12, 0xf0000f00, v12
	v_cvt_f32_f16_e32 v5, v5
	v_fmac_f32_e32 v29, v30, v33
	v_and_b32_e32 v33, 8, v24
	v_bfe_u32 v24, v24, 4, 4
	v_mov_b32_e32 v30, 0xbf600000
	v_cvt_f32_ubyte0_e32 v33, v33
	v_and_b32_e32 v24, 8, v24
	v_fmac_f32_e32 v30, 0xbd000000, v33
	v_mov_b32_e32 v33, 0xbf600000
	v_cvt_f32_ubyte0_e32 v24, v24
	v_fmac_f32_e32 v33, 0xbd000000, v24
	v_dot4_i32_i8 v24, v6, s3, 0
	v_dot4_i32_i8 v24, v7, s3, v24
	v_cvt_f32_i32_e32 v24, v24
	v_fma_f32 v24, v30, v24, 0
	v_dot4_i32_i8 v30, v8, s3, 0
	v_dot4_i32_i8 v30, v1, s3, v30
	v_cvt_f32_i32_e32 v30, v30
	v_fmac_f32_e32 v24, v33, v30
	v_and_b32_sdwa v30, v11, s15 dst_sel:DWORD dst_unused:UNUSED_PAD src0_sel:WORD_1 src1_sel:DWORD
	v_or_b32_e32 v11, v30, v11
	v_lshlrev_b32_e32 v30, 1, v27
	v_and_b32_e32 v30, 14, v30
	v_or_b32_e32 v11, v11, v12
	v_or_b32_e32 v30, 1, v30
	v_or_b32_sdwa v11, v11, v12 dst_sel:DWORD dst_unused:UNUSED_PAD src0_sel:DWORD src1_sel:WORD_1
	v_cvt_f32_ubyte0_e32 v12, v30
	v_lshrrev_b32_e32 v27, 2, v27
	v_and_b32_e32 v27, 14, v27
	v_cvt_f32_f16_e32 v11, v11
	v_or_b32_e32 v27, 1, v27
	v_cvt_f32_ubyte0_e32 v27, v27
	s_waitcnt vmcnt(3)
	v_and_b32_e32 v30, 0xf0f0f0f, v28
	v_lshrrev_b32_e32 v28, 4, v28
	v_and_b32_e32 v28, 0xf0f0f0f, v28
	v_dot4_i32_i8 v6, v30, v6, 0
	v_dot4_i32_i8 v6, v28, v7, v6
	s_waitcnt vmcnt(0)
	v_and_b32_e32 v7, 0xf0f0f0f, v32
	v_dot4_i32_i8 v6, v7, v8, v6
	v_and_b32_e32 v7, 0xf0f0f0f, v31
	v_lshrrev_b32_e32 v8, 4, v31
	v_and_b32_e32 v8, 0xf0f0f0f, v8
	v_dot4_i32_i8 v2, v7, v2, 0
	v_and_b32_e32 v7, 0xf0f0f0f, v26
	v_lshrrev_b32_e32 v26, 4, v26
	v_dot4_i32_i8 v2, v8, v3, v2
	v_lshrrev_b32_e32 v28, 4, v32
	v_and_b32_e32 v8, 0xf0f0f0f, v26
	v_dot4_i32_i8 v2, v7, v4, v2
	v_and_b32_e32 v3, 0xf0f0f0f, v28
	v_dot4_i32_i8 v2, v8, v25, v2
	v_dot4_i32_i8 v1, v3, v1, v6
	v_cvt_f32_i32_e32 v2, v2
	v_cvt_f32_i32_e32 v1, v1
	v_mul_f32_e32 v3, v5, v11
	v_add_f32_e32 v2, v29, v2
	v_add_f32_e32 v1, v24, v1
	v_mul_f32_e32 v2, v2, v27
	v_fmac_f32_e32 v2, v1, v12
	v_fmac_f32_e32 v15, v3, v2
	s_andn2_b64 exec, exec, s[0:1]
	s_cbranch_execnz .LBB255_3
; %bb.4:
	s_or_b64 exec, exec, s[0:1]
.LBB255_5:
	s_or_b64 exec, exec, s[10:11]
	v_mbcnt_lo_u32_b32 v1, -1, 0
	v_mbcnt_hi_u32_b32 v2, -1, v1
	v_and_b32_e32 v1, 64, v2
	v_add_u32_e32 v3, 64, v1
	v_xor_b32_e32 v1, 32, v2
	v_cmp_lt_i32_e32 vcc, v1, v3
	v_cndmask_b32_e32 v1, v2, v1, vcc
	v_lshlrev_b32_e32 v1, 2, v1
	ds_bpermute_b32 v1, v1, v15
	v_xor_b32_e32 v4, 16, v2
	v_cmp_lt_i32_e32 vcc, v4, v3
	v_cndmask_b32_e32 v4, v2, v4, vcc
	v_lshlrev_b32_e32 v4, 2, v4
	s_waitcnt lgkmcnt(0)
	v_add_f32_e32 v1, v15, v1
	ds_bpermute_b32 v4, v4, v1
	v_xor_b32_e32 v5, 8, v2
	v_cmp_lt_i32_e32 vcc, v5, v3
	s_waitcnt lgkmcnt(0)
	v_add_f32_e32 v1, v1, v4
	v_cndmask_b32_e32 v4, v2, v5, vcc
	v_lshlrev_b32_e32 v4, 2, v4
	ds_bpermute_b32 v4, v4, v1
	v_xor_b32_e32 v5, 4, v2
	v_cmp_lt_i32_e32 vcc, v5, v3
	s_waitcnt lgkmcnt(0)
	v_add_f32_e32 v1, v1, v4
	v_cndmask_b32_e32 v4, v2, v5, vcc
	v_lshlrev_b32_e32 v4, 2, v4
	;; [unrolled: 7-line block ×3, first 2 shown]
	ds_bpermute_b32 v4, v4, v1
	v_xor_b32_e32 v5, 1, v2
	v_cmp_lt_i32_e32 vcc, v5, v3
	v_cndmask_b32_e32 v2, v2, v5, vcc
	v_lshlrev_b32_e32 v2, 2, v2
	s_waitcnt lgkmcnt(0)
	v_add_f32_e32 v1, v1, v4
	ds_bpermute_b32 v2, v2, v1
	v_cmp_eq_u32_e32 vcc, 0, v0
	s_and_b64 exec, exec, vcc
	s_cbranch_execz .LBB255_7
; %bb.6:
	s_mul_i32 s0, s2, s8
	s_waitcnt lgkmcnt(0)
	v_add_f32_e32 v2, v1, v2
	v_add_u32_e32 v0, s0, v13
	v_mov_b32_e32 v1, 0
	v_lshlrev_b64 v[0:1], 2, v[0:1]
	v_mov_b32_e32 v3, s7
	v_add_co_u32_e32 v0, vcc, s6, v0
	v_addc_co_u32_e32 v1, vcc, v3, v1, vcc
	global_store_dword v[0:1], v2, off
.LBB255_7:
	s_endpgm
	.section	.rodata,"a",@progbits
	.p2align	6, 0x0
	.amdhsa_kernel _ZL9moe_vec_qIfLi256ELi8E11block_iq1_mLi1EXadL_ZL18vec_dot_iq1_m_q8_1PKvPK10block_q8_1RKiEEEvS2_S2_PT_PS6_iiii
		.amdhsa_group_segment_fixed_size 0
		.amdhsa_private_segment_fixed_size 0
		.amdhsa_kernarg_size 304
		.amdhsa_user_sgpr_count 6
		.amdhsa_user_sgpr_private_segment_buffer 1
		.amdhsa_user_sgpr_dispatch_ptr 0
		.amdhsa_user_sgpr_queue_ptr 0
		.amdhsa_user_sgpr_kernarg_segment_ptr 1
		.amdhsa_user_sgpr_dispatch_id 0
		.amdhsa_user_sgpr_flat_scratch_init 0
		.amdhsa_user_sgpr_private_segment_size 0
		.amdhsa_uses_dynamic_stack 0
		.amdhsa_system_sgpr_private_segment_wavefront_offset 0
		.amdhsa_system_sgpr_workgroup_id_x 1
		.amdhsa_system_sgpr_workgroup_id_y 0
		.amdhsa_system_sgpr_workgroup_id_z 1
		.amdhsa_system_sgpr_workgroup_info 0
		.amdhsa_system_vgpr_workitem_id 1
		.amdhsa_next_free_vgpr 34
		.amdhsa_next_free_sgpr 20
		.amdhsa_reserve_vcc 1
		.amdhsa_reserve_flat_scratch 0
		.amdhsa_float_round_mode_32 0
		.amdhsa_float_round_mode_16_64 0
		.amdhsa_float_denorm_mode_32 3
		.amdhsa_float_denorm_mode_16_64 3
		.amdhsa_dx10_clamp 1
		.amdhsa_ieee_mode 1
		.amdhsa_fp16_overflow 0
		.amdhsa_exception_fp_ieee_invalid_op 0
		.amdhsa_exception_fp_denorm_src 0
		.amdhsa_exception_fp_ieee_div_zero 0
		.amdhsa_exception_fp_ieee_overflow 0
		.amdhsa_exception_fp_ieee_underflow 0
		.amdhsa_exception_fp_ieee_inexact 0
		.amdhsa_exception_int_div_zero 0
	.end_amdhsa_kernel
	.section	.text._ZL9moe_vec_qIfLi256ELi8E11block_iq1_mLi1EXadL_ZL18vec_dot_iq1_m_q8_1PKvPK10block_q8_1RKiEEEvS2_S2_PT_PS6_iiii,"axG",@progbits,_ZL9moe_vec_qIfLi256ELi8E11block_iq1_mLi1EXadL_ZL18vec_dot_iq1_m_q8_1PKvPK10block_q8_1RKiEEEvS2_S2_PT_PS6_iiii,comdat
.Lfunc_end255:
	.size	_ZL9moe_vec_qIfLi256ELi8E11block_iq1_mLi1EXadL_ZL18vec_dot_iq1_m_q8_1PKvPK10block_q8_1RKiEEEvS2_S2_PT_PS6_iiii, .Lfunc_end255-_ZL9moe_vec_qIfLi256ELi8E11block_iq1_mLi1EXadL_ZL18vec_dot_iq1_m_q8_1PKvPK10block_q8_1RKiEEEvS2_S2_PT_PS6_iiii
                                        ; -- End function
	.set _ZL9moe_vec_qIfLi256ELi8E11block_iq1_mLi1EXadL_ZL18vec_dot_iq1_m_q8_1PKvPK10block_q8_1RKiEEEvS2_S2_PT_PS6_iiii.num_vgpr, 34
	.set _ZL9moe_vec_qIfLi256ELi8E11block_iq1_mLi1EXadL_ZL18vec_dot_iq1_m_q8_1PKvPK10block_q8_1RKiEEEvS2_S2_PT_PS6_iiii.num_agpr, 0
	.set _ZL9moe_vec_qIfLi256ELi8E11block_iq1_mLi1EXadL_ZL18vec_dot_iq1_m_q8_1PKvPK10block_q8_1RKiEEEvS2_S2_PT_PS6_iiii.numbered_sgpr, 20
	.set _ZL9moe_vec_qIfLi256ELi8E11block_iq1_mLi1EXadL_ZL18vec_dot_iq1_m_q8_1PKvPK10block_q8_1RKiEEEvS2_S2_PT_PS6_iiii.num_named_barrier, 0
	.set _ZL9moe_vec_qIfLi256ELi8E11block_iq1_mLi1EXadL_ZL18vec_dot_iq1_m_q8_1PKvPK10block_q8_1RKiEEEvS2_S2_PT_PS6_iiii.private_seg_size, 0
	.set _ZL9moe_vec_qIfLi256ELi8E11block_iq1_mLi1EXadL_ZL18vec_dot_iq1_m_q8_1PKvPK10block_q8_1RKiEEEvS2_S2_PT_PS6_iiii.uses_vcc, 1
	.set _ZL9moe_vec_qIfLi256ELi8E11block_iq1_mLi1EXadL_ZL18vec_dot_iq1_m_q8_1PKvPK10block_q8_1RKiEEEvS2_S2_PT_PS6_iiii.uses_flat_scratch, 0
	.set _ZL9moe_vec_qIfLi256ELi8E11block_iq1_mLi1EXadL_ZL18vec_dot_iq1_m_q8_1PKvPK10block_q8_1RKiEEEvS2_S2_PT_PS6_iiii.has_dyn_sized_stack, 0
	.set _ZL9moe_vec_qIfLi256ELi8E11block_iq1_mLi1EXadL_ZL18vec_dot_iq1_m_q8_1PKvPK10block_q8_1RKiEEEvS2_S2_PT_PS6_iiii.has_recursion, 0
	.set _ZL9moe_vec_qIfLi256ELi8E11block_iq1_mLi1EXadL_ZL18vec_dot_iq1_m_q8_1PKvPK10block_q8_1RKiEEEvS2_S2_PT_PS6_iiii.has_indirect_call, 0
	.section	.AMDGPU.csdata,"",@progbits
; Kernel info:
; codeLenInByte = 1452
; TotalNumSgprs: 24
; NumVgprs: 34
; ScratchSize: 0
; MemoryBound: 0
; FloatMode: 240
; IeeeMode: 1
; LDSByteSize: 0 bytes/workgroup (compile time only)
; SGPRBlocks: 2
; VGPRBlocks: 8
; NumSGPRsForWavesPerEU: 24
; NumVGPRsForWavesPerEU: 34
; Occupancy: 7
; WaveLimiterHint : 1
; COMPUTE_PGM_RSRC2:SCRATCH_EN: 0
; COMPUTE_PGM_RSRC2:USER_SGPR: 6
; COMPUTE_PGM_RSRC2:TRAP_HANDLER: 0
; COMPUTE_PGM_RSRC2:TGID_X_EN: 1
; COMPUTE_PGM_RSRC2:TGID_Y_EN: 0
; COMPUTE_PGM_RSRC2:TGID_Z_EN: 1
; COMPUTE_PGM_RSRC2:TIDIG_COMP_CNT: 1
	.section	.text._ZL9moe_vec_qIN3c104HalfELi32ELi4E10block_q4_0Li2EXadL_ZL17vec_dot_q4_0_q8_1PKvPK10block_q8_1RKiEEEvS4_S4_PT_PS8_iiii,"axG",@progbits,_ZL9moe_vec_qIN3c104HalfELi32ELi4E10block_q4_0Li2EXadL_ZL17vec_dot_q4_0_q8_1PKvPK10block_q8_1RKiEEEvS4_S4_PT_PS8_iiii,comdat
	.globl	_ZL9moe_vec_qIN3c104HalfELi32ELi4E10block_q4_0Li2EXadL_ZL17vec_dot_q4_0_q8_1PKvPK10block_q8_1RKiEEEvS4_S4_PT_PS8_iiii ; -- Begin function _ZL9moe_vec_qIN3c104HalfELi32ELi4E10block_q4_0Li2EXadL_ZL17vec_dot_q4_0_q8_1PKvPK10block_q8_1RKiEEEvS4_S4_PT_PS8_iiii
	.p2align	8
	.type	_ZL9moe_vec_qIN3c104HalfELi32ELi4E10block_q4_0Li2EXadL_ZL17vec_dot_q4_0_q8_1PKvPK10block_q8_1RKiEEEvS4_S4_PT_PS8_iiii,@function
_ZL9moe_vec_qIN3c104HalfELi32ELi4E10block_q4_0Li2EXadL_ZL17vec_dot_q4_0_q8_1PKvPK10block_q8_1RKiEEEvS4_S4_PT_PS8_iiii: ; @_ZL9moe_vec_qIN3c104HalfELi32ELi4E10block_q4_0Li2EXadL_ZL17vec_dot_q4_0_q8_1PKvPK10block_q8_1RKiEEEvS4_S4_PT_PS8_iiii
; %bb.0:
	s_mov_b32 s8, s7
	s_load_dword s7, s[4:5], 0x3c
	s_load_dwordx4 s[0:3], s[4:5], 0x20
	s_waitcnt lgkmcnt(0)
	s_lshr_b32 s7, s7, 16
	s_mul_i32 s6, s6, s7
	v_add_u32_e32 v1, s6, v1
	v_cmp_gt_u32_e32 vcc, s2, v1
	s_and_saveexec_b64 s[6:7], vcc
	s_cbranch_execz .LBB256_7
; %bb.1:
	v_cvt_f32_u32_e32 v2, s0
	s_load_dwordx2 s[6:7], s[4:5], 0x10
	s_ashr_i32 s9, s1, 31
	s_lshr_b32 s9, s9, 27
	v_rcp_iflag_f32_e32 v3, v2
	s_add_i32 s1, s1, s9
	v_lshrrev_b32_e32 v2, 1, v0
	s_ashr_i32 s14, s1, 5
	v_mul_f32_e32 v3, 0x4f7ffffe, v3
	v_cvt_u32_f32_e32 v3, v3
	v_cmp_gt_u32_e32 vcc, s14, v2
	v_readfirstlane_b32 s1, v3
	v_mov_b32_e32 v3, 0
	s_and_saveexec_b64 s[10:11], vcc
	s_cbranch_execz .LBB256_5
; %bb.2:
	s_sub_i32 s12, 0, s0
	s_mul_i32 s15, s12, s1
	s_load_dwordx4 s[16:19], s[4:5], 0x0
	s_load_dwordx2 s[12:13], s[4:5], 0x18
	s_mov_b32 s9, 0
	s_mul_hi_u32 s4, s1, s15
	s_add_i32 s1, s1, s4
	s_lshl_b64 s[4:5], s[8:9], 2
	s_waitcnt lgkmcnt(0)
	s_add_u32 s4, s12, s4
	s_mul_hi_u32 s1, s8, s1
	s_addc_u32 s5, s13, s5
	s_load_dword s4, s[4:5], 0x0
	s_mul_i32 s5, s1, s0
	s_sub_i32 s5, s8, s5
	s_add_i32 s12, s1, 1
	s_sub_i32 s13, s5, s0
	s_cmp_ge_u32 s5, s0
	s_cselect_b32 s1, s12, s1
	s_cselect_b32 s5, s13, s5
	s_add_i32 s12, s1, 1
	s_cmp_ge_u32 s5, s0
	s_mul_i32 s0, s14, s2
	s_waitcnt lgkmcnt(0)
	s_mul_i32 s0, s0, s4
	s_cselect_b32 s5, s12, s1
	s_mul_hi_i32 s1, s0, 18
	s_mul_i32 s0, s0, 18
	s_add_u32 s0, s16, s0
	s_mul_i32 s4, s5, s3
	s_mov_b32 s5, s9
	v_mul_lo_u32 v4, v1, s14
	s_addc_u32 s1, s17, s1
	s_lshl_b64 s[4:5], s[4:5], 2
	s_add_u32 s4, s18, s4
	v_lshlrev_b32_e32 v3, 3, v0
	s_addc_u32 s5, s19, s5
	v_and_b32_e32 v5, 8, v3
	v_mov_b32_e32 v3, 0
	s_mov_b64 s[12:13], 0
.LBB256_3:                              ; =>This Inner Loop Header: Depth=1
	v_mad_i64_i32 v[6:7], s[16:17], v2, 36, s[4:5]
	v_add_u32_e32 v8, v4, v2
	v_mad_i64_i32 v[8:9], s[16:17], v8, 18, s[0:1]
	v_add_co_u32_e32 v10, vcc, v6, v5
	v_addc_co_u32_e32 v11, vcc, 0, v7, vcc
	v_add_co_u32_e32 v12, vcc, v8, v5
	v_addc_co_u32_e32 v13, vcc, 0, v9, vcc
	global_load_dwordx2 v[14:15], v[10:11], off offset:4
	global_load_dwordx2 v[16:17], v[10:11], off offset:20
	;; [unrolled: 1-line block ×3, first 2 shown]
	global_load_dword v20, v[6:7], off
	global_load_ushort v21, v[8:9], off
	v_add_u32_e32 v2, 32, v2
	v_cmp_le_u32_e32 vcc, s14, v2
	s_or_b64 s[12:13], vcc, s[12:13]
	s_waitcnt vmcnt(2)
	v_and_b32_e32 v7, 0xf0f0f0f, v18
	v_lshrrev_b32_e32 v8, 4, v18
	v_and_b32_e32 v8, 0xf0f0f0f, v8
	v_dot4_i32_i8 v7, v7, v14, 0
	v_and_b32_e32 v9, 0xf0f0f0f, v19
	v_lshrrev_b32_e32 v10, 4, v19
	v_dot4_i32_i8 v7, v8, v16, v7
	v_and_b32_e32 v10, 0xf0f0f0f, v10
	v_dot4_i32_i8 v7, v9, v15, v7
	s_waitcnt vmcnt(1)
	v_cvt_f32_f16_sdwa v6, v20 dst_sel:DWORD dst_unused:UNUSED_PAD src0_sel:WORD_1
	v_dot4_i32_i8 v7, v10, v17, v7
	v_cvt_f32_i32_e32 v7, v7
	v_mul_f32_e32 v6, -4.0, v6
	v_fma_mix_f32 v6, v7, v20, v6 op_sel_hi:[0,1,0]
	s_waitcnt vmcnt(0)
	v_fma_mix_f32 v3, v6, v21, v3 op_sel_hi:[0,1,0]
	s_andn2_b64 exec, exec, s[12:13]
	s_cbranch_execnz .LBB256_3
; %bb.4:
	s_or_b64 exec, exec, s[12:13]
.LBB256_5:
	s_or_b64 exec, exec, s[10:11]
	v_mbcnt_lo_u32_b32 v2, -1, 0
	v_mbcnt_hi_u32_b32 v4, -1, v2
	v_and_b32_e32 v2, 64, v4
	v_add_u32_e32 v5, 64, v2
	v_xor_b32_e32 v2, 32, v4
	v_cmp_lt_i32_e32 vcc, v2, v5
	v_cndmask_b32_e32 v2, v4, v2, vcc
	v_lshlrev_b32_e32 v2, 2, v2
	ds_bpermute_b32 v2, v2, v3
	v_xor_b32_e32 v6, 16, v4
	v_cmp_lt_i32_e32 vcc, v6, v5
	s_waitcnt lgkmcnt(0)
	v_add_f32_e32 v2, v3, v2
	v_cndmask_b32_e32 v3, v4, v6, vcc
	v_lshlrev_b32_e32 v3, 2, v3
	ds_bpermute_b32 v3, v3, v2
	v_xor_b32_e32 v6, 8, v4
	v_cmp_lt_i32_e32 vcc, v6, v5
	s_waitcnt lgkmcnt(0)
	v_add_f32_e32 v2, v2, v3
	;; [unrolled: 7-line block ×5, first 2 shown]
	v_cndmask_b32_e32 v3, v4, v6, vcc
	v_lshlrev_b32_e32 v3, 2, v3
	ds_bpermute_b32 v3, v3, v2
	v_cmp_eq_u32_e32 vcc, 0, v0
	s_and_b64 exec, exec, vcc
	s_cbranch_execz .LBB256_7
; %bb.6:
	s_waitcnt lgkmcnt(0)
	v_add_f32_e32 v0, v2, v3
	s_mul_i32 s0, s2, s8
	v_cvt_f16_f32_e32 v2, v0
	v_add_u32_e32 v0, s0, v1
	v_mov_b32_e32 v1, 0
	v_lshlrev_b64 v[0:1], 1, v[0:1]
	v_mov_b32_e32 v3, s7
	v_add_co_u32_e32 v0, vcc, s6, v0
	v_addc_co_u32_e32 v1, vcc, v3, v1, vcc
	global_store_short v[0:1], v2, off
.LBB256_7:
	s_endpgm
	.section	.rodata,"a",@progbits
	.p2align	6, 0x0
	.amdhsa_kernel _ZL9moe_vec_qIN3c104HalfELi32ELi4E10block_q4_0Li2EXadL_ZL17vec_dot_q4_0_q8_1PKvPK10block_q8_1RKiEEEvS4_S4_PT_PS8_iiii
		.amdhsa_group_segment_fixed_size 0
		.amdhsa_private_segment_fixed_size 0
		.amdhsa_kernarg_size 304
		.amdhsa_user_sgpr_count 6
		.amdhsa_user_sgpr_private_segment_buffer 1
		.amdhsa_user_sgpr_dispatch_ptr 0
		.amdhsa_user_sgpr_queue_ptr 0
		.amdhsa_user_sgpr_kernarg_segment_ptr 1
		.amdhsa_user_sgpr_dispatch_id 0
		.amdhsa_user_sgpr_flat_scratch_init 0
		.amdhsa_user_sgpr_private_segment_size 0
		.amdhsa_uses_dynamic_stack 0
		.amdhsa_system_sgpr_private_segment_wavefront_offset 0
		.amdhsa_system_sgpr_workgroup_id_x 1
		.amdhsa_system_sgpr_workgroup_id_y 0
		.amdhsa_system_sgpr_workgroup_id_z 1
		.amdhsa_system_sgpr_workgroup_info 0
		.amdhsa_system_vgpr_workitem_id 1
		.amdhsa_next_free_vgpr 22
		.amdhsa_next_free_sgpr 20
		.amdhsa_reserve_vcc 1
		.amdhsa_reserve_flat_scratch 0
		.amdhsa_float_round_mode_32 0
		.amdhsa_float_round_mode_16_64 0
		.amdhsa_float_denorm_mode_32 3
		.amdhsa_float_denorm_mode_16_64 3
		.amdhsa_dx10_clamp 1
		.amdhsa_ieee_mode 1
		.amdhsa_fp16_overflow 0
		.amdhsa_exception_fp_ieee_invalid_op 0
		.amdhsa_exception_fp_denorm_src 0
		.amdhsa_exception_fp_ieee_div_zero 0
		.amdhsa_exception_fp_ieee_overflow 0
		.amdhsa_exception_fp_ieee_underflow 0
		.amdhsa_exception_fp_ieee_inexact 0
		.amdhsa_exception_int_div_zero 0
	.end_amdhsa_kernel
	.section	.text._ZL9moe_vec_qIN3c104HalfELi32ELi4E10block_q4_0Li2EXadL_ZL17vec_dot_q4_0_q8_1PKvPK10block_q8_1RKiEEEvS4_S4_PT_PS8_iiii,"axG",@progbits,_ZL9moe_vec_qIN3c104HalfELi32ELi4E10block_q4_0Li2EXadL_ZL17vec_dot_q4_0_q8_1PKvPK10block_q8_1RKiEEEvS4_S4_PT_PS8_iiii,comdat
.Lfunc_end256:
	.size	_ZL9moe_vec_qIN3c104HalfELi32ELi4E10block_q4_0Li2EXadL_ZL17vec_dot_q4_0_q8_1PKvPK10block_q8_1RKiEEEvS4_S4_PT_PS8_iiii, .Lfunc_end256-_ZL9moe_vec_qIN3c104HalfELi32ELi4E10block_q4_0Li2EXadL_ZL17vec_dot_q4_0_q8_1PKvPK10block_q8_1RKiEEEvS4_S4_PT_PS8_iiii
                                        ; -- End function
	.set _ZL9moe_vec_qIN3c104HalfELi32ELi4E10block_q4_0Li2EXadL_ZL17vec_dot_q4_0_q8_1PKvPK10block_q8_1RKiEEEvS4_S4_PT_PS8_iiii.num_vgpr, 22
	.set _ZL9moe_vec_qIN3c104HalfELi32ELi4E10block_q4_0Li2EXadL_ZL17vec_dot_q4_0_q8_1PKvPK10block_q8_1RKiEEEvS4_S4_PT_PS8_iiii.num_agpr, 0
	.set _ZL9moe_vec_qIN3c104HalfELi32ELi4E10block_q4_0Li2EXadL_ZL17vec_dot_q4_0_q8_1PKvPK10block_q8_1RKiEEEvS4_S4_PT_PS8_iiii.numbered_sgpr, 20
	.set _ZL9moe_vec_qIN3c104HalfELi32ELi4E10block_q4_0Li2EXadL_ZL17vec_dot_q4_0_q8_1PKvPK10block_q8_1RKiEEEvS4_S4_PT_PS8_iiii.num_named_barrier, 0
	.set _ZL9moe_vec_qIN3c104HalfELi32ELi4E10block_q4_0Li2EXadL_ZL17vec_dot_q4_0_q8_1PKvPK10block_q8_1RKiEEEvS4_S4_PT_PS8_iiii.private_seg_size, 0
	.set _ZL9moe_vec_qIN3c104HalfELi32ELi4E10block_q4_0Li2EXadL_ZL17vec_dot_q4_0_q8_1PKvPK10block_q8_1RKiEEEvS4_S4_PT_PS8_iiii.uses_vcc, 1
	.set _ZL9moe_vec_qIN3c104HalfELi32ELi4E10block_q4_0Li2EXadL_ZL17vec_dot_q4_0_q8_1PKvPK10block_q8_1RKiEEEvS4_S4_PT_PS8_iiii.uses_flat_scratch, 0
	.set _ZL9moe_vec_qIN3c104HalfELi32ELi4E10block_q4_0Li2EXadL_ZL17vec_dot_q4_0_q8_1PKvPK10block_q8_1RKiEEEvS4_S4_PT_PS8_iiii.has_dyn_sized_stack, 0
	.set _ZL9moe_vec_qIN3c104HalfELi32ELi4E10block_q4_0Li2EXadL_ZL17vec_dot_q4_0_q8_1PKvPK10block_q8_1RKiEEEvS4_S4_PT_PS8_iiii.has_recursion, 0
	.set _ZL9moe_vec_qIN3c104HalfELi32ELi4E10block_q4_0Li2EXadL_ZL17vec_dot_q4_0_q8_1PKvPK10block_q8_1RKiEEEvS4_S4_PT_PS8_iiii.has_indirect_call, 0
	.section	.AMDGPU.csdata,"",@progbits
; Kernel info:
; codeLenInByte = 788
; TotalNumSgprs: 24
; NumVgprs: 22
; ScratchSize: 0
; MemoryBound: 0
; FloatMode: 240
; IeeeMode: 1
; LDSByteSize: 0 bytes/workgroup (compile time only)
; SGPRBlocks: 2
; VGPRBlocks: 5
; NumSGPRsForWavesPerEU: 24
; NumVGPRsForWavesPerEU: 22
; Occupancy: 10
; WaveLimiterHint : 1
; COMPUTE_PGM_RSRC2:SCRATCH_EN: 0
; COMPUTE_PGM_RSRC2:USER_SGPR: 6
; COMPUTE_PGM_RSRC2:TRAP_HANDLER: 0
; COMPUTE_PGM_RSRC2:TGID_X_EN: 1
; COMPUTE_PGM_RSRC2:TGID_Y_EN: 0
; COMPUTE_PGM_RSRC2:TGID_Z_EN: 1
; COMPUTE_PGM_RSRC2:TIDIG_COMP_CNT: 1
	.section	.text._ZL9moe_vec_qIN3c104HalfELi32ELi4E10block_q4_1Li2EXadL_ZL17vec_dot_q4_1_q8_1PKvPK10block_q8_1RKiEEEvS4_S4_PT_PS8_iiii,"axG",@progbits,_ZL9moe_vec_qIN3c104HalfELi32ELi4E10block_q4_1Li2EXadL_ZL17vec_dot_q4_1_q8_1PKvPK10block_q8_1RKiEEEvS4_S4_PT_PS8_iiii,comdat
	.globl	_ZL9moe_vec_qIN3c104HalfELi32ELi4E10block_q4_1Li2EXadL_ZL17vec_dot_q4_1_q8_1PKvPK10block_q8_1RKiEEEvS4_S4_PT_PS8_iiii ; -- Begin function _ZL9moe_vec_qIN3c104HalfELi32ELi4E10block_q4_1Li2EXadL_ZL17vec_dot_q4_1_q8_1PKvPK10block_q8_1RKiEEEvS4_S4_PT_PS8_iiii
	.p2align	8
	.type	_ZL9moe_vec_qIN3c104HalfELi32ELi4E10block_q4_1Li2EXadL_ZL17vec_dot_q4_1_q8_1PKvPK10block_q8_1RKiEEEvS4_S4_PT_PS8_iiii,@function
_ZL9moe_vec_qIN3c104HalfELi32ELi4E10block_q4_1Li2EXadL_ZL17vec_dot_q4_1_q8_1PKvPK10block_q8_1RKiEEEvS4_S4_PT_PS8_iiii: ; @_ZL9moe_vec_qIN3c104HalfELi32ELi4E10block_q4_1Li2EXadL_ZL17vec_dot_q4_1_q8_1PKvPK10block_q8_1RKiEEEvS4_S4_PT_PS8_iiii
; %bb.0:
	s_mov_b32 s8, s7
	s_load_dword s7, s[4:5], 0x3c
	s_load_dwordx4 s[0:3], s[4:5], 0x20
	s_waitcnt lgkmcnt(0)
	s_lshr_b32 s7, s7, 16
	s_mul_i32 s6, s6, s7
	v_add_u32_e32 v1, s6, v1
	v_cmp_gt_u32_e32 vcc, s2, v1
	s_and_saveexec_b64 s[6:7], vcc
	s_cbranch_execz .LBB257_7
; %bb.1:
	v_cvt_f32_u32_e32 v2, s0
	s_load_dwordx2 s[6:7], s[4:5], 0x10
	s_ashr_i32 s9, s1, 31
	s_lshr_b32 s9, s9, 27
	v_rcp_iflag_f32_e32 v3, v2
	s_add_i32 s1, s1, s9
	v_lshrrev_b32_e32 v2, 1, v0
	s_ashr_i32 s14, s1, 5
	v_mul_f32_e32 v3, 0x4f7ffffe, v3
	v_cvt_u32_f32_e32 v3, v3
	v_cmp_gt_u32_e32 vcc, s14, v2
	v_readfirstlane_b32 s1, v3
	v_mov_b32_e32 v3, 0
	s_and_saveexec_b64 s[10:11], vcc
	s_cbranch_execz .LBB257_5
; %bb.2:
	s_sub_i32 s12, 0, s0
	s_mul_i32 s15, s12, s1
	s_load_dwordx4 s[16:19], s[4:5], 0x0
	s_load_dwordx2 s[12:13], s[4:5], 0x18
	s_mov_b32 s9, 0
	s_mul_hi_u32 s4, s1, s15
	s_add_i32 s1, s1, s4
	s_lshl_b64 s[4:5], s[8:9], 2
	s_waitcnt lgkmcnt(0)
	s_add_u32 s4, s12, s4
	s_mul_hi_u32 s1, s8, s1
	s_addc_u32 s5, s13, s5
	s_load_dword s4, s[4:5], 0x0
	s_mul_i32 s5, s1, s0
	s_sub_i32 s5, s8, s5
	s_add_i32 s12, s1, 1
	s_sub_i32 s13, s5, s0
	s_cmp_ge_u32 s5, s0
	s_cselect_b32 s1, s12, s1
	s_cselect_b32 s5, s13, s5
	s_add_i32 s12, s1, 1
	s_cmp_ge_u32 s5, s0
	s_mul_i32 s0, s14, s2
	s_waitcnt lgkmcnt(0)
	s_mul_i32 s0, s0, s4
	s_cselect_b32 s5, s12, s1
	s_mul_hi_i32 s1, s0, 20
	s_mul_i32 s0, s0, 20
	s_add_u32 s0, s16, s0
	s_mul_i32 s4, s5, s3
	s_mov_b32 s5, s9
	v_mul_lo_u32 v4, v1, s14
	s_addc_u32 s1, s17, s1
	s_lshl_b64 s[4:5], s[4:5], 2
	s_add_u32 s4, s18, s4
	v_lshlrev_b32_e32 v3, 3, v0
	s_addc_u32 s5, s19, s5
	v_and_b32_e32 v5, 8, v3
	v_mov_b32_e32 v3, 0
	s_mov_b64 s[12:13], 0
.LBB257_3:                              ; =>This Inner Loop Header: Depth=1
	v_mad_i64_i32 v[6:7], s[16:17], v2, 36, s[4:5]
	v_add_u32_e32 v8, v4, v2
	v_mad_i64_i32 v[8:9], s[16:17], v8, 20, s[0:1]
	v_add_co_u32_e32 v10, vcc, v6, v5
	v_addc_co_u32_e32 v11, vcc, 0, v7, vcc
	global_load_dword v18, v[6:7], off
	v_add_co_u32_e32 v6, vcc, v8, v5
	v_addc_co_u32_e32 v7, vcc, 0, v9, vcc
	global_load_dwordx2 v[12:13], v[10:11], off offset:4
	global_load_dwordx2 v[14:15], v[10:11], off offset:20
	;; [unrolled: 1-line block ×3, first 2 shown]
	global_load_dword v19, v[8:9], off
	v_add_u32_e32 v2, 32, v2
	v_cmp_le_u32_e32 vcc, s14, v2
	s_or_b64 s[12:13], vcc, s[12:13]
	s_waitcnt vmcnt(1)
	v_and_b32_e32 v7, 0xf0f0f0f, v16
	v_lshrrev_b32_e32 v8, 4, v16
	v_and_b32_e32 v8, 0xf0f0f0f, v8
	v_dot4_i32_i8 v7, v7, v12, 0
	v_and_b32_e32 v9, 0xf0f0f0f, v17
	v_lshrrev_b32_e32 v10, 4, v17
	v_dot4_i32_i8 v7, v8, v14, v7
	s_waitcnt vmcnt(0)
	v_pk_mul_f16 v6, v19, v18
	v_and_b32_e32 v10, 0xf0f0f0f, v10
	v_dot4_i32_i8 v7, v9, v13, v7
	v_cvt_f32_f16_sdwa v11, v6 dst_sel:DWORD dst_unused:UNUSED_PAD src0_sel:WORD_1
	v_dot4_i32_i8 v7, v10, v15, v7
	v_cvt_f32_i32_e32 v7, v7
	v_mul_f32_e32 v8, 0.5, v11
	v_fma_mix_f32 v6, v7, v6, v8 op_sel_hi:[0,1,0]
	v_add_f32_e32 v3, v3, v6
	s_andn2_b64 exec, exec, s[12:13]
	s_cbranch_execnz .LBB257_3
; %bb.4:
	s_or_b64 exec, exec, s[12:13]
.LBB257_5:
	s_or_b64 exec, exec, s[10:11]
	v_mbcnt_lo_u32_b32 v2, -1, 0
	v_mbcnt_hi_u32_b32 v4, -1, v2
	v_and_b32_e32 v2, 64, v4
	v_add_u32_e32 v5, 64, v2
	v_xor_b32_e32 v2, 32, v4
	v_cmp_lt_i32_e32 vcc, v2, v5
	v_cndmask_b32_e32 v2, v4, v2, vcc
	v_lshlrev_b32_e32 v2, 2, v2
	ds_bpermute_b32 v2, v2, v3
	v_xor_b32_e32 v6, 16, v4
	v_cmp_lt_i32_e32 vcc, v6, v5
	s_waitcnt lgkmcnt(0)
	v_add_f32_e32 v2, v3, v2
	v_cndmask_b32_e32 v3, v4, v6, vcc
	v_lshlrev_b32_e32 v3, 2, v3
	ds_bpermute_b32 v3, v3, v2
	v_xor_b32_e32 v6, 8, v4
	v_cmp_lt_i32_e32 vcc, v6, v5
	s_waitcnt lgkmcnt(0)
	v_add_f32_e32 v2, v2, v3
	;; [unrolled: 7-line block ×5, first 2 shown]
	v_cndmask_b32_e32 v3, v4, v6, vcc
	v_lshlrev_b32_e32 v3, 2, v3
	ds_bpermute_b32 v3, v3, v2
	v_cmp_eq_u32_e32 vcc, 0, v0
	s_and_b64 exec, exec, vcc
	s_cbranch_execz .LBB257_7
; %bb.6:
	s_waitcnt lgkmcnt(0)
	v_add_f32_e32 v0, v2, v3
	s_mul_i32 s0, s2, s8
	v_cvt_f16_f32_e32 v2, v0
	v_add_u32_e32 v0, s0, v1
	v_mov_b32_e32 v1, 0
	v_lshlrev_b64 v[0:1], 1, v[0:1]
	v_mov_b32_e32 v3, s7
	v_add_co_u32_e32 v0, vcc, s6, v0
	v_addc_co_u32_e32 v1, vcc, v3, v1, vcc
	global_store_short v[0:1], v2, off
.LBB257_7:
	s_endpgm
	.section	.rodata,"a",@progbits
	.p2align	6, 0x0
	.amdhsa_kernel _ZL9moe_vec_qIN3c104HalfELi32ELi4E10block_q4_1Li2EXadL_ZL17vec_dot_q4_1_q8_1PKvPK10block_q8_1RKiEEEvS4_S4_PT_PS8_iiii
		.amdhsa_group_segment_fixed_size 0
		.amdhsa_private_segment_fixed_size 0
		.amdhsa_kernarg_size 304
		.amdhsa_user_sgpr_count 6
		.amdhsa_user_sgpr_private_segment_buffer 1
		.amdhsa_user_sgpr_dispatch_ptr 0
		.amdhsa_user_sgpr_queue_ptr 0
		.amdhsa_user_sgpr_kernarg_segment_ptr 1
		.amdhsa_user_sgpr_dispatch_id 0
		.amdhsa_user_sgpr_flat_scratch_init 0
		.amdhsa_user_sgpr_private_segment_size 0
		.amdhsa_uses_dynamic_stack 0
		.amdhsa_system_sgpr_private_segment_wavefront_offset 0
		.amdhsa_system_sgpr_workgroup_id_x 1
		.amdhsa_system_sgpr_workgroup_id_y 0
		.amdhsa_system_sgpr_workgroup_id_z 1
		.amdhsa_system_sgpr_workgroup_info 0
		.amdhsa_system_vgpr_workitem_id 1
		.amdhsa_next_free_vgpr 20
		.amdhsa_next_free_sgpr 20
		.amdhsa_reserve_vcc 1
		.amdhsa_reserve_flat_scratch 0
		.amdhsa_float_round_mode_32 0
		.amdhsa_float_round_mode_16_64 0
		.amdhsa_float_denorm_mode_32 3
		.amdhsa_float_denorm_mode_16_64 3
		.amdhsa_dx10_clamp 1
		.amdhsa_ieee_mode 1
		.amdhsa_fp16_overflow 0
		.amdhsa_exception_fp_ieee_invalid_op 0
		.amdhsa_exception_fp_denorm_src 0
		.amdhsa_exception_fp_ieee_div_zero 0
		.amdhsa_exception_fp_ieee_overflow 0
		.amdhsa_exception_fp_ieee_underflow 0
		.amdhsa_exception_fp_ieee_inexact 0
		.amdhsa_exception_int_div_zero 0
	.end_amdhsa_kernel
	.section	.text._ZL9moe_vec_qIN3c104HalfELi32ELi4E10block_q4_1Li2EXadL_ZL17vec_dot_q4_1_q8_1PKvPK10block_q8_1RKiEEEvS4_S4_PT_PS8_iiii,"axG",@progbits,_ZL9moe_vec_qIN3c104HalfELi32ELi4E10block_q4_1Li2EXadL_ZL17vec_dot_q4_1_q8_1PKvPK10block_q8_1RKiEEEvS4_S4_PT_PS8_iiii,comdat
.Lfunc_end257:
	.size	_ZL9moe_vec_qIN3c104HalfELi32ELi4E10block_q4_1Li2EXadL_ZL17vec_dot_q4_1_q8_1PKvPK10block_q8_1RKiEEEvS4_S4_PT_PS8_iiii, .Lfunc_end257-_ZL9moe_vec_qIN3c104HalfELi32ELi4E10block_q4_1Li2EXadL_ZL17vec_dot_q4_1_q8_1PKvPK10block_q8_1RKiEEEvS4_S4_PT_PS8_iiii
                                        ; -- End function
	.set _ZL9moe_vec_qIN3c104HalfELi32ELi4E10block_q4_1Li2EXadL_ZL17vec_dot_q4_1_q8_1PKvPK10block_q8_1RKiEEEvS4_S4_PT_PS8_iiii.num_vgpr, 20
	.set _ZL9moe_vec_qIN3c104HalfELi32ELi4E10block_q4_1Li2EXadL_ZL17vec_dot_q4_1_q8_1PKvPK10block_q8_1RKiEEEvS4_S4_PT_PS8_iiii.num_agpr, 0
	.set _ZL9moe_vec_qIN3c104HalfELi32ELi4E10block_q4_1Li2EXadL_ZL17vec_dot_q4_1_q8_1PKvPK10block_q8_1RKiEEEvS4_S4_PT_PS8_iiii.numbered_sgpr, 20
	.set _ZL9moe_vec_qIN3c104HalfELi32ELi4E10block_q4_1Li2EXadL_ZL17vec_dot_q4_1_q8_1PKvPK10block_q8_1RKiEEEvS4_S4_PT_PS8_iiii.num_named_barrier, 0
	.set _ZL9moe_vec_qIN3c104HalfELi32ELi4E10block_q4_1Li2EXadL_ZL17vec_dot_q4_1_q8_1PKvPK10block_q8_1RKiEEEvS4_S4_PT_PS8_iiii.private_seg_size, 0
	.set _ZL9moe_vec_qIN3c104HalfELi32ELi4E10block_q4_1Li2EXadL_ZL17vec_dot_q4_1_q8_1PKvPK10block_q8_1RKiEEEvS4_S4_PT_PS8_iiii.uses_vcc, 1
	.set _ZL9moe_vec_qIN3c104HalfELi32ELi4E10block_q4_1Li2EXadL_ZL17vec_dot_q4_1_q8_1PKvPK10block_q8_1RKiEEEvS4_S4_PT_PS8_iiii.uses_flat_scratch, 0
	.set _ZL9moe_vec_qIN3c104HalfELi32ELi4E10block_q4_1Li2EXadL_ZL17vec_dot_q4_1_q8_1PKvPK10block_q8_1RKiEEEvS4_S4_PT_PS8_iiii.has_dyn_sized_stack, 0
	.set _ZL9moe_vec_qIN3c104HalfELi32ELi4E10block_q4_1Li2EXadL_ZL17vec_dot_q4_1_q8_1PKvPK10block_q8_1RKiEEEvS4_S4_PT_PS8_iiii.has_recursion, 0
	.set _ZL9moe_vec_qIN3c104HalfELi32ELi4E10block_q4_1Li2EXadL_ZL17vec_dot_q4_1_q8_1PKvPK10block_q8_1RKiEEEvS4_S4_PT_PS8_iiii.has_indirect_call, 0
	.section	.AMDGPU.csdata,"",@progbits
; Kernel info:
; codeLenInByte = 788
; TotalNumSgprs: 24
; NumVgprs: 20
; ScratchSize: 0
; MemoryBound: 0
; FloatMode: 240
; IeeeMode: 1
; LDSByteSize: 0 bytes/workgroup (compile time only)
; SGPRBlocks: 2
; VGPRBlocks: 4
; NumSGPRsForWavesPerEU: 24
; NumVGPRsForWavesPerEU: 20
; Occupancy: 10
; WaveLimiterHint : 1
; COMPUTE_PGM_RSRC2:SCRATCH_EN: 0
; COMPUTE_PGM_RSRC2:USER_SGPR: 6
; COMPUTE_PGM_RSRC2:TRAP_HANDLER: 0
; COMPUTE_PGM_RSRC2:TGID_X_EN: 1
; COMPUTE_PGM_RSRC2:TGID_Y_EN: 0
; COMPUTE_PGM_RSRC2:TGID_Z_EN: 1
; COMPUTE_PGM_RSRC2:TIDIG_COMP_CNT: 1
	.section	.text._ZL9moe_vec_qIN3c104HalfELi32ELi4E10block_q5_0Li2EXadL_ZL17vec_dot_q5_0_q8_1PKvPK10block_q8_1RKiEEEvS4_S4_PT_PS8_iiii,"axG",@progbits,_ZL9moe_vec_qIN3c104HalfELi32ELi4E10block_q5_0Li2EXadL_ZL17vec_dot_q5_0_q8_1PKvPK10block_q8_1RKiEEEvS4_S4_PT_PS8_iiii,comdat
	.globl	_ZL9moe_vec_qIN3c104HalfELi32ELi4E10block_q5_0Li2EXadL_ZL17vec_dot_q5_0_q8_1PKvPK10block_q8_1RKiEEEvS4_S4_PT_PS8_iiii ; -- Begin function _ZL9moe_vec_qIN3c104HalfELi32ELi4E10block_q5_0Li2EXadL_ZL17vec_dot_q5_0_q8_1PKvPK10block_q8_1RKiEEEvS4_S4_PT_PS8_iiii
	.p2align	8
	.type	_ZL9moe_vec_qIN3c104HalfELi32ELi4E10block_q5_0Li2EXadL_ZL17vec_dot_q5_0_q8_1PKvPK10block_q8_1RKiEEEvS4_S4_PT_PS8_iiii,@function
_ZL9moe_vec_qIN3c104HalfELi32ELi4E10block_q5_0Li2EXadL_ZL17vec_dot_q5_0_q8_1PKvPK10block_q8_1RKiEEEvS4_S4_PT_PS8_iiii: ; @_ZL9moe_vec_qIN3c104HalfELi32ELi4E10block_q5_0Li2EXadL_ZL17vec_dot_q5_0_q8_1PKvPK10block_q8_1RKiEEEvS4_S4_PT_PS8_iiii
; %bb.0:
	s_mov_b32 s8, s7
	s_load_dword s7, s[4:5], 0x3c
	s_load_dwordx4 s[0:3], s[4:5], 0x20
	s_waitcnt lgkmcnt(0)
	s_lshr_b32 s7, s7, 16
	s_mul_i32 s6, s6, s7
	v_add_u32_e32 v1, s6, v1
	v_cmp_gt_u32_e32 vcc, s2, v1
	s_and_saveexec_b64 s[6:7], vcc
	s_cbranch_execz .LBB258_7
; %bb.1:
	v_cvt_f32_u32_e32 v2, s0
	s_load_dwordx2 s[6:7], s[4:5], 0x10
	s_ashr_i32 s9, s1, 31
	s_lshr_b32 s9, s9, 27
	v_rcp_iflag_f32_e32 v3, v2
	s_add_i32 s1, s1, s9
	v_lshrrev_b32_e32 v2, 1, v0
	s_ashr_i32 s14, s1, 5
	v_mul_f32_e32 v3, 0x4f7ffffe, v3
	v_cvt_u32_f32_e32 v3, v3
	v_cmp_gt_u32_e32 vcc, s14, v2
	v_readfirstlane_b32 s1, v3
	v_mov_b32_e32 v3, 0
	s_and_saveexec_b64 s[10:11], vcc
	s_cbranch_execz .LBB258_5
; %bb.2:
	s_sub_i32 s12, 0, s0
	s_mul_i32 s15, s12, s1
	s_load_dwordx4 s[16:19], s[4:5], 0x0
	s_load_dwordx2 s[12:13], s[4:5], 0x18
	s_mov_b32 s9, 0
	s_mul_hi_u32 s4, s1, s15
	s_add_i32 s1, s1, s4
	s_lshl_b64 s[4:5], s[8:9], 2
	s_waitcnt lgkmcnt(0)
	s_add_u32 s4, s12, s4
	s_mul_hi_u32 s1, s8, s1
	s_addc_u32 s5, s13, s5
	s_load_dword s4, s[4:5], 0x0
	s_mul_i32 s5, s1, s0
	s_sub_i32 s5, s8, s5
	s_add_i32 s12, s1, 1
	s_sub_i32 s13, s5, s0
	s_cmp_ge_u32 s5, s0
	s_cselect_b32 s1, s12, s1
	s_cselect_b32 s5, s13, s5
	s_add_i32 s12, s1, 1
	s_cmp_ge_u32 s5, s0
	s_mul_i32 s0, s14, s2
	s_waitcnt lgkmcnt(0)
	s_mul_i32 s0, s0, s4
	s_cselect_b32 s5, s12, s1
	s_mul_hi_i32 s1, s0, 22
	s_mul_i32 s0, s0, 22
	s_add_u32 s0, s16, s0
	s_mul_i32 s4, s5, s3
	s_mov_b32 s5, s9
	v_mul_lo_u32 v4, v1, s14
	s_addc_u32 s1, s17, s1
	s_lshl_b64 s[4:5], s[4:5], 2
	v_lshlrev_b32_e32 v3, 3, v0
	s_add_u32 s4, s18, s4
	v_and_b32_e32 v5, 8, v3
	s_addc_u32 s5, s19, s5
	v_mov_b32_e32 v3, 0
	v_or_b32_e32 v6, 4, v5
	s_mov_b64 s[12:13], 0
.LBB258_3:                              ; =>This Inner Loop Header: Depth=1
	v_mad_i64_i32 v[7:8], s[16:17], v2, 36, s[4:5]
	v_add_u32_e32 v9, v4, v2
	v_mad_i64_i32 v[9:10], s[16:17], v9, 22, s[0:1]
	v_add_co_u32_e32 v11, vcc, v7, v5
	v_addc_co_u32_e32 v12, vcc, 0, v8, vcc
	v_add_co_u32_e32 v13, vcc, v9, v5
	v_addc_co_u32_e32 v14, vcc, 0, v10, vcc
	global_load_dword v17, v[9:10], off offset:2
	global_load_ushort v18, v[9:10], off
	global_load_dwordx2 v[15:16], v[13:14], off offset:6
	v_add_u32_e32 v2, 32, v2
	v_cmp_le_u32_e32 vcc, s14, v2
	s_or_b64 s[12:13], vcc, s[12:13]
	s_waitcnt vmcnt(2)
	v_ashrrev_i32_e32 v19, v5, v17
	v_lshlrev_b32_e32 v10, 4, v19
	v_lshlrev_b32_e32 v13, 11, v19
	v_lshrrev_b32_e32 v14, 12, v19
	v_lshrrev_b32_e32 v20, 5, v19
	v_lshlrev_b32_e32 v21, 2, v19
	v_ashrrev_i32_e32 v17, v6, v17
	s_waitcnt vmcnt(0)
	v_and_b32_e32 v9, 0xf0f0f0f, v15
	v_and_b32_e32 v10, 16, v10
	v_and_b32_e32 v13, 0x1000, v13
	v_and_b32_e32 v14, 16, v14
	v_and_b32_e32 v20, 0x1000, v20
	v_and_b32_e32 v21, 0x100000, v21
	v_or3_b32 v9, v10, v9, v13
	v_lshlrev_b32_e32 v10, 4, v17
	v_lshlrev_b32_e32 v13, 11, v17
	v_or3_b32 v20, v20, v14, v21
	v_lshlrev_b32_e32 v14, 18, v17
	v_and_b32_e32 v10, 16, v10
	v_and_b32_e32 v13, 0x1000, v13
	;; [unrolled: 1-line block ×3, first 2 shown]
	v_lshrrev_b32_e32 v21, 12, v17
	v_or3_b32 v22, v13, v10, v14
	v_lshrrev_b32_e32 v10, 5, v17
	v_lshlrev_b32_e32 v13, 2, v17
	v_and_b32_e32 v14, 16, v21
	v_and_b32_e32 v10, 0x1000, v10
	;; [unrolled: 1-line block ×3, first 2 shown]
	v_or3_b32 v21, v10, v14, v13
	v_lshlrev_b32_e32 v10, 18, v19
	v_lshlrev_b32_e32 v13, 25, v19
	v_and_b32_e32 v10, 0x100000, v10
	v_and_b32_e32 v13, 0x10000000, v13
	v_or3_b32 v23, v9, v10, v13
	global_load_dwordx2 v[9:10], v[11:12], off offset:4
	global_load_dwordx2 v[13:14], v[11:12], off offset:20
	global_load_dword v24, v[7:8], off
	v_lshrrev_b32_e32 v7, 4, v15
	v_lshlrev_b32_e32 v8, 9, v19
	v_and_b32_e32 v7, 0xf0f0f0f, v7
	v_and_b32_e32 v8, 0x10000000, v8
	v_lshlrev_b32_e32 v15, 25, v17
	v_or3_b32 v7, v20, v8, v7
	v_and_b32_e32 v11, 0xf0f0f0f, v16
	v_lshrrev_b32_e32 v12, 4, v16
	v_lshlrev_b32_e32 v16, 9, v17
	v_and_b32_e32 v15, 0x10000000, v15
	v_and_b32_e32 v12, 0xf0f0f0f, v12
	;; [unrolled: 1-line block ×3, first 2 shown]
	v_or3_b32 v11, v22, v15, v11
	v_or3_b32 v12, v21, v16, v12
	s_waitcnt vmcnt(2)
	v_dot4_i32_i8 v9, v23, v9, 0
	s_waitcnt vmcnt(1)
	v_dot4_i32_i8 v7, v7, v13, v9
	v_dot4_i32_i8 v7, v11, v10, v7
	s_waitcnt vmcnt(0)
	v_cvt_f32_f16_sdwa v8, v24 dst_sel:DWORD dst_unused:UNUSED_PAD src0_sel:WORD_1
	v_dot4_i32_i8 v7, v12, v14, v7
	v_cvt_f32_i32_e32 v7, v7
	v_mul_f32_e32 v8, 0xc1000000, v8
	v_fma_mix_f32 v7, v24, v7, v8 op_sel_hi:[1,0,0]
	v_fma_mix_f32 v3, v7, v18, v3 op_sel_hi:[0,1,0]
	s_andn2_b64 exec, exec, s[12:13]
	s_cbranch_execnz .LBB258_3
; %bb.4:
	s_or_b64 exec, exec, s[12:13]
.LBB258_5:
	s_or_b64 exec, exec, s[10:11]
	v_mbcnt_lo_u32_b32 v2, -1, 0
	v_mbcnt_hi_u32_b32 v4, -1, v2
	v_and_b32_e32 v2, 64, v4
	v_add_u32_e32 v5, 64, v2
	v_xor_b32_e32 v2, 32, v4
	v_cmp_lt_i32_e32 vcc, v2, v5
	v_cndmask_b32_e32 v2, v4, v2, vcc
	v_lshlrev_b32_e32 v2, 2, v2
	ds_bpermute_b32 v2, v2, v3
	v_xor_b32_e32 v6, 16, v4
	v_cmp_lt_i32_e32 vcc, v6, v5
	s_waitcnt lgkmcnt(0)
	v_add_f32_e32 v2, v3, v2
	v_cndmask_b32_e32 v3, v4, v6, vcc
	v_lshlrev_b32_e32 v3, 2, v3
	ds_bpermute_b32 v3, v3, v2
	v_xor_b32_e32 v6, 8, v4
	v_cmp_lt_i32_e32 vcc, v6, v5
	s_waitcnt lgkmcnt(0)
	v_add_f32_e32 v2, v2, v3
	;; [unrolled: 7-line block ×5, first 2 shown]
	v_cndmask_b32_e32 v3, v4, v6, vcc
	v_lshlrev_b32_e32 v3, 2, v3
	ds_bpermute_b32 v3, v3, v2
	v_cmp_eq_u32_e32 vcc, 0, v0
	s_and_b64 exec, exec, vcc
	s_cbranch_execz .LBB258_7
; %bb.6:
	s_waitcnt lgkmcnt(0)
	v_add_f32_e32 v0, v2, v3
	s_mul_i32 s0, s2, s8
	v_cvt_f16_f32_e32 v2, v0
	v_add_u32_e32 v0, s0, v1
	v_mov_b32_e32 v1, 0
	v_lshlrev_b64 v[0:1], 1, v[0:1]
	v_mov_b32_e32 v3, s7
	v_add_co_u32_e32 v0, vcc, s6, v0
	v_addc_co_u32_e32 v1, vcc, v3, v1, vcc
	global_store_short v[0:1], v2, off
.LBB258_7:
	s_endpgm
	.section	.rodata,"a",@progbits
	.p2align	6, 0x0
	.amdhsa_kernel _ZL9moe_vec_qIN3c104HalfELi32ELi4E10block_q5_0Li2EXadL_ZL17vec_dot_q5_0_q8_1PKvPK10block_q8_1RKiEEEvS4_S4_PT_PS8_iiii
		.amdhsa_group_segment_fixed_size 0
		.amdhsa_private_segment_fixed_size 0
		.amdhsa_kernarg_size 304
		.amdhsa_user_sgpr_count 6
		.amdhsa_user_sgpr_private_segment_buffer 1
		.amdhsa_user_sgpr_dispatch_ptr 0
		.amdhsa_user_sgpr_queue_ptr 0
		.amdhsa_user_sgpr_kernarg_segment_ptr 1
		.amdhsa_user_sgpr_dispatch_id 0
		.amdhsa_user_sgpr_flat_scratch_init 0
		.amdhsa_user_sgpr_private_segment_size 0
		.amdhsa_uses_dynamic_stack 0
		.amdhsa_system_sgpr_private_segment_wavefront_offset 0
		.amdhsa_system_sgpr_workgroup_id_x 1
		.amdhsa_system_sgpr_workgroup_id_y 0
		.amdhsa_system_sgpr_workgroup_id_z 1
		.amdhsa_system_sgpr_workgroup_info 0
		.amdhsa_system_vgpr_workitem_id 1
		.amdhsa_next_free_vgpr 25
		.amdhsa_next_free_sgpr 20
		.amdhsa_reserve_vcc 1
		.amdhsa_reserve_flat_scratch 0
		.amdhsa_float_round_mode_32 0
		.amdhsa_float_round_mode_16_64 0
		.amdhsa_float_denorm_mode_32 3
		.amdhsa_float_denorm_mode_16_64 3
		.amdhsa_dx10_clamp 1
		.amdhsa_ieee_mode 1
		.amdhsa_fp16_overflow 0
		.amdhsa_exception_fp_ieee_invalid_op 0
		.amdhsa_exception_fp_denorm_src 0
		.amdhsa_exception_fp_ieee_div_zero 0
		.amdhsa_exception_fp_ieee_overflow 0
		.amdhsa_exception_fp_ieee_underflow 0
		.amdhsa_exception_fp_ieee_inexact 0
		.amdhsa_exception_int_div_zero 0
	.end_amdhsa_kernel
	.section	.text._ZL9moe_vec_qIN3c104HalfELi32ELi4E10block_q5_0Li2EXadL_ZL17vec_dot_q5_0_q8_1PKvPK10block_q8_1RKiEEEvS4_S4_PT_PS8_iiii,"axG",@progbits,_ZL9moe_vec_qIN3c104HalfELi32ELi4E10block_q5_0Li2EXadL_ZL17vec_dot_q5_0_q8_1PKvPK10block_q8_1RKiEEEvS4_S4_PT_PS8_iiii,comdat
.Lfunc_end258:
	.size	_ZL9moe_vec_qIN3c104HalfELi32ELi4E10block_q5_0Li2EXadL_ZL17vec_dot_q5_0_q8_1PKvPK10block_q8_1RKiEEEvS4_S4_PT_PS8_iiii, .Lfunc_end258-_ZL9moe_vec_qIN3c104HalfELi32ELi4E10block_q5_0Li2EXadL_ZL17vec_dot_q5_0_q8_1PKvPK10block_q8_1RKiEEEvS4_S4_PT_PS8_iiii
                                        ; -- End function
	.set _ZL9moe_vec_qIN3c104HalfELi32ELi4E10block_q5_0Li2EXadL_ZL17vec_dot_q5_0_q8_1PKvPK10block_q8_1RKiEEEvS4_S4_PT_PS8_iiii.num_vgpr, 25
	.set _ZL9moe_vec_qIN3c104HalfELi32ELi4E10block_q5_0Li2EXadL_ZL17vec_dot_q5_0_q8_1PKvPK10block_q8_1RKiEEEvS4_S4_PT_PS8_iiii.num_agpr, 0
	.set _ZL9moe_vec_qIN3c104HalfELi32ELi4E10block_q5_0Li2EXadL_ZL17vec_dot_q5_0_q8_1PKvPK10block_q8_1RKiEEEvS4_S4_PT_PS8_iiii.numbered_sgpr, 20
	.set _ZL9moe_vec_qIN3c104HalfELi32ELi4E10block_q5_0Li2EXadL_ZL17vec_dot_q5_0_q8_1PKvPK10block_q8_1RKiEEEvS4_S4_PT_PS8_iiii.num_named_barrier, 0
	.set _ZL9moe_vec_qIN3c104HalfELi32ELi4E10block_q5_0Li2EXadL_ZL17vec_dot_q5_0_q8_1PKvPK10block_q8_1RKiEEEvS4_S4_PT_PS8_iiii.private_seg_size, 0
	.set _ZL9moe_vec_qIN3c104HalfELi32ELi4E10block_q5_0Li2EXadL_ZL17vec_dot_q5_0_q8_1PKvPK10block_q8_1RKiEEEvS4_S4_PT_PS8_iiii.uses_vcc, 1
	.set _ZL9moe_vec_qIN3c104HalfELi32ELi4E10block_q5_0Li2EXadL_ZL17vec_dot_q5_0_q8_1PKvPK10block_q8_1RKiEEEvS4_S4_PT_PS8_iiii.uses_flat_scratch, 0
	.set _ZL9moe_vec_qIN3c104HalfELi32ELi4E10block_q5_0Li2EXadL_ZL17vec_dot_q5_0_q8_1PKvPK10block_q8_1RKiEEEvS4_S4_PT_PS8_iiii.has_dyn_sized_stack, 0
	.set _ZL9moe_vec_qIN3c104HalfELi32ELi4E10block_q5_0Li2EXadL_ZL17vec_dot_q5_0_q8_1PKvPK10block_q8_1RKiEEEvS4_S4_PT_PS8_iiii.has_recursion, 0
	.set _ZL9moe_vec_qIN3c104HalfELi32ELi4E10block_q5_0Li2EXadL_ZL17vec_dot_q5_0_q8_1PKvPK10block_q8_1RKiEEEvS4_S4_PT_PS8_iiii.has_indirect_call, 0
	.section	.AMDGPU.csdata,"",@progbits
; Kernel info:
; codeLenInByte = 1060
; TotalNumSgprs: 24
; NumVgprs: 25
; ScratchSize: 0
; MemoryBound: 0
; FloatMode: 240
; IeeeMode: 1
; LDSByteSize: 0 bytes/workgroup (compile time only)
; SGPRBlocks: 2
; VGPRBlocks: 6
; NumSGPRsForWavesPerEU: 24
; NumVGPRsForWavesPerEU: 25
; Occupancy: 9
; WaveLimiterHint : 1
; COMPUTE_PGM_RSRC2:SCRATCH_EN: 0
; COMPUTE_PGM_RSRC2:USER_SGPR: 6
; COMPUTE_PGM_RSRC2:TRAP_HANDLER: 0
; COMPUTE_PGM_RSRC2:TGID_X_EN: 1
; COMPUTE_PGM_RSRC2:TGID_Y_EN: 0
; COMPUTE_PGM_RSRC2:TGID_Z_EN: 1
; COMPUTE_PGM_RSRC2:TIDIG_COMP_CNT: 1
	.section	.text._ZL9moe_vec_qIN3c104HalfELi32ELi4E10block_q5_1Li2EXadL_ZL17vec_dot_q5_1_q8_1PKvPK10block_q8_1RKiEEEvS4_S4_PT_PS8_iiii,"axG",@progbits,_ZL9moe_vec_qIN3c104HalfELi32ELi4E10block_q5_1Li2EXadL_ZL17vec_dot_q5_1_q8_1PKvPK10block_q8_1RKiEEEvS4_S4_PT_PS8_iiii,comdat
	.globl	_ZL9moe_vec_qIN3c104HalfELi32ELi4E10block_q5_1Li2EXadL_ZL17vec_dot_q5_1_q8_1PKvPK10block_q8_1RKiEEEvS4_S4_PT_PS8_iiii ; -- Begin function _ZL9moe_vec_qIN3c104HalfELi32ELi4E10block_q5_1Li2EXadL_ZL17vec_dot_q5_1_q8_1PKvPK10block_q8_1RKiEEEvS4_S4_PT_PS8_iiii
	.p2align	8
	.type	_ZL9moe_vec_qIN3c104HalfELi32ELi4E10block_q5_1Li2EXadL_ZL17vec_dot_q5_1_q8_1PKvPK10block_q8_1RKiEEEvS4_S4_PT_PS8_iiii,@function
_ZL9moe_vec_qIN3c104HalfELi32ELi4E10block_q5_1Li2EXadL_ZL17vec_dot_q5_1_q8_1PKvPK10block_q8_1RKiEEEvS4_S4_PT_PS8_iiii: ; @_ZL9moe_vec_qIN3c104HalfELi32ELi4E10block_q5_1Li2EXadL_ZL17vec_dot_q5_1_q8_1PKvPK10block_q8_1RKiEEEvS4_S4_PT_PS8_iiii
; %bb.0:
	s_mov_b32 s8, s7
	s_load_dword s7, s[4:5], 0x3c
	s_load_dwordx4 s[0:3], s[4:5], 0x20
	s_waitcnt lgkmcnt(0)
	s_lshr_b32 s7, s7, 16
	s_mul_i32 s6, s6, s7
	v_add_u32_e32 v1, s6, v1
	v_cmp_gt_u32_e32 vcc, s2, v1
	s_and_saveexec_b64 s[6:7], vcc
	s_cbranch_execz .LBB259_7
; %bb.1:
	v_cvt_f32_u32_e32 v2, s0
	s_load_dwordx2 s[6:7], s[4:5], 0x10
	s_ashr_i32 s9, s1, 31
	s_lshr_b32 s9, s9, 27
	v_rcp_iflag_f32_e32 v3, v2
	s_add_i32 s1, s1, s9
	v_lshrrev_b32_e32 v2, 1, v0
	s_ashr_i32 s14, s1, 5
	v_mul_f32_e32 v3, 0x4f7ffffe, v3
	v_cvt_u32_f32_e32 v3, v3
	v_cmp_gt_u32_e32 vcc, s14, v2
	v_readfirstlane_b32 s1, v3
	v_mov_b32_e32 v3, 0
	s_and_saveexec_b64 s[10:11], vcc
	s_cbranch_execz .LBB259_5
; %bb.2:
	s_sub_i32 s12, 0, s0
	s_mul_i32 s15, s12, s1
	s_load_dwordx4 s[16:19], s[4:5], 0x0
	s_load_dwordx2 s[12:13], s[4:5], 0x18
	s_mov_b32 s9, 0
	s_mul_hi_u32 s4, s1, s15
	s_add_i32 s1, s1, s4
	s_lshl_b64 s[4:5], s[8:9], 2
	s_waitcnt lgkmcnt(0)
	s_add_u32 s4, s12, s4
	s_mul_hi_u32 s1, s8, s1
	s_addc_u32 s5, s13, s5
	s_load_dword s4, s[4:5], 0x0
	s_mul_i32 s5, s1, s0
	s_sub_i32 s5, s8, s5
	s_add_i32 s12, s1, 1
	s_sub_i32 s13, s5, s0
	s_cmp_ge_u32 s5, s0
	s_cselect_b32 s1, s12, s1
	s_cselect_b32 s5, s13, s5
	s_add_i32 s12, s1, 1
	s_cmp_ge_u32 s5, s0
	s_mul_i32 s0, s14, s2
	s_waitcnt lgkmcnt(0)
	s_mul_i32 s0, s0, s4
	s_cselect_b32 s5, s12, s1
	s_mul_hi_i32 s1, s0, 24
	s_mul_i32 s0, s0, 24
	s_add_u32 s0, s16, s0
	s_mul_i32 s4, s5, s3
	s_mov_b32 s5, s9
	v_mul_lo_u32 v4, v1, s14
	s_addc_u32 s1, s17, s1
	s_lshl_b64 s[4:5], s[4:5], 2
	v_lshlrev_b32_e32 v3, 3, v0
	s_add_u32 s4, s18, s4
	v_and_b32_e32 v5, 8, v3
	s_addc_u32 s5, s19, s5
	v_mov_b32_e32 v3, 0
	v_or_b32_e32 v6, 4, v5
	s_mov_b64 s[12:13], 0
.LBB259_3:                              ; =>This Inner Loop Header: Depth=1
	v_mad_i64_i32 v[7:8], s[16:17], v2, 36, s[4:5]
	v_add_u32_e32 v9, v4, v2
	v_mad_i64_i32 v[9:10], s[16:17], v9, 24, s[0:1]
	v_add_co_u32_e32 v11, vcc, v7, v5
	v_addc_co_u32_e32 v12, vcc, 0, v8, vcc
	global_load_dwordx2 v[13:14], v[9:10], off
	v_add_co_u32_e32 v9, vcc, v9, v5
	v_addc_co_u32_e32 v10, vcc, 0, v10, vcc
	global_load_dwordx2 v[15:16], v[11:12], off offset:4
	global_load_dwordx2 v[17:18], v[11:12], off offset:20
	;; [unrolled: 1-line block ×3, first 2 shown]
	global_load_dword v21, v[7:8], off
	v_add_u32_e32 v2, 32, v2
	v_cmp_le_u32_e32 vcc, s14, v2
	s_or_b64 s[12:13], vcc, s[12:13]
	s_waitcnt vmcnt(4)
	v_ashrrev_i32_e32 v7, v5, v14
	v_ashrrev_i32_e32 v8, v6, v14
	v_lshlrev_b32_e32 v11, 4, v7
	v_lshlrev_b32_e32 v12, 11, v7
	v_lshrrev_b32_e32 v14, 5, v7
	s_waitcnt vmcnt(0)
	v_pk_mul_f16 v9, v13, v21
	v_lshrrev_b32_e32 v13, 12, v7
	v_lshlrev_b32_e32 v21, 2, v7
	v_and_b32_e32 v10, 0xf0f0f0f, v19
	v_and_b32_e32 v11, 16, v11
	;; [unrolled: 1-line block ×6, first 2 shown]
	v_or3_b32 v10, v11, v10, v12
	v_lshlrev_b32_e32 v11, 4, v8
	v_lshlrev_b32_e32 v12, 11, v8
	v_or3_b32 v13, v14, v13, v21
	v_lshlrev_b32_e32 v14, 18, v8
	v_and_b32_e32 v11, 16, v11
	v_and_b32_e32 v12, 0x1000, v12
	;; [unrolled: 1-line block ×3, first 2 shown]
	v_lshrrev_b32_e32 v21, 12, v8
	v_or3_b32 v11, v12, v11, v14
	v_lshrrev_b32_e32 v12, 5, v8
	v_lshlrev_b32_e32 v14, 2, v8
	v_and_b32_e32 v21, 16, v21
	v_and_b32_e32 v12, 0x1000, v12
	;; [unrolled: 1-line block ×3, first 2 shown]
	v_or3_b32 v12, v12, v21, v14
	v_lshlrev_b32_e32 v14, 18, v7
	v_lshlrev_b32_e32 v21, 25, v7
	v_and_b32_e32 v14, 0x100000, v14
	v_and_b32_e32 v21, 0x10000000, v21
	v_or3_b32 v10, v10, v14, v21
	v_lshrrev_b32_e32 v14, 4, v19
	v_lshlrev_b32_e32 v7, 9, v7
	v_lshlrev_b32_e32 v21, 25, v8
	v_and_b32_e32 v14, 0xf0f0f0f, v14
	v_and_b32_e32 v7, 0x10000000, v7
	;; [unrolled: 1-line block ×3, first 2 shown]
	v_lshrrev_b32_e32 v20, 4, v20
	v_lshlrev_b32_e32 v8, 9, v8
	v_or3_b32 v7, v13, v7, v14
	v_and_b32_e32 v14, 0x10000000, v21
	v_dot4_i32_i8 v10, v10, v15, 0
	v_and_b32_e32 v20, 0xf0f0f0f, v20
	v_and_b32_e32 v8, 0x10000000, v8
	v_or3_b32 v11, v11, v14, v19
	v_dot4_i32_i8 v7, v7, v17, v10
	v_or3_b32 v8, v12, v8, v20
	v_dot4_i32_i8 v7, v11, v16, v7
	v_cvt_f32_f16_sdwa v13, v9 dst_sel:DWORD dst_unused:UNUSED_PAD src0_sel:WORD_1
	v_dot4_i32_i8 v7, v8, v18, v7
	v_cvt_f32_i32_e32 v7, v7
	v_mul_f32_e32 v8, 0.5, v13
	v_fma_mix_f32 v7, v7, v9, v8 op_sel_hi:[0,1,0]
	v_add_f32_e32 v3, v3, v7
	s_andn2_b64 exec, exec, s[12:13]
	s_cbranch_execnz .LBB259_3
; %bb.4:
	s_or_b64 exec, exec, s[12:13]
.LBB259_5:
	s_or_b64 exec, exec, s[10:11]
	v_mbcnt_lo_u32_b32 v2, -1, 0
	v_mbcnt_hi_u32_b32 v4, -1, v2
	v_and_b32_e32 v2, 64, v4
	v_add_u32_e32 v5, 64, v2
	v_xor_b32_e32 v2, 32, v4
	v_cmp_lt_i32_e32 vcc, v2, v5
	v_cndmask_b32_e32 v2, v4, v2, vcc
	v_lshlrev_b32_e32 v2, 2, v2
	ds_bpermute_b32 v2, v2, v3
	v_xor_b32_e32 v6, 16, v4
	v_cmp_lt_i32_e32 vcc, v6, v5
	s_waitcnt lgkmcnt(0)
	v_add_f32_e32 v2, v3, v2
	v_cndmask_b32_e32 v3, v4, v6, vcc
	v_lshlrev_b32_e32 v3, 2, v3
	ds_bpermute_b32 v3, v3, v2
	v_xor_b32_e32 v6, 8, v4
	v_cmp_lt_i32_e32 vcc, v6, v5
	s_waitcnt lgkmcnt(0)
	v_add_f32_e32 v2, v2, v3
	v_cndmask_b32_e32 v3, v4, v6, vcc
	v_lshlrev_b32_e32 v3, 2, v3
	ds_bpermute_b32 v3, v3, v2
	v_xor_b32_e32 v6, 4, v4
	v_cmp_lt_i32_e32 vcc, v6, v5
	s_waitcnt lgkmcnt(0)
	v_add_f32_e32 v2, v2, v3
	v_cndmask_b32_e32 v3, v4, v6, vcc
	v_lshlrev_b32_e32 v3, 2, v3
	ds_bpermute_b32 v3, v3, v2
	v_xor_b32_e32 v6, 2, v4
	v_cmp_lt_i32_e32 vcc, v6, v5
	s_waitcnt lgkmcnt(0)
	v_add_f32_e32 v2, v2, v3
	v_cndmask_b32_e32 v3, v4, v6, vcc
	v_lshlrev_b32_e32 v3, 2, v3
	ds_bpermute_b32 v3, v3, v2
	v_xor_b32_e32 v6, 1, v4
	v_cmp_lt_i32_e32 vcc, v6, v5
	s_waitcnt lgkmcnt(0)
	v_add_f32_e32 v2, v2, v3
	v_cndmask_b32_e32 v3, v4, v6, vcc
	v_lshlrev_b32_e32 v3, 2, v3
	ds_bpermute_b32 v3, v3, v2
	v_cmp_eq_u32_e32 vcc, 0, v0
	s_and_b64 exec, exec, vcc
	s_cbranch_execz .LBB259_7
; %bb.6:
	s_waitcnt lgkmcnt(0)
	v_add_f32_e32 v0, v2, v3
	s_mul_i32 s0, s2, s8
	v_cvt_f16_f32_e32 v2, v0
	v_add_u32_e32 v0, s0, v1
	v_mov_b32_e32 v1, 0
	v_lshlrev_b64 v[0:1], 1, v[0:1]
	v_mov_b32_e32 v3, s7
	v_add_co_u32_e32 v0, vcc, s6, v0
	v_addc_co_u32_e32 v1, vcc, v3, v1, vcc
	global_store_short v[0:1], v2, off
.LBB259_7:
	s_endpgm
	.section	.rodata,"a",@progbits
	.p2align	6, 0x0
	.amdhsa_kernel _ZL9moe_vec_qIN3c104HalfELi32ELi4E10block_q5_1Li2EXadL_ZL17vec_dot_q5_1_q8_1PKvPK10block_q8_1RKiEEEvS4_S4_PT_PS8_iiii
		.amdhsa_group_segment_fixed_size 0
		.amdhsa_private_segment_fixed_size 0
		.amdhsa_kernarg_size 304
		.amdhsa_user_sgpr_count 6
		.amdhsa_user_sgpr_private_segment_buffer 1
		.amdhsa_user_sgpr_dispatch_ptr 0
		.amdhsa_user_sgpr_queue_ptr 0
		.amdhsa_user_sgpr_kernarg_segment_ptr 1
		.amdhsa_user_sgpr_dispatch_id 0
		.amdhsa_user_sgpr_flat_scratch_init 0
		.amdhsa_user_sgpr_private_segment_size 0
		.amdhsa_uses_dynamic_stack 0
		.amdhsa_system_sgpr_private_segment_wavefront_offset 0
		.amdhsa_system_sgpr_workgroup_id_x 1
		.amdhsa_system_sgpr_workgroup_id_y 0
		.amdhsa_system_sgpr_workgroup_id_z 1
		.amdhsa_system_sgpr_workgroup_info 0
		.amdhsa_system_vgpr_workitem_id 1
		.amdhsa_next_free_vgpr 22
		.amdhsa_next_free_sgpr 20
		.amdhsa_reserve_vcc 1
		.amdhsa_reserve_flat_scratch 0
		.amdhsa_float_round_mode_32 0
		.amdhsa_float_round_mode_16_64 0
		.amdhsa_float_denorm_mode_32 3
		.amdhsa_float_denorm_mode_16_64 3
		.amdhsa_dx10_clamp 1
		.amdhsa_ieee_mode 1
		.amdhsa_fp16_overflow 0
		.amdhsa_exception_fp_ieee_invalid_op 0
		.amdhsa_exception_fp_denorm_src 0
		.amdhsa_exception_fp_ieee_div_zero 0
		.amdhsa_exception_fp_ieee_overflow 0
		.amdhsa_exception_fp_ieee_underflow 0
		.amdhsa_exception_fp_ieee_inexact 0
		.amdhsa_exception_int_div_zero 0
	.end_amdhsa_kernel
	.section	.text._ZL9moe_vec_qIN3c104HalfELi32ELi4E10block_q5_1Li2EXadL_ZL17vec_dot_q5_1_q8_1PKvPK10block_q8_1RKiEEEvS4_S4_PT_PS8_iiii,"axG",@progbits,_ZL9moe_vec_qIN3c104HalfELi32ELi4E10block_q5_1Li2EXadL_ZL17vec_dot_q5_1_q8_1PKvPK10block_q8_1RKiEEEvS4_S4_PT_PS8_iiii,comdat
.Lfunc_end259:
	.size	_ZL9moe_vec_qIN3c104HalfELi32ELi4E10block_q5_1Li2EXadL_ZL17vec_dot_q5_1_q8_1PKvPK10block_q8_1RKiEEEvS4_S4_PT_PS8_iiii, .Lfunc_end259-_ZL9moe_vec_qIN3c104HalfELi32ELi4E10block_q5_1Li2EXadL_ZL17vec_dot_q5_1_q8_1PKvPK10block_q8_1RKiEEEvS4_S4_PT_PS8_iiii
                                        ; -- End function
	.set _ZL9moe_vec_qIN3c104HalfELi32ELi4E10block_q5_1Li2EXadL_ZL17vec_dot_q5_1_q8_1PKvPK10block_q8_1RKiEEEvS4_S4_PT_PS8_iiii.num_vgpr, 22
	.set _ZL9moe_vec_qIN3c104HalfELi32ELi4E10block_q5_1Li2EXadL_ZL17vec_dot_q5_1_q8_1PKvPK10block_q8_1RKiEEEvS4_S4_PT_PS8_iiii.num_agpr, 0
	.set _ZL9moe_vec_qIN3c104HalfELi32ELi4E10block_q5_1Li2EXadL_ZL17vec_dot_q5_1_q8_1PKvPK10block_q8_1RKiEEEvS4_S4_PT_PS8_iiii.numbered_sgpr, 20
	.set _ZL9moe_vec_qIN3c104HalfELi32ELi4E10block_q5_1Li2EXadL_ZL17vec_dot_q5_1_q8_1PKvPK10block_q8_1RKiEEEvS4_S4_PT_PS8_iiii.num_named_barrier, 0
	.set _ZL9moe_vec_qIN3c104HalfELi32ELi4E10block_q5_1Li2EXadL_ZL17vec_dot_q5_1_q8_1PKvPK10block_q8_1RKiEEEvS4_S4_PT_PS8_iiii.private_seg_size, 0
	.set _ZL9moe_vec_qIN3c104HalfELi32ELi4E10block_q5_1Li2EXadL_ZL17vec_dot_q5_1_q8_1PKvPK10block_q8_1RKiEEEvS4_S4_PT_PS8_iiii.uses_vcc, 1
	.set _ZL9moe_vec_qIN3c104HalfELi32ELi4E10block_q5_1Li2EXadL_ZL17vec_dot_q5_1_q8_1PKvPK10block_q8_1RKiEEEvS4_S4_PT_PS8_iiii.uses_flat_scratch, 0
	.set _ZL9moe_vec_qIN3c104HalfELi32ELi4E10block_q5_1Li2EXadL_ZL17vec_dot_q5_1_q8_1PKvPK10block_q8_1RKiEEEvS4_S4_PT_PS8_iiii.has_dyn_sized_stack, 0
	.set _ZL9moe_vec_qIN3c104HalfELi32ELi4E10block_q5_1Li2EXadL_ZL17vec_dot_q5_1_q8_1PKvPK10block_q8_1RKiEEEvS4_S4_PT_PS8_iiii.has_recursion, 0
	.set _ZL9moe_vec_qIN3c104HalfELi32ELi4E10block_q5_1Li2EXadL_ZL17vec_dot_q5_1_q8_1PKvPK10block_q8_1RKiEEEvS4_S4_PT_PS8_iiii.has_indirect_call, 0
	.section	.AMDGPU.csdata,"",@progbits
; Kernel info:
; codeLenInByte = 1040
; TotalNumSgprs: 24
; NumVgprs: 22
; ScratchSize: 0
; MemoryBound: 0
; FloatMode: 240
; IeeeMode: 1
; LDSByteSize: 0 bytes/workgroup (compile time only)
; SGPRBlocks: 2
; VGPRBlocks: 5
; NumSGPRsForWavesPerEU: 24
; NumVGPRsForWavesPerEU: 22
; Occupancy: 10
; WaveLimiterHint : 1
; COMPUTE_PGM_RSRC2:SCRATCH_EN: 0
; COMPUTE_PGM_RSRC2:USER_SGPR: 6
; COMPUTE_PGM_RSRC2:TRAP_HANDLER: 0
; COMPUTE_PGM_RSRC2:TGID_X_EN: 1
; COMPUTE_PGM_RSRC2:TGID_Y_EN: 0
; COMPUTE_PGM_RSRC2:TGID_Z_EN: 1
; COMPUTE_PGM_RSRC2:TIDIG_COMP_CNT: 1
	.section	.text._ZL9moe_vec_qIN3c104HalfELi32ELi8E10block_q8_0Li2EXadL_ZL17vec_dot_q8_0_q8_1PKvPK10block_q8_1RKiEEEvS4_S4_PT_PS8_iiii,"axG",@progbits,_ZL9moe_vec_qIN3c104HalfELi32ELi8E10block_q8_0Li2EXadL_ZL17vec_dot_q8_0_q8_1PKvPK10block_q8_1RKiEEEvS4_S4_PT_PS8_iiii,comdat
	.globl	_ZL9moe_vec_qIN3c104HalfELi32ELi8E10block_q8_0Li2EXadL_ZL17vec_dot_q8_0_q8_1PKvPK10block_q8_1RKiEEEvS4_S4_PT_PS8_iiii ; -- Begin function _ZL9moe_vec_qIN3c104HalfELi32ELi8E10block_q8_0Li2EXadL_ZL17vec_dot_q8_0_q8_1PKvPK10block_q8_1RKiEEEvS4_S4_PT_PS8_iiii
	.p2align	8
	.type	_ZL9moe_vec_qIN3c104HalfELi32ELi8E10block_q8_0Li2EXadL_ZL17vec_dot_q8_0_q8_1PKvPK10block_q8_1RKiEEEvS4_S4_PT_PS8_iiii,@function
_ZL9moe_vec_qIN3c104HalfELi32ELi8E10block_q8_0Li2EXadL_ZL17vec_dot_q8_0_q8_1PKvPK10block_q8_1RKiEEEvS4_S4_PT_PS8_iiii: ; @_ZL9moe_vec_qIN3c104HalfELi32ELi8E10block_q8_0Li2EXadL_ZL17vec_dot_q8_0_q8_1PKvPK10block_q8_1RKiEEEvS4_S4_PT_PS8_iiii
; %bb.0:
	s_mov_b32 s8, s7
	s_load_dword s7, s[4:5], 0x3c
	s_load_dwordx4 s[0:3], s[4:5], 0x20
	s_waitcnt lgkmcnt(0)
	s_lshr_b32 s7, s7, 16
	s_mul_i32 s6, s6, s7
	v_add_u32_e32 v1, s6, v1
	v_cmp_gt_u32_e32 vcc, s2, v1
	s_and_saveexec_b64 s[6:7], vcc
	s_cbranch_execz .LBB260_7
; %bb.1:
	v_cvt_f32_u32_e32 v2, s0
	s_load_dwordx2 s[6:7], s[4:5], 0x10
	s_ashr_i32 s9, s1, 31
	s_lshr_b32 s9, s9, 27
	v_rcp_iflag_f32_e32 v3, v2
	s_add_i32 s1, s1, s9
	v_lshrrev_b32_e32 v2, 2, v0
	s_ashr_i32 s14, s1, 5
	v_mul_f32_e32 v3, 0x4f7ffffe, v3
	v_cvt_u32_f32_e32 v3, v3
	v_cmp_gt_u32_e32 vcc, s14, v2
	v_readfirstlane_b32 s1, v3
	v_mov_b32_e32 v3, 0
	s_and_saveexec_b64 s[10:11], vcc
	s_cbranch_execz .LBB260_5
; %bb.2:
	s_sub_i32 s12, 0, s0
	s_mul_i32 s15, s12, s1
	s_load_dwordx4 s[16:19], s[4:5], 0x0
	s_load_dwordx2 s[12:13], s[4:5], 0x18
	s_mov_b32 s9, 0
	s_mul_hi_u32 s4, s1, s15
	s_add_i32 s1, s1, s4
	s_lshl_b64 s[4:5], s[8:9], 2
	s_waitcnt lgkmcnt(0)
	s_add_u32 s4, s12, s4
	s_mul_hi_u32 s1, s8, s1
	s_addc_u32 s5, s13, s5
	s_load_dword s4, s[4:5], 0x0
	s_mul_i32 s5, s1, s0
	s_sub_i32 s5, s8, s5
	s_add_i32 s12, s1, 1
	s_sub_i32 s13, s5, s0
	s_cmp_ge_u32 s5, s0
	s_cselect_b32 s1, s12, s1
	s_cselect_b32 s5, s13, s5
	s_add_i32 s12, s1, 1
	s_cmp_ge_u32 s5, s0
	s_mul_i32 s0, s14, s2
	s_waitcnt lgkmcnt(0)
	s_mul_i32 s0, s0, s4
	s_cselect_b32 s5, s12, s1
	s_mul_hi_i32 s1, s0, 34
	s_mul_i32 s0, s0, 34
	s_add_u32 s0, s16, s0
	s_mul_i32 s4, s5, s3
	s_mov_b32 s5, s9
	v_mul_lo_u32 v4, v1, s14
	s_addc_u32 s1, s17, s1
	s_lshl_b64 s[4:5], s[4:5], 2
	s_add_u32 s4, s18, s4
	v_lshlrev_b32_e32 v3, 3, v0
	s_addc_u32 s5, s19, s5
	v_and_b32_e32 v5, 24, v3
	v_mov_b32_e32 v3, 0
	s_mov_b64 s[12:13], 0
.LBB260_3:                              ; =>This Inner Loop Header: Depth=1
	v_mad_i64_i32 v[6:7], s[16:17], v2, 36, s[4:5]
	v_add_u32_e32 v8, v4, v2
	v_mad_i64_i32 v[8:9], s[16:17], v8, 34, s[0:1]
	v_add_co_u32_e32 v10, vcc, v6, v5
	v_addc_co_u32_e32 v11, vcc, 0, v7, vcc
	global_load_dword v16, v[6:7], off
	v_add_co_u32_e32 v6, vcc, v8, v5
	v_addc_co_u32_e32 v7, vcc, 0, v9, vcc
	global_load_dwordx2 v[12:13], v[10:11], off offset:4
	global_load_dwordx2 v[14:15], v[6:7], off offset:2
	global_load_ushort v17, v[8:9], off
	v_add_u32_e32 v2, 16, v2
	v_cmp_le_u32_e32 vcc, s14, v2
	s_or_b64 s[12:13], vcc, s[12:13]
	s_waitcnt vmcnt(3)
	v_cvt_f32_f16_e32 v6, v16
	s_waitcnt vmcnt(1)
	v_dot4_i32_i8 v8, v14, v12, 0
	s_waitcnt vmcnt(0)
	v_cvt_f32_f16_e32 v7, v17
	v_dot4_i32_i8 v8, v15, v13, v8
	v_cvt_f32_i32_e32 v8, v8
	v_mul_f32_e32 v6, v7, v6
	v_fmac_f32_e32 v3, v6, v8
	s_andn2_b64 exec, exec, s[12:13]
	s_cbranch_execnz .LBB260_3
; %bb.4:
	s_or_b64 exec, exec, s[12:13]
.LBB260_5:
	s_or_b64 exec, exec, s[10:11]
	v_mbcnt_lo_u32_b32 v2, -1, 0
	v_mbcnt_hi_u32_b32 v4, -1, v2
	v_and_b32_e32 v2, 64, v4
	v_add_u32_e32 v5, 64, v2
	v_xor_b32_e32 v2, 32, v4
	v_cmp_lt_i32_e32 vcc, v2, v5
	v_cndmask_b32_e32 v2, v4, v2, vcc
	v_lshlrev_b32_e32 v2, 2, v2
	ds_bpermute_b32 v2, v2, v3
	v_xor_b32_e32 v6, 16, v4
	v_cmp_lt_i32_e32 vcc, v6, v5
	s_waitcnt lgkmcnt(0)
	v_add_f32_e32 v2, v3, v2
	v_cndmask_b32_e32 v3, v4, v6, vcc
	v_lshlrev_b32_e32 v3, 2, v3
	ds_bpermute_b32 v3, v3, v2
	v_xor_b32_e32 v6, 8, v4
	v_cmp_lt_i32_e32 vcc, v6, v5
	s_waitcnt lgkmcnt(0)
	v_add_f32_e32 v2, v2, v3
	;; [unrolled: 7-line block ×5, first 2 shown]
	v_cndmask_b32_e32 v3, v4, v6, vcc
	v_lshlrev_b32_e32 v3, 2, v3
	ds_bpermute_b32 v3, v3, v2
	v_cmp_eq_u32_e32 vcc, 0, v0
	s_and_b64 exec, exec, vcc
	s_cbranch_execz .LBB260_7
; %bb.6:
	s_waitcnt lgkmcnt(0)
	v_add_f32_e32 v0, v2, v3
	s_mul_i32 s0, s2, s8
	v_cvt_f16_f32_e32 v2, v0
	v_add_u32_e32 v0, s0, v1
	v_mov_b32_e32 v1, 0
	v_lshlrev_b64 v[0:1], 1, v[0:1]
	v_mov_b32_e32 v3, s7
	v_add_co_u32_e32 v0, vcc, s6, v0
	v_addc_co_u32_e32 v1, vcc, v3, v1, vcc
	global_store_short v[0:1], v2, off
.LBB260_7:
	s_endpgm
	.section	.rodata,"a",@progbits
	.p2align	6, 0x0
	.amdhsa_kernel _ZL9moe_vec_qIN3c104HalfELi32ELi8E10block_q8_0Li2EXadL_ZL17vec_dot_q8_0_q8_1PKvPK10block_q8_1RKiEEEvS4_S4_PT_PS8_iiii
		.amdhsa_group_segment_fixed_size 0
		.amdhsa_private_segment_fixed_size 0
		.amdhsa_kernarg_size 304
		.amdhsa_user_sgpr_count 6
		.amdhsa_user_sgpr_private_segment_buffer 1
		.amdhsa_user_sgpr_dispatch_ptr 0
		.amdhsa_user_sgpr_queue_ptr 0
		.amdhsa_user_sgpr_kernarg_segment_ptr 1
		.amdhsa_user_sgpr_dispatch_id 0
		.amdhsa_user_sgpr_flat_scratch_init 0
		.amdhsa_user_sgpr_private_segment_size 0
		.amdhsa_uses_dynamic_stack 0
		.amdhsa_system_sgpr_private_segment_wavefront_offset 0
		.amdhsa_system_sgpr_workgroup_id_x 1
		.amdhsa_system_sgpr_workgroup_id_y 0
		.amdhsa_system_sgpr_workgroup_id_z 1
		.amdhsa_system_sgpr_workgroup_info 0
		.amdhsa_system_vgpr_workitem_id 1
		.amdhsa_next_free_vgpr 18
		.amdhsa_next_free_sgpr 20
		.amdhsa_reserve_vcc 1
		.amdhsa_reserve_flat_scratch 0
		.amdhsa_float_round_mode_32 0
		.amdhsa_float_round_mode_16_64 0
		.amdhsa_float_denorm_mode_32 3
		.amdhsa_float_denorm_mode_16_64 3
		.amdhsa_dx10_clamp 1
		.amdhsa_ieee_mode 1
		.amdhsa_fp16_overflow 0
		.amdhsa_exception_fp_ieee_invalid_op 0
		.amdhsa_exception_fp_denorm_src 0
		.amdhsa_exception_fp_ieee_div_zero 0
		.amdhsa_exception_fp_ieee_overflow 0
		.amdhsa_exception_fp_ieee_underflow 0
		.amdhsa_exception_fp_ieee_inexact 0
		.amdhsa_exception_int_div_zero 0
	.end_amdhsa_kernel
	.section	.text._ZL9moe_vec_qIN3c104HalfELi32ELi8E10block_q8_0Li2EXadL_ZL17vec_dot_q8_0_q8_1PKvPK10block_q8_1RKiEEEvS4_S4_PT_PS8_iiii,"axG",@progbits,_ZL9moe_vec_qIN3c104HalfELi32ELi8E10block_q8_0Li2EXadL_ZL17vec_dot_q8_0_q8_1PKvPK10block_q8_1RKiEEEvS4_S4_PT_PS8_iiii,comdat
.Lfunc_end260:
	.size	_ZL9moe_vec_qIN3c104HalfELi32ELi8E10block_q8_0Li2EXadL_ZL17vec_dot_q8_0_q8_1PKvPK10block_q8_1RKiEEEvS4_S4_PT_PS8_iiii, .Lfunc_end260-_ZL9moe_vec_qIN3c104HalfELi32ELi8E10block_q8_0Li2EXadL_ZL17vec_dot_q8_0_q8_1PKvPK10block_q8_1RKiEEEvS4_S4_PT_PS8_iiii
                                        ; -- End function
	.set _ZL9moe_vec_qIN3c104HalfELi32ELi8E10block_q8_0Li2EXadL_ZL17vec_dot_q8_0_q8_1PKvPK10block_q8_1RKiEEEvS4_S4_PT_PS8_iiii.num_vgpr, 18
	.set _ZL9moe_vec_qIN3c104HalfELi32ELi8E10block_q8_0Li2EXadL_ZL17vec_dot_q8_0_q8_1PKvPK10block_q8_1RKiEEEvS4_S4_PT_PS8_iiii.num_agpr, 0
	.set _ZL9moe_vec_qIN3c104HalfELi32ELi8E10block_q8_0Li2EXadL_ZL17vec_dot_q8_0_q8_1PKvPK10block_q8_1RKiEEEvS4_S4_PT_PS8_iiii.numbered_sgpr, 20
	.set _ZL9moe_vec_qIN3c104HalfELi32ELi8E10block_q8_0Li2EXadL_ZL17vec_dot_q8_0_q8_1PKvPK10block_q8_1RKiEEEvS4_S4_PT_PS8_iiii.num_named_barrier, 0
	.set _ZL9moe_vec_qIN3c104HalfELi32ELi8E10block_q8_0Li2EXadL_ZL17vec_dot_q8_0_q8_1PKvPK10block_q8_1RKiEEEvS4_S4_PT_PS8_iiii.private_seg_size, 0
	.set _ZL9moe_vec_qIN3c104HalfELi32ELi8E10block_q8_0Li2EXadL_ZL17vec_dot_q8_0_q8_1PKvPK10block_q8_1RKiEEEvS4_S4_PT_PS8_iiii.uses_vcc, 1
	.set _ZL9moe_vec_qIN3c104HalfELi32ELi8E10block_q8_0Li2EXadL_ZL17vec_dot_q8_0_q8_1PKvPK10block_q8_1RKiEEEvS4_S4_PT_PS8_iiii.uses_flat_scratch, 0
	.set _ZL9moe_vec_qIN3c104HalfELi32ELi8E10block_q8_0Li2EXadL_ZL17vec_dot_q8_0_q8_1PKvPK10block_q8_1RKiEEEvS4_S4_PT_PS8_iiii.has_dyn_sized_stack, 0
	.set _ZL9moe_vec_qIN3c104HalfELi32ELi8E10block_q8_0Li2EXadL_ZL17vec_dot_q8_0_q8_1PKvPK10block_q8_1RKiEEEvS4_S4_PT_PS8_iiii.has_recursion, 0
	.set _ZL9moe_vec_qIN3c104HalfELi32ELi8E10block_q8_0Li2EXadL_ZL17vec_dot_q8_0_q8_1PKvPK10block_q8_1RKiEEEvS4_S4_PT_PS8_iiii.has_indirect_call, 0
	.section	.AMDGPU.csdata,"",@progbits
; Kernel info:
; codeLenInByte = 712
; TotalNumSgprs: 24
; NumVgprs: 18
; ScratchSize: 0
; MemoryBound: 0
; FloatMode: 240
; IeeeMode: 1
; LDSByteSize: 0 bytes/workgroup (compile time only)
; SGPRBlocks: 2
; VGPRBlocks: 4
; NumSGPRsForWavesPerEU: 24
; NumVGPRsForWavesPerEU: 18
; Occupancy: 10
; WaveLimiterHint : 1
; COMPUTE_PGM_RSRC2:SCRATCH_EN: 0
; COMPUTE_PGM_RSRC2:USER_SGPR: 6
; COMPUTE_PGM_RSRC2:TRAP_HANDLER: 0
; COMPUTE_PGM_RSRC2:TGID_X_EN: 1
; COMPUTE_PGM_RSRC2:TGID_Y_EN: 0
; COMPUTE_PGM_RSRC2:TGID_Z_EN: 1
; COMPUTE_PGM_RSRC2:TIDIG_COMP_CNT: 1
	.section	.text._ZL9moe_vec_qIN3c104HalfELi256ELi16E10block_q2_KLi1EXadL_ZL17vec_dot_q2_K_q8_1PKvPK10block_q8_1RKiEEEvS4_S4_PT_PS8_iiii,"axG",@progbits,_ZL9moe_vec_qIN3c104HalfELi256ELi16E10block_q2_KLi1EXadL_ZL17vec_dot_q2_K_q8_1PKvPK10block_q8_1RKiEEEvS4_S4_PT_PS8_iiii,comdat
	.globl	_ZL9moe_vec_qIN3c104HalfELi256ELi16E10block_q2_KLi1EXadL_ZL17vec_dot_q2_K_q8_1PKvPK10block_q8_1RKiEEEvS4_S4_PT_PS8_iiii ; -- Begin function _ZL9moe_vec_qIN3c104HalfELi256ELi16E10block_q2_KLi1EXadL_ZL17vec_dot_q2_K_q8_1PKvPK10block_q8_1RKiEEEvS4_S4_PT_PS8_iiii
	.p2align	8
	.type	_ZL9moe_vec_qIN3c104HalfELi256ELi16E10block_q2_KLi1EXadL_ZL17vec_dot_q2_K_q8_1PKvPK10block_q8_1RKiEEEvS4_S4_PT_PS8_iiii,@function
_ZL9moe_vec_qIN3c104HalfELi256ELi16E10block_q2_KLi1EXadL_ZL17vec_dot_q2_K_q8_1PKvPK10block_q8_1RKiEEEvS4_S4_PT_PS8_iiii: ; @_ZL9moe_vec_qIN3c104HalfELi256ELi16E10block_q2_KLi1EXadL_ZL17vec_dot_q2_K_q8_1PKvPK10block_q8_1RKiEEEvS4_S4_PT_PS8_iiii
; %bb.0:
	s_mov_b32 s8, s7
	s_load_dword s7, s[4:5], 0x3c
	s_load_dwordx4 s[0:3], s[4:5], 0x20
	s_waitcnt lgkmcnt(0)
	s_lshr_b32 s7, s7, 16
	s_mul_i32 s6, s6, s7
	v_add_u32_e32 v9, s6, v1
	v_cmp_gt_u32_e32 vcc, s2, v9
	s_and_saveexec_b64 s[6:7], vcc
	s_cbranch_execz .LBB261_7
; %bb.1:
	s_load_dwordx2 s[6:7], s[4:5], 0x10
	s_ashr_i32 s9, s1, 31
	s_lshr_b32 s9, s9, 24
	s_add_i32 s1, s1, s9
	s_ashr_i32 s12, s1, 8
	v_lshrrev_b32_e32 v10, 4, v0
	v_cmp_gt_u32_e32 vcc, s12, v10
	v_mov_b32_e32 v2, 0
	s_and_saveexec_b64 s[10:11], vcc
	s_cbranch_execz .LBB261_5
; %bb.2:
	s_load_dwordx2 s[14:15], s[4:5], 0x18
	s_load_dwordx4 s[16:19], s[4:5], 0x0
	v_cvt_f32_u32_e32 v1, s0
	s_mov_b32 s9, 0
	s_lshl_b64 s[4:5], s[8:9], 2
	s_waitcnt lgkmcnt(0)
	s_add_u32 s4, s14, s4
	s_addc_u32 s5, s15, s5
	v_rcp_iflag_f32_e32 v1, v1
	s_load_dword s1, s[4:5], 0x0
	s_mul_i32 s5, s12, s2
	v_and_b32_e32 v7, 15, v0
	v_mul_f32_e32 v1, 0x4f7ffffe, v1
	v_cvt_u32_f32_e32 v1, v1
	s_waitcnt lgkmcnt(0)
	s_mul_i32 s1, s5, s1
	s_mul_hi_i32 s5, s1, 0x54
	s_mulk_i32 s1, 0x54
	s_add_u32 s14, s16, s1
	s_addc_u32 s15, s17, s5
	s_sub_i32 s1, 0, s0
	v_readfirstlane_b32 s5, v1
	s_mul_i32 s1, s1, s5
	s_mul_hi_u32 s1, s5, s1
	s_add_i32 s5, s5, s1
	s_mul_hi_u32 s1, s8, s5
	s_mul_i32 s5, s1, s0
	s_sub_i32 s5, s8, s5
	s_add_i32 s13, s1, 1
	s_sub_i32 s16, s5, s0
	s_cmp_ge_u32 s5, s0
	s_cselect_b32 s1, s13, s1
	s_cselect_b32 s5, s16, s5
	s_add_i32 s13, s1, 1
	s_cmp_ge_u32 s5, s0
	s_cselect_b32 s0, s13, s1
	s_mul_i32 s0, s0, s3
	s_mov_b32 s1, s9
	s_lshl_b64 s[0:1], s[0:1], 2
	s_add_u32 s0, s18, s0
	v_lshrrev_b32_e32 v1, 1, v0
	s_addc_u32 s1, s19, s1
	v_and_b32_e32 v5, 4, v1
	v_subrev_co_u32_e32 v1, vcc, 8, v7
	v_cndmask_b32_e32 v1, v1, v7, vcc
	v_mad_u64_u32 v[5:6], s[0:1], v5, 36, s[0:1]
	v_lshlrev_b32_e32 v11, 2, v7
	v_mov_b32_e32 v2, 0
	v_sub_u32_e32 v7, v7, v1
	v_cmp_lt_u32_e32 vcc, 3, v1
	v_lshlrev_b64 v[3:4], 2, v[1:2]
	v_addc_co_u32_e32 v1, vcc, 0, v7, vcc
	v_mov_b32_e32 v7, s14
	s_movk_i32 s4, 0x54
	v_lshlrev_b32_e32 v12, 3, v10
	s_mov_b64 s[0:1], 0
	v_mov_b32_e32 v8, s15
	s_mov_b32 s3, 0x1010101
.LBB261_3:                              ; =>This Inner Loop Header: Depth=1
	v_mul_lo_u32 v13, v9, s12
	v_mad_i64_i32 v[22:23], s[14:15], v12, 36, v[5:6]
	v_ashrrev_i32_e32 v20, 31, v1
	v_add_u32_e32 v16, v13, v10
	v_add_co_u32_e32 v14, vcc, v22, v3
	v_addc_co_u32_e32 v15, vcc, v23, v4, vcc
	v_mad_i64_i32 v[24:25], s[14:15], v16, s4, v[7:8]
	global_load_dword v13, v[22:23], off
	global_load_dword v28, v[14:15], off offset:4
	global_load_dword v29, v[14:15], off offset:40
	;; [unrolled: 1-line block ×4, first 2 shown]
	v_add_co_u32_e32 v17, vcc, v24, v11
	v_addc_co_u32_e32 v18, vcc, 0, v25, vcc
	v_add_co_u32_e32 v26, vcc, v24, v1
	v_addc_co_u32_e32 v27, vcc, v25, v20, vcc
	global_load_dword v30, v[17:18], off offset:16
	global_load_ubyte v31, v[26:27], off
	global_load_ubyte v32, v[26:27], off offset:2
	global_load_ubyte v20, v[26:27], off offset:4
	;; [unrolled: 1-line block ×3, first 2 shown]
	global_load_dword v15, v[22:23], off offset:36
                                        ; kill: killed $vgpr26 killed $vgpr27
                                        ; kill: killed $vgpr17 killed $vgpr18
	global_load_dword v14, v[24:25], off offset:80
	global_load_dword v18, v[22:23], off offset:72
	;; [unrolled: 1-line block ×3, first 2 shown]
	v_add_u32_e32 v10, 4, v10
	v_cmp_le_u32_e32 vcc, s12, v10
	v_add_u32_e32 v12, 32, v12
	s_or_b64 s[0:1], vcc, s[0:1]
	s_waitcnt vmcnt(8)
	v_and_b32_e32 v22, 0x3030303, v30
	v_dot4_i32_i8 v22, v22, v28, 0
	s_waitcnt vmcnt(7)
	v_and_b32_e32 v23, 15, v31
	v_mul_lo_u32 v22, v23, v22
	v_lshrrev_b32_e32 v23, 2, v30
	v_and_b32_e32 v23, 0x3030303, v23
	v_dot4_i32_i8 v23, v23, v29, 0
	s_waitcnt vmcnt(6)
	v_and_b32_e32 v24, 15, v32
	v_mul_lo_u32 v23, v24, v23
	v_lshrrev_b32_e32 v24, 4, v30
	;; [unrolled: 6-line block ×4, first 2 shown]
	v_mul_lo_u32 v26, v26, s3
	v_lshrrev_b32_e32 v27, 4, v32
	v_lshrrev_b32_e32 v21, 4, v21
	v_mul_lo_u32 v27, v27, s3
	v_lshrrev_b32_e32 v20, 4, v20
	v_mul_lo_u32 v21, v21, s3
	v_mul_lo_u32 v20, v20, s3
	v_dot4_i32_i8 v26, v26, v28, 0
	v_dot4_i32_i8 v27, v27, v29, 0
	v_dot4_i32_i8 v16, v21, v16, 0
	v_cvt_f32_i32_e32 v21, v22
	v_cvt_f32_i32_e32 v22, v26
	v_dot4_i32_i8 v19, v20, v19, 0
	v_cvt_f32_i32_e32 v26, v27
	v_cvt_f32_i32_e32 v19, v19
	;; [unrolled: 1-line block ×5, first 2 shown]
	s_waitcnt vmcnt(2)
	v_cvt_f32_f16_sdwa v20, v14 dst_sel:DWORD dst_unused:UNUSED_PAD src0_sel:WORD_1
	v_cvt_f32_i32_e32 v25, v25
	v_fma_mix_f32 v21, v13, v21, 0 op_sel_hi:[1,0,0]
	v_fma_mix_f32 v13, v13, v22, 0 op_sel_hi:[1,0,0]
	;; [unrolled: 1-line block ×4, first 2 shown]
	s_waitcnt vmcnt(1)
	v_fma_mix_f32 v13, v18, v19, v13 op_sel_hi:[1,0,0]
	v_fma_mix_f32 v15, v18, v24, v21 op_sel_hi:[1,0,0]
	s_waitcnt vmcnt(0)
	v_fma_mix_f32 v13, v17, v16, v13 op_sel_hi:[1,0,0]
	v_fma_mix_f32 v15, v17, v25, v15 op_sel_hi:[1,0,0]
	v_mul_f32_e32 v13, v13, v20
	v_fma_mix_f32 v13, v15, v14, -v13 op_sel_hi:[0,1,0]
	v_add_f32_e32 v2, v2, v13
	s_andn2_b64 exec, exec, s[0:1]
	s_cbranch_execnz .LBB261_3
; %bb.4:
	s_or_b64 exec, exec, s[0:1]
.LBB261_5:
	s_or_b64 exec, exec, s[10:11]
	v_mbcnt_lo_u32_b32 v1, -1, 0
	v_mbcnt_hi_u32_b32 v3, -1, v1
	v_and_b32_e32 v1, 64, v3
	v_add_u32_e32 v4, 64, v1
	v_xor_b32_e32 v1, 32, v3
	v_cmp_lt_i32_e32 vcc, v1, v4
	v_cndmask_b32_e32 v1, v3, v1, vcc
	v_lshlrev_b32_e32 v1, 2, v1
	ds_bpermute_b32 v1, v1, v2
	v_xor_b32_e32 v5, 16, v3
	v_cmp_lt_i32_e32 vcc, v5, v4
	s_waitcnt lgkmcnt(0)
	v_add_f32_e32 v1, v2, v1
	v_cndmask_b32_e32 v2, v3, v5, vcc
	v_lshlrev_b32_e32 v2, 2, v2
	ds_bpermute_b32 v2, v2, v1
	v_xor_b32_e32 v5, 8, v3
	v_cmp_lt_i32_e32 vcc, v5, v4
	s_waitcnt lgkmcnt(0)
	v_add_f32_e32 v1, v1, v2
	;; [unrolled: 7-line block ×5, first 2 shown]
	v_cndmask_b32_e32 v2, v3, v5, vcc
	v_lshlrev_b32_e32 v2, 2, v2
	ds_bpermute_b32 v2, v2, v1
	v_cmp_eq_u32_e32 vcc, 0, v0
	s_and_b64 exec, exec, vcc
	s_cbranch_execz .LBB261_7
; %bb.6:
	s_waitcnt lgkmcnt(0)
	v_add_f32_e32 v0, v1, v2
	s_mul_i32 s0, s2, s8
	v_cvt_f16_f32_e32 v2, v0
	v_add_u32_e32 v0, s0, v9
	v_mov_b32_e32 v1, 0
	v_lshlrev_b64 v[0:1], 1, v[0:1]
	v_mov_b32_e32 v3, s7
	v_add_co_u32_e32 v0, vcc, s6, v0
	v_addc_co_u32_e32 v1, vcc, v3, v1, vcc
	global_store_short v[0:1], v2, off
.LBB261_7:
	s_endpgm
	.section	.rodata,"a",@progbits
	.p2align	6, 0x0
	.amdhsa_kernel _ZL9moe_vec_qIN3c104HalfELi256ELi16E10block_q2_KLi1EXadL_ZL17vec_dot_q2_K_q8_1PKvPK10block_q8_1RKiEEEvS4_S4_PT_PS8_iiii
		.amdhsa_group_segment_fixed_size 0
		.amdhsa_private_segment_fixed_size 0
		.amdhsa_kernarg_size 304
		.amdhsa_user_sgpr_count 6
		.amdhsa_user_sgpr_private_segment_buffer 1
		.amdhsa_user_sgpr_dispatch_ptr 0
		.amdhsa_user_sgpr_queue_ptr 0
		.amdhsa_user_sgpr_kernarg_segment_ptr 1
		.amdhsa_user_sgpr_dispatch_id 0
		.amdhsa_user_sgpr_flat_scratch_init 0
		.amdhsa_user_sgpr_private_segment_size 0
		.amdhsa_uses_dynamic_stack 0
		.amdhsa_system_sgpr_private_segment_wavefront_offset 0
		.amdhsa_system_sgpr_workgroup_id_x 1
		.amdhsa_system_sgpr_workgroup_id_y 0
		.amdhsa_system_sgpr_workgroup_id_z 1
		.amdhsa_system_sgpr_workgroup_info 0
		.amdhsa_system_vgpr_workitem_id 1
		.amdhsa_next_free_vgpr 33
		.amdhsa_next_free_sgpr 20
		.amdhsa_reserve_vcc 1
		.amdhsa_reserve_flat_scratch 0
		.amdhsa_float_round_mode_32 0
		.amdhsa_float_round_mode_16_64 0
		.amdhsa_float_denorm_mode_32 3
		.amdhsa_float_denorm_mode_16_64 3
		.amdhsa_dx10_clamp 1
		.amdhsa_ieee_mode 1
		.amdhsa_fp16_overflow 0
		.amdhsa_exception_fp_ieee_invalid_op 0
		.amdhsa_exception_fp_denorm_src 0
		.amdhsa_exception_fp_ieee_div_zero 0
		.amdhsa_exception_fp_ieee_overflow 0
		.amdhsa_exception_fp_ieee_underflow 0
		.amdhsa_exception_fp_ieee_inexact 0
		.amdhsa_exception_int_div_zero 0
	.end_amdhsa_kernel
	.section	.text._ZL9moe_vec_qIN3c104HalfELi256ELi16E10block_q2_KLi1EXadL_ZL17vec_dot_q2_K_q8_1PKvPK10block_q8_1RKiEEEvS4_S4_PT_PS8_iiii,"axG",@progbits,_ZL9moe_vec_qIN3c104HalfELi256ELi16E10block_q2_KLi1EXadL_ZL17vec_dot_q2_K_q8_1PKvPK10block_q8_1RKiEEEvS4_S4_PT_PS8_iiii,comdat
.Lfunc_end261:
	.size	_ZL9moe_vec_qIN3c104HalfELi256ELi16E10block_q2_KLi1EXadL_ZL17vec_dot_q2_K_q8_1PKvPK10block_q8_1RKiEEEvS4_S4_PT_PS8_iiii, .Lfunc_end261-_ZL9moe_vec_qIN3c104HalfELi256ELi16E10block_q2_KLi1EXadL_ZL17vec_dot_q2_K_q8_1PKvPK10block_q8_1RKiEEEvS4_S4_PT_PS8_iiii
                                        ; -- End function
	.set _ZL9moe_vec_qIN3c104HalfELi256ELi16E10block_q2_KLi1EXadL_ZL17vec_dot_q2_K_q8_1PKvPK10block_q8_1RKiEEEvS4_S4_PT_PS8_iiii.num_vgpr, 33
	.set _ZL9moe_vec_qIN3c104HalfELi256ELi16E10block_q2_KLi1EXadL_ZL17vec_dot_q2_K_q8_1PKvPK10block_q8_1RKiEEEvS4_S4_PT_PS8_iiii.num_agpr, 0
	.set _ZL9moe_vec_qIN3c104HalfELi256ELi16E10block_q2_KLi1EXadL_ZL17vec_dot_q2_K_q8_1PKvPK10block_q8_1RKiEEEvS4_S4_PT_PS8_iiii.numbered_sgpr, 20
	.set _ZL9moe_vec_qIN3c104HalfELi256ELi16E10block_q2_KLi1EXadL_ZL17vec_dot_q2_K_q8_1PKvPK10block_q8_1RKiEEEvS4_S4_PT_PS8_iiii.num_named_barrier, 0
	.set _ZL9moe_vec_qIN3c104HalfELi256ELi16E10block_q2_KLi1EXadL_ZL17vec_dot_q2_K_q8_1PKvPK10block_q8_1RKiEEEvS4_S4_PT_PS8_iiii.private_seg_size, 0
	.set _ZL9moe_vec_qIN3c104HalfELi256ELi16E10block_q2_KLi1EXadL_ZL17vec_dot_q2_K_q8_1PKvPK10block_q8_1RKiEEEvS4_S4_PT_PS8_iiii.uses_vcc, 1
	.set _ZL9moe_vec_qIN3c104HalfELi256ELi16E10block_q2_KLi1EXadL_ZL17vec_dot_q2_K_q8_1PKvPK10block_q8_1RKiEEEvS4_S4_PT_PS8_iiii.uses_flat_scratch, 0
	.set _ZL9moe_vec_qIN3c104HalfELi256ELi16E10block_q2_KLi1EXadL_ZL17vec_dot_q2_K_q8_1PKvPK10block_q8_1RKiEEEvS4_S4_PT_PS8_iiii.has_dyn_sized_stack, 0
	.set _ZL9moe_vec_qIN3c104HalfELi256ELi16E10block_q2_KLi1EXadL_ZL17vec_dot_q2_K_q8_1PKvPK10block_q8_1RKiEEEvS4_S4_PT_PS8_iiii.has_recursion, 0
	.set _ZL9moe_vec_qIN3c104HalfELi256ELi16E10block_q2_KLi1EXadL_ZL17vec_dot_q2_K_q8_1PKvPK10block_q8_1RKiEEEvS4_S4_PT_PS8_iiii.has_indirect_call, 0
	.section	.AMDGPU.csdata,"",@progbits
; Kernel info:
; codeLenInByte = 1188
; TotalNumSgprs: 24
; NumVgprs: 33
; ScratchSize: 0
; MemoryBound: 0
; FloatMode: 240
; IeeeMode: 1
; LDSByteSize: 0 bytes/workgroup (compile time only)
; SGPRBlocks: 2
; VGPRBlocks: 8
; NumSGPRsForWavesPerEU: 24
; NumVGPRsForWavesPerEU: 33
; Occupancy: 7
; WaveLimiterHint : 1
; COMPUTE_PGM_RSRC2:SCRATCH_EN: 0
; COMPUTE_PGM_RSRC2:USER_SGPR: 6
; COMPUTE_PGM_RSRC2:TRAP_HANDLER: 0
; COMPUTE_PGM_RSRC2:TGID_X_EN: 1
; COMPUTE_PGM_RSRC2:TGID_Y_EN: 0
; COMPUTE_PGM_RSRC2:TGID_Z_EN: 1
; COMPUTE_PGM_RSRC2:TIDIG_COMP_CNT: 1
	.section	.text._ZL9moe_vec_qIN3c104HalfELi256ELi16E10block_q3_KLi1EXadL_ZL17vec_dot_q3_K_q8_1PKvPK10block_q8_1RKiEEEvS4_S4_PT_PS8_iiii,"axG",@progbits,_ZL9moe_vec_qIN3c104HalfELi256ELi16E10block_q3_KLi1EXadL_ZL17vec_dot_q3_K_q8_1PKvPK10block_q8_1RKiEEEvS4_S4_PT_PS8_iiii,comdat
	.globl	_ZL9moe_vec_qIN3c104HalfELi256ELi16E10block_q3_KLi1EXadL_ZL17vec_dot_q3_K_q8_1PKvPK10block_q8_1RKiEEEvS4_S4_PT_PS8_iiii ; -- Begin function _ZL9moe_vec_qIN3c104HalfELi256ELi16E10block_q3_KLi1EXadL_ZL17vec_dot_q3_K_q8_1PKvPK10block_q8_1RKiEEEvS4_S4_PT_PS8_iiii
	.p2align	8
	.type	_ZL9moe_vec_qIN3c104HalfELi256ELi16E10block_q3_KLi1EXadL_ZL17vec_dot_q3_K_q8_1PKvPK10block_q8_1RKiEEEvS4_S4_PT_PS8_iiii,@function
_ZL9moe_vec_qIN3c104HalfELi256ELi16E10block_q3_KLi1EXadL_ZL17vec_dot_q3_K_q8_1PKvPK10block_q8_1RKiEEEvS4_S4_PT_PS8_iiii: ; @_ZL9moe_vec_qIN3c104HalfELi256ELi16E10block_q3_KLi1EXadL_ZL17vec_dot_q3_K_q8_1PKvPK10block_q8_1RKiEEEvS4_S4_PT_PS8_iiii
; %bb.0:
	s_mov_b32 s8, s7
	s_load_dword s7, s[4:5], 0x3c
	s_load_dwordx4 s[0:3], s[4:5], 0x20
	s_waitcnt lgkmcnt(0)
	s_lshr_b32 s7, s7, 16
	s_mul_i32 s6, s6, s7
	v_add_u32_e32 v9, s6, v1
	v_cmp_gt_u32_e32 vcc, s2, v9
	s_and_saveexec_b64 s[6:7], vcc
	s_cbranch_execz .LBB262_7
; %bb.1:
	s_load_dwordx2 s[6:7], s[4:5], 0x10
	s_ashr_i32 s9, s1, 31
	s_lshr_b32 s9, s9, 24
	s_add_i32 s1, s1, s9
	s_ashr_i32 s12, s1, 8
	v_lshrrev_b32_e32 v10, 4, v0
	v_cmp_gt_u32_e32 vcc, s12, v10
	v_mov_b32_e32 v2, 0
	s_and_saveexec_b64 s[10:11], vcc
	s_cbranch_execz .LBB262_5
; %bb.2:
	v_cvt_f32_u32_e32 v1, s0
	s_load_dwordx2 s[14:15], s[4:5], 0x18
	s_load_dwordx4 s[16:19], s[4:5], 0x0
	v_and_b32_e32 v2, 15, v0
	v_rcp_iflag_f32_e32 v3, v1
	v_subrev_co_u32_e32 v1, vcc, 8, v2
	s_mov_b32 s9, 0
	v_cndmask_b32_e32 v1, v1, v2, vcc
	v_mul_f32_e32 v3, 0x4f7ffffe, v3
	s_lshl_b64 s[20:21], s[8:9], 2
	v_sub_u32_e32 v5, v2, v1
	v_cvt_u32_f32_e32 v3, v3
	v_cmp_lt_u32_e32 vcc, 3, v1
	s_waitcnt lgkmcnt(0)
	s_add_u32 s4, s14, s20
	v_addc_co_u32_e32 v5, vcc, 0, v5, vcc
	s_addc_u32 s5, s15, s21
	v_mov_b32_e32 v4, 7
	v_add_u16_e32 v11, 2, v5
	s_load_dword s4, s[4:5], 0x0
	v_mov_b32_e32 v7, 5
	v_mov_b32_e32 v8, 6
	v_lshrrev_b16_sdwa v12, v4, sext(v11) dst_sel:DWORD dst_unused:UNUSED_PAD src0_sel:DWORD src1_sel:BYTE_0
	v_readfirstlane_b32 s1, v3
	v_lshrrev_b16_sdwa v3, v7, v12 dst_sel:DWORD dst_unused:UNUSED_PAD src0_sel:DWORD src1_sel:BYTE_0
	v_lshrrev_b16_sdwa v12, v8, v12 dst_sel:DWORD dst_unused:UNUSED_PAD src0_sel:DWORD src1_sel:BYTE_0
	v_add_u16_e32 v13, v11, v3
	v_add_u16_e32 v14, v11, v12
	v_and_b32_e32 v3, 0xf8, v13
	v_and_b32_e32 v12, 0xfc, v14
	s_mul_i32 s5, s12, s2
	v_sub_u16_e32 v3, v11, v3
	v_sub_u16_e32 v24, v11, v12
	v_add_u16_e32 v11, 4, v5
	s_waitcnt lgkmcnt(0)
	s_mul_i32 s4, s5, s4
	v_lshrrev_b16_sdwa v12, v4, sext(v11) dst_sel:DWORD dst_unused:UNUSED_PAD src0_sel:DWORD src1_sel:BYTE_0
	s_mul_hi_i32 s5, s4, 0x6e
	s_mulk_i32 s4, 0x6e
	v_lshrrev_b16_sdwa v15, v7, v12 dst_sel:DWORD dst_unused:UNUSED_PAD src0_sel:DWORD src1_sel:BYTE_0
	s_add_u32 s4, s16, s4
	v_add_u16_e32 v15, v11, v15
	s_addc_u32 s5, s17, s5
	s_sub_i32 s14, 0, s0
	v_and_b32_e32 v16, 0xf8, v15
	v_lshrrev_b16_sdwa v12, v8, v12 dst_sel:DWORD dst_unused:UNUSED_PAD src0_sel:DWORD src1_sel:BYTE_0
	s_mul_i32 s14, s14, s1
	v_sub_u16_e32 v25, v11, v16
	v_add_u16_e32 v16, v11, v12
	s_mul_hi_u32 s14, s1, s14
	v_lshrrev_b16_sdwa v6, v4, sext(v5) dst_sel:DWORD dst_unused:UNUSED_PAD src0_sel:DWORD src1_sel:BYTE_0
	v_and_b32_e32 v12, 0xfc, v16
	s_add_i32 s1, s1, s14
	v_sub_u16_e32 v26, v11, v12
	v_lshrrev_b16_sdwa v11, v7, v6 dst_sel:DWORD dst_unused:UNUSED_PAD src0_sel:DWORD src1_sel:BYTE_0
	s_mul_hi_u32 s1, s8, s1
	v_add_u16_e32 v11, v5, v11
	v_lshrrev_b16_sdwa v6, v8, v6 dst_sel:DWORD dst_unused:UNUSED_PAD src0_sel:DWORD src1_sel:BYTE_0
	s_mul_i32 s14, s1, s0
	v_and_b32_e32 v12, 0xf8, v11
	v_add_u16_e32 v6, v5, v6
	s_sub_i32 s14, s8, s14
	v_sub_u16_e32 v21, v5, v12
	v_and_b32_e32 v12, 0xfc, v6
	s_add_i32 s15, s1, 1
	s_sub_i32 s16, s14, s0
	v_sub_u16_e32 v22, v5, v12
	v_add_u16_e32 v5, 6, v5
	s_cmp_ge_u32 s14, s0
	v_lshrrev_b16_sdwa v4, v4, sext(v5) dst_sel:DWORD dst_unused:UNUSED_PAD src0_sel:DWORD src1_sel:BYTE_0
	s_cselect_b32 s1, s15, s1
	v_lshrrev_b16_sdwa v7, v7, v4 dst_sel:DWORD dst_unused:UNUSED_PAD src0_sel:DWORD src1_sel:BYTE_0
	s_cselect_b32 s14, s16, s14
	s_add_i32 s15, s1, 1
	v_lshrrev_b16_sdwa v4, v8, v4 dst_sel:DWORD dst_unused:UNUSED_PAD src0_sel:DWORD src1_sel:BYTE_0
	v_mov_b32_e32 v8, 3
	v_add_u16_e32 v7, v5, v7
	s_cmp_ge_u32 s14, s0
	v_lshrrev_b16_sdwa v11, v8, sext(v11) dst_sel:DWORD dst_unused:UNUSED_PAD src0_sel:DWORD src1_sel:BYTE_0
	v_mov_b32_e32 v17, 2
	v_lshrrev_b16_sdwa v12, v8, sext(v13) dst_sel:DWORD dst_unused:UNUSED_PAD src0_sel:DWORD src1_sel:BYTE_0
	v_lshrrev_b16_sdwa v13, v8, sext(v15) dst_sel:DWORD dst_unused:UNUSED_PAD src0_sel:DWORD src1_sel:BYTE_0
	;; [unrolled: 1-line block ×3, first 2 shown]
	v_add_u16_e32 v4, v5, v4
	s_cselect_b32 s0, s15, s1
	v_ashrrev_i16_sdwa v18, v17, sext(v14) dst_sel:DWORD dst_unused:UNUSED_PAD src0_sel:DWORD src1_sel:BYTE_0
	v_and_b32_e32 v7, 0xf8, v7
	v_lshlrev_b32_sdwa v14, v17, v8 dst_sel:DWORD dst_unused:UNUSED_PAD src0_sel:DWORD src1_sel:BYTE_0
	v_lshrrev_b16_sdwa v8, v17, sext(v4) dst_sel:DWORD dst_unused:UNUSED_PAD src0_sel:DWORD src1_sel:BYTE_0
	v_and_b32_e32 v4, 0xfc, v4
	s_mul_i32 s0, s0, s3
	s_mov_b32 s1, s9
	v_ashrrev_i16_sdwa v6, v17, sext(v6) dst_sel:DWORD dst_unused:UNUSED_PAD src0_sel:DWORD src1_sel:BYTE_0
	v_lshrrev_b16_sdwa v19, v17, sext(v16) dst_sel:DWORD dst_unused:UNUSED_PAD src0_sel:DWORD src1_sel:BYTE_0
	v_sub_u16_e32 v7, v5, v7
	v_sub_u16_e32 v4, v5, v4
	v_mov_b32_e32 v5, 1
	s_lshl_b64 s[0:1], s[0:1], 2
	v_lshlrev_b32_sdwa v11, v17, v11 dst_sel:DWORD dst_unused:UNUSED_PAD src0_sel:DWORD src1_sel:BYTE_0
	v_lshlrev_b32_sdwa v12, v17, v12 dst_sel:DWORD dst_unused:UNUSED_PAD src0_sel:DWORD src1_sel:BYTE_0
	;; [unrolled: 1-line block ×3, first 2 shown]
	v_lshlrev_b32_sdwa v15, v5, sext(v6) dst_sel:DWORD dst_unused:UNUSED_PAD src0_sel:DWORD src1_sel:WORD_0
	v_lshlrev_b32_sdwa v16, v5, sext(v18) dst_sel:DWORD dst_unused:UNUSED_PAD src0_sel:DWORD src1_sel:WORD_0
	v_lshlrev_b32_sdwa v17, v5, v19 dst_sel:DWORD dst_unused:UNUSED_PAD src0_sel:DWORD src1_sel:BYTE_0
	v_lshlrev_b32_sdwa v18, v5, v8 dst_sel:DWORD dst_unused:UNUSED_PAD src0_sel:DWORD src1_sel:BYTE_0
	s_add_u32 s14, s18, s0
	v_lshrrev_b32_e32 v5, 1, v0
	s_addc_u32 s15, s19, s1
	v_and_b32_e32 v19, 4, v5
	v_bfe_i32 v23, v3, 0, 8
	v_bfe_i32 v28, v4, 0, 8
	v_mul_lo_u32 v29, v9, s12
	v_mad_u64_u32 v[3:4], s[14:15], v19, 36, s[14:15]
	v_lshlrev_b32_e32 v20, 2, v2
	v_mov_b32_e32 v2, 0
	v_bfe_i32 v21, v21, 0, 8
	v_bfe_i32 v22, v22, 0, 8
	;; [unrolled: 1-line block ×6, first 2 shown]
	v_lshlrev_b64 v[5:6], 2, v[1:2]
	s_movk_i32 s13, 0x6e
	s_mov_b64 s[0:1], 0
	v_ashrrev_i32_e32 v30, 31, v21
	v_ashrrev_i32_e32 v31, 31, v22
	;; [unrolled: 1-line block ×8, first 2 shown]
	v_lshlrev_b32_e32 v1, 3, v10
.LBB262_3:                              ; =>This Inner Loop Header: Depth=1
	v_mov_b32_e32 v8, s5
	v_mad_i64_i32 v[46:47], s[14:15], v1, 36, v[3:4]
	v_add_u32_e32 v38, v29, v10
	v_mov_b32_e32 v7, s4
	v_mad_i64_i32 v[7:8], s[14:15], v38, s13, v[7:8]
	v_add_co_u32_e32 v38, vcc, v46, v5
	v_addc_co_u32_e32 v39, vcc, v47, v6, vcc
	global_load_dword v42, v[38:39], off offset:4
	global_load_dword v43, v[38:39], off offset:40
	;; [unrolled: 1-line block ×3, first 2 shown]
	s_nop 0
	global_load_dword v38, v[38:39], off offset:112
	s_nop 0
	global_load_dword v45, v[46:47], off
	global_load_dword v44, v[46:47], off offset:36
	global_load_dword v41, v[46:47], off offset:72
	;; [unrolled: 1-line block ×3, first 2 shown]
	v_add_co_u32_e32 v46, vcc, v7, v21
	v_addc_co_u32_e32 v47, vcc, v8, v30, vcc
	global_load_ubyte v48, v[46:47], off offset:96
	v_add_co_u32_e32 v46, vcc, v7, v22
	v_addc_co_u32_e32 v47, vcc, v8, v31, vcc
	global_load_ubyte v49, v[46:47], off offset:104
	;; [unrolled: 3-line block ×4, first 2 shown]
	v_add_co_u32_e32 v46, vcc, v7, v5
	v_addc_co_u32_e32 v47, vcc, v8, v6, vcc
	global_load_dword v52, v[46:47], off
	v_add_co_u32_e32 v46, vcc, v7, v20
	v_addc_co_u32_e32 v47, vcc, 0, v8, vcc
	global_load_dword v53, v[46:47], off offset:32
	v_add_co_u32_e32 v46, vcc, v7, v25
	v_addc_co_u32_e32 v47, vcc, v8, v34, vcc
	global_load_ubyte v54, v[46:47], off offset:96
	v_add_co_u32_e32 v46, vcc, v7, v26
	v_addc_co_u32_e32 v47, vcc, v8, v35, vcc
	global_load_ubyte v55, v[46:47], off offset:104
	;; [unrolled: 3-line block ×4, first 2 shown]
	v_add_u32_e32 v10, 4, v10
	global_load_ushort v7, v[7:8], off offset:108
	v_cmp_le_u32_e32 vcc, s12, v10
	s_or_b64 s[0:1], vcc, s[0:1]
	v_add_u32_e32 v1, 32, v1
	s_waitcnt vmcnt(10)
	v_bfe_u32 v47, v48, v11, 4
	s_waitcnt vmcnt(9)
	v_lshrrev_b32_e32 v48, v15, v49
	v_lshlrev_b32_e32 v48, 4, v48
	v_and_or_b32 v47, v48, 48, v47
	v_subrev_u32_e32 v47, 32, v47
	s_waitcnt vmcnt(8)
	v_bfe_u32 v48, v50, v12, 4
	s_waitcnt vmcnt(7)
	v_lshrrev_b32_e32 v49, v16, v51
	v_lshlrev_b32_e32 v49, 4, v49
	v_and_or_b32 v48, v49, 48, v48
	s_waitcnt vmcnt(6)
	v_ashrrev_i32_e32 v49, v19, v52
	v_not_b32_e32 v49, v49
	v_lshlrev_b32_e32 v50, 2, v49
	v_and_b32_e32 v50, 0x4040404, v50
	v_lshlrev_b32_e32 v60, 1, v49
	s_waitcnt vmcnt(5)
	v_bfe_u32 v51, v53, 24, 2
	v_and_b32_e32 v52, 0x3030303, v53
	v_sub_u16_sdwa v51, v51, v50 dst_sel:BYTE_1 dst_unused:UNUSED_PAD src0_sel:DWORD src1_sel:BYTE_3
	v_sub_u16_e32 v57, v52, v50
	v_sub_u16_sdwa v58, v52, v50 dst_sel:BYTE_1 dst_unused:UNUSED_PAD src0_sel:BYTE_1 src1_sel:BYTE_1
	v_sub_u16_sdwa v50, v52, v50 dst_sel:DWORD dst_unused:UNUSED_PAD src0_sel:WORD_1 src1_sel:WORD_1
	v_lshrrev_b32_e32 v52, 2, v53
	v_and_b32_e32 v59, 0x3030303, v52
	v_bfe_u32 v52, v52, 24, 2
	v_and_b32_e32 v60, 0x4040404, v60
	v_sub_u16_sdwa v52, v52, v60 dst_sel:BYTE_1 dst_unused:UNUSED_PAD src0_sel:DWORD src1_sel:BYTE_3
	v_sub_u16_e32 v61, v59, v60
	v_sub_u16_sdwa v62, v59, v60 dst_sel:BYTE_1 dst_unused:UNUSED_PAD src0_sel:BYTE_1 src1_sel:BYTE_1
	v_sub_u16_sdwa v59, v59, v60 dst_sel:DWORD dst_unused:UNUSED_PAD src0_sel:WORD_1 src1_sel:WORD_1
	v_or_b32_sdwa v57, v57, v58 dst_sel:DWORD dst_unused:UNUSED_PAD src0_sel:BYTE_0 src1_sel:DWORD
	v_or_b32_sdwa v50, v50, v51 dst_sel:WORD_1 dst_unused:UNUSED_PAD src0_sel:BYTE_0 src1_sel:DWORD
	v_or_b32_sdwa v51, v61, v62 dst_sel:DWORD dst_unused:UNUSED_PAD src0_sel:BYTE_0 src1_sel:DWORD
	v_or_b32_sdwa v52, v59, v52 dst_sel:WORD_1 dst_unused:UNUSED_PAD src0_sel:BYTE_0 src1_sel:DWORD
	v_or_b32_sdwa v50, v57, v50 dst_sel:DWORD dst_unused:UNUSED_PAD src0_sel:WORD_0 src1_sel:DWORD
	v_or_b32_sdwa v51, v51, v52 dst_sel:DWORD dst_unused:UNUSED_PAD src0_sel:WORD_0 src1_sel:DWORD
	v_dot4_i32_i8 v42, v50, v42, 0
	v_dot4_i32_i8 v43, v51, v43, 0
	v_mul_lo_u32 v42, v47, v42
	v_subrev_u32_e32 v47, 32, v48
	v_mul_lo_u32 v43, v47, v43
	v_and_b32_e32 v47, 0x4040404, v49
	v_cvt_f32_i32_e32 v42, v42
	v_cvt_f32_i32_e32 v43, v43
	v_fma_mix_f32 v42, v45, v42, 0 op_sel_hi:[1,0,0]
	v_fma_mix_f32 v42, v44, v43, v42 op_sel_hi:[1,0,0]
	s_waitcnt vmcnt(3)
	v_lshrrev_b32_e32 v44, v17, v55
	v_bfe_u32 v43, v54, v13, 4
	v_lshlrev_b32_e32 v44, 4, v44
	v_and_or_b32 v43, v44, 48, v43
	v_lshrrev_b32_e32 v44, 4, v53
	v_and_b32_e32 v45, 0x3030303, v44
	v_bfe_u32 v44, v44, 24, 2
	v_sub_u16_sdwa v44, v44, v47 dst_sel:BYTE_1 dst_unused:UNUSED_PAD src0_sel:DWORD src1_sel:BYTE_3
	v_sub_u16_e32 v48, v45, v47
	v_sub_u16_sdwa v50, v45, v47 dst_sel:BYTE_1 dst_unused:UNUSED_PAD src0_sel:BYTE_1 src1_sel:BYTE_1
	v_sub_u16_sdwa v45, v45, v47 dst_sel:DWORD dst_unused:UNUSED_PAD src0_sel:WORD_1 src1_sel:WORD_1
	v_or_b32_sdwa v47, v48, v50 dst_sel:DWORD dst_unused:UNUSED_PAD src0_sel:BYTE_0 src1_sel:DWORD
	v_or_b32_sdwa v44, v45, v44 dst_sel:WORD_1 dst_unused:UNUSED_PAD src0_sel:BYTE_0 src1_sel:DWORD
	v_or_b32_sdwa v44, v47, v44 dst_sel:DWORD dst_unused:UNUSED_PAD src0_sel:WORD_0 src1_sel:DWORD
	v_dot4_i32_i8 v40, v44, v40, 0
	v_subrev_u32_e32 v43, 32, v43
	v_mul_lo_u32 v40, v43, v40
	v_lshrrev_b32_e32 v44, 1, v49
	v_lshrrev_b32_e32 v43, 30, v53
	v_and_b32_e32 v44, 0x4040404, v44
	v_cvt_f32_i32_e32 v40, v40
	v_sub_u16_sdwa v43, v43, v44 dst_sel:BYTE_1 dst_unused:UNUSED_PAD src0_sel:DWORD src1_sel:BYTE_3
	v_fma_mix_f32 v40, v41, v40, v42 op_sel_hi:[1,0,0]
	s_waitcnt vmcnt(1)
	v_lshrrev_b32_e32 v42, v18, v46
	v_bfe_u32 v41, v56, v14, 4
	v_lshlrev_b32_e32 v42, 4, v42
	v_and_or_b32 v41, v42, 48, v41
	v_lshrrev_b32_e32 v42, 6, v53
	v_and_b32_e32 v42, 0x3030303, v42
	v_sub_u16_e32 v45, v42, v44
	v_sub_u16_sdwa v46, v42, v44 dst_sel:BYTE_1 dst_unused:UNUSED_PAD src0_sel:BYTE_1 src1_sel:BYTE_1
	v_sub_u16_sdwa v42, v42, v44 dst_sel:DWORD dst_unused:UNUSED_PAD src0_sel:WORD_1 src1_sel:WORD_1
	v_or_b32_sdwa v44, v45, v46 dst_sel:DWORD dst_unused:UNUSED_PAD src0_sel:BYTE_0 src1_sel:DWORD
	v_or_b32_sdwa v42, v42, v43 dst_sel:WORD_1 dst_unused:UNUSED_PAD src0_sel:BYTE_0 src1_sel:DWORD
	v_or_b32_sdwa v42, v44, v42 dst_sel:DWORD dst_unused:UNUSED_PAD src0_sel:WORD_0 src1_sel:DWORD
	v_dot4_i32_i8 v38, v42, v38, 0
	v_subrev_u32_e32 v41, 32, v41
	v_mul_lo_u32 v38, v41, v38
	v_cvt_f32_i32_e32 v38, v38
	v_fma_mix_f32 v38, v39, v38, v40 op_sel_hi:[1,0,0]
	s_waitcnt vmcnt(0)
	v_fma_mix_f32 v2, v38, v7, v2 op_sel_hi:[0,1,0]
	s_andn2_b64 exec, exec, s[0:1]
	s_cbranch_execnz .LBB262_3
; %bb.4:
	s_or_b64 exec, exec, s[0:1]
.LBB262_5:
	s_or_b64 exec, exec, s[10:11]
	v_mbcnt_lo_u32_b32 v1, -1, 0
	v_mbcnt_hi_u32_b32 v3, -1, v1
	v_and_b32_e32 v1, 64, v3
	v_add_u32_e32 v4, 64, v1
	v_xor_b32_e32 v1, 32, v3
	v_cmp_lt_i32_e32 vcc, v1, v4
	v_cndmask_b32_e32 v1, v3, v1, vcc
	v_lshlrev_b32_e32 v1, 2, v1
	ds_bpermute_b32 v1, v1, v2
	v_xor_b32_e32 v5, 16, v3
	v_cmp_lt_i32_e32 vcc, v5, v4
	s_waitcnt lgkmcnt(0)
	v_add_f32_e32 v1, v2, v1
	v_cndmask_b32_e32 v2, v3, v5, vcc
	v_lshlrev_b32_e32 v2, 2, v2
	ds_bpermute_b32 v2, v2, v1
	v_xor_b32_e32 v5, 8, v3
	v_cmp_lt_i32_e32 vcc, v5, v4
	s_waitcnt lgkmcnt(0)
	v_add_f32_e32 v1, v1, v2
	;; [unrolled: 7-line block ×5, first 2 shown]
	v_cndmask_b32_e32 v2, v3, v5, vcc
	v_lshlrev_b32_e32 v2, 2, v2
	ds_bpermute_b32 v2, v2, v1
	v_cmp_eq_u32_e32 vcc, 0, v0
	s_and_b64 exec, exec, vcc
	s_cbranch_execz .LBB262_7
; %bb.6:
	s_waitcnt lgkmcnt(0)
	v_add_f32_e32 v0, v1, v2
	s_mul_i32 s0, s2, s8
	v_cvt_f16_f32_e32 v2, v0
	v_add_u32_e32 v0, s0, v9
	v_mov_b32_e32 v1, 0
	v_lshlrev_b64 v[0:1], 1, v[0:1]
	v_mov_b32_e32 v3, s7
	v_add_co_u32_e32 v0, vcc, s6, v0
	v_addc_co_u32_e32 v1, vcc, v3, v1, vcc
	global_store_short v[0:1], v2, off
.LBB262_7:
	s_endpgm
	.section	.rodata,"a",@progbits
	.p2align	6, 0x0
	.amdhsa_kernel _ZL9moe_vec_qIN3c104HalfELi256ELi16E10block_q3_KLi1EXadL_ZL17vec_dot_q3_K_q8_1PKvPK10block_q8_1RKiEEEvS4_S4_PT_PS8_iiii
		.amdhsa_group_segment_fixed_size 0
		.amdhsa_private_segment_fixed_size 0
		.amdhsa_kernarg_size 304
		.amdhsa_user_sgpr_count 6
		.amdhsa_user_sgpr_private_segment_buffer 1
		.amdhsa_user_sgpr_dispatch_ptr 0
		.amdhsa_user_sgpr_queue_ptr 0
		.amdhsa_user_sgpr_kernarg_segment_ptr 1
		.amdhsa_user_sgpr_dispatch_id 0
		.amdhsa_user_sgpr_flat_scratch_init 0
		.amdhsa_user_sgpr_private_segment_size 0
		.amdhsa_uses_dynamic_stack 0
		.amdhsa_system_sgpr_private_segment_wavefront_offset 0
		.amdhsa_system_sgpr_workgroup_id_x 1
		.amdhsa_system_sgpr_workgroup_id_y 0
		.amdhsa_system_sgpr_workgroup_id_z 1
		.amdhsa_system_sgpr_workgroup_info 0
		.amdhsa_system_vgpr_workitem_id 1
		.amdhsa_next_free_vgpr 63
		.amdhsa_next_free_sgpr 22
		.amdhsa_reserve_vcc 1
		.amdhsa_reserve_flat_scratch 0
		.amdhsa_float_round_mode_32 0
		.amdhsa_float_round_mode_16_64 0
		.amdhsa_float_denorm_mode_32 3
		.amdhsa_float_denorm_mode_16_64 3
		.amdhsa_dx10_clamp 1
		.amdhsa_ieee_mode 1
		.amdhsa_fp16_overflow 0
		.amdhsa_exception_fp_ieee_invalid_op 0
		.amdhsa_exception_fp_denorm_src 0
		.amdhsa_exception_fp_ieee_div_zero 0
		.amdhsa_exception_fp_ieee_overflow 0
		.amdhsa_exception_fp_ieee_underflow 0
		.amdhsa_exception_fp_ieee_inexact 0
		.amdhsa_exception_int_div_zero 0
	.end_amdhsa_kernel
	.section	.text._ZL9moe_vec_qIN3c104HalfELi256ELi16E10block_q3_KLi1EXadL_ZL17vec_dot_q3_K_q8_1PKvPK10block_q8_1RKiEEEvS4_S4_PT_PS8_iiii,"axG",@progbits,_ZL9moe_vec_qIN3c104HalfELi256ELi16E10block_q3_KLi1EXadL_ZL17vec_dot_q3_K_q8_1PKvPK10block_q8_1RKiEEEvS4_S4_PT_PS8_iiii,comdat
.Lfunc_end262:
	.size	_ZL9moe_vec_qIN3c104HalfELi256ELi16E10block_q3_KLi1EXadL_ZL17vec_dot_q3_K_q8_1PKvPK10block_q8_1RKiEEEvS4_S4_PT_PS8_iiii, .Lfunc_end262-_ZL9moe_vec_qIN3c104HalfELi256ELi16E10block_q3_KLi1EXadL_ZL17vec_dot_q3_K_q8_1PKvPK10block_q8_1RKiEEEvS4_S4_PT_PS8_iiii
                                        ; -- End function
	.set _ZL9moe_vec_qIN3c104HalfELi256ELi16E10block_q3_KLi1EXadL_ZL17vec_dot_q3_K_q8_1PKvPK10block_q8_1RKiEEEvS4_S4_PT_PS8_iiii.num_vgpr, 63
	.set _ZL9moe_vec_qIN3c104HalfELi256ELi16E10block_q3_KLi1EXadL_ZL17vec_dot_q3_K_q8_1PKvPK10block_q8_1RKiEEEvS4_S4_PT_PS8_iiii.num_agpr, 0
	.set _ZL9moe_vec_qIN3c104HalfELi256ELi16E10block_q3_KLi1EXadL_ZL17vec_dot_q3_K_q8_1PKvPK10block_q8_1RKiEEEvS4_S4_PT_PS8_iiii.numbered_sgpr, 22
	.set _ZL9moe_vec_qIN3c104HalfELi256ELi16E10block_q3_KLi1EXadL_ZL17vec_dot_q3_K_q8_1PKvPK10block_q8_1RKiEEEvS4_S4_PT_PS8_iiii.num_named_barrier, 0
	.set _ZL9moe_vec_qIN3c104HalfELi256ELi16E10block_q3_KLi1EXadL_ZL17vec_dot_q3_K_q8_1PKvPK10block_q8_1RKiEEEvS4_S4_PT_PS8_iiii.private_seg_size, 0
	.set _ZL9moe_vec_qIN3c104HalfELi256ELi16E10block_q3_KLi1EXadL_ZL17vec_dot_q3_K_q8_1PKvPK10block_q8_1RKiEEEvS4_S4_PT_PS8_iiii.uses_vcc, 1
	.set _ZL9moe_vec_qIN3c104HalfELi256ELi16E10block_q3_KLi1EXadL_ZL17vec_dot_q3_K_q8_1PKvPK10block_q8_1RKiEEEvS4_S4_PT_PS8_iiii.uses_flat_scratch, 0
	.set _ZL9moe_vec_qIN3c104HalfELi256ELi16E10block_q3_KLi1EXadL_ZL17vec_dot_q3_K_q8_1PKvPK10block_q8_1RKiEEEvS4_S4_PT_PS8_iiii.has_dyn_sized_stack, 0
	.set _ZL9moe_vec_qIN3c104HalfELi256ELi16E10block_q3_KLi1EXadL_ZL17vec_dot_q3_K_q8_1PKvPK10block_q8_1RKiEEEvS4_S4_PT_PS8_iiii.has_recursion, 0
	.set _ZL9moe_vec_qIN3c104HalfELi256ELi16E10block_q3_KLi1EXadL_ZL17vec_dot_q3_K_q8_1PKvPK10block_q8_1RKiEEEvS4_S4_PT_PS8_iiii.has_indirect_call, 0
	.section	.AMDGPU.csdata,"",@progbits
; Kernel info:
; codeLenInByte = 2016
; TotalNumSgprs: 26
; NumVgprs: 63
; ScratchSize: 0
; MemoryBound: 0
; FloatMode: 240
; IeeeMode: 1
; LDSByteSize: 0 bytes/workgroup (compile time only)
; SGPRBlocks: 3
; VGPRBlocks: 15
; NumSGPRsForWavesPerEU: 26
; NumVGPRsForWavesPerEU: 63
; Occupancy: 4
; WaveLimiterHint : 1
; COMPUTE_PGM_RSRC2:SCRATCH_EN: 0
; COMPUTE_PGM_RSRC2:USER_SGPR: 6
; COMPUTE_PGM_RSRC2:TRAP_HANDLER: 0
; COMPUTE_PGM_RSRC2:TGID_X_EN: 1
; COMPUTE_PGM_RSRC2:TGID_Y_EN: 0
; COMPUTE_PGM_RSRC2:TGID_Z_EN: 1
; COMPUTE_PGM_RSRC2:TIDIG_COMP_CNT: 1
	.section	.text._ZL9moe_vec_qIN3c104HalfELi256ELi32E10block_q4_KLi2EXadL_ZL17vec_dot_q4_K_q8_1PKvPK10block_q8_1RKiEEEvS4_S4_PT_PS8_iiii,"axG",@progbits,_ZL9moe_vec_qIN3c104HalfELi256ELi32E10block_q4_KLi2EXadL_ZL17vec_dot_q4_K_q8_1PKvPK10block_q8_1RKiEEEvS4_S4_PT_PS8_iiii,comdat
	.globl	_ZL9moe_vec_qIN3c104HalfELi256ELi32E10block_q4_KLi2EXadL_ZL17vec_dot_q4_K_q8_1PKvPK10block_q8_1RKiEEEvS4_S4_PT_PS8_iiii ; -- Begin function _ZL9moe_vec_qIN3c104HalfELi256ELi32E10block_q4_KLi2EXadL_ZL17vec_dot_q4_K_q8_1PKvPK10block_q8_1RKiEEEvS4_S4_PT_PS8_iiii
	.p2align	8
	.type	_ZL9moe_vec_qIN3c104HalfELi256ELi32E10block_q4_KLi2EXadL_ZL17vec_dot_q4_K_q8_1PKvPK10block_q8_1RKiEEEvS4_S4_PT_PS8_iiii,@function
_ZL9moe_vec_qIN3c104HalfELi256ELi32E10block_q4_KLi2EXadL_ZL17vec_dot_q4_K_q8_1PKvPK10block_q8_1RKiEEEvS4_S4_PT_PS8_iiii: ; @_ZL9moe_vec_qIN3c104HalfELi256ELi32E10block_q4_KLi2EXadL_ZL17vec_dot_q4_K_q8_1PKvPK10block_q8_1RKiEEEvS4_S4_PT_PS8_iiii
; %bb.0:
	s_mov_b32 s8, s7
	s_load_dword s7, s[4:5], 0x3c
	s_load_dwordx4 s[0:3], s[4:5], 0x20
	s_waitcnt lgkmcnt(0)
	s_lshr_b32 s7, s7, 16
	s_mul_i32 s6, s6, s7
	v_add_u32_e32 v9, s6, v1
	v_cmp_gt_u32_e32 vcc, s2, v9
	s_and_saveexec_b64 s[6:7], vcc
	s_cbranch_execz .LBB263_11
; %bb.1:
	s_load_dwordx2 s[6:7], s[4:5], 0x10
	s_ashr_i32 s9, s1, 31
	s_lshr_b32 s9, s9, 24
	s_add_i32 s1, s1, s9
	s_ashr_i32 s12, s1, 8
	v_lshrrev_b32_e32 v10, 4, v0
	v_cmp_gt_u32_e32 vcc, s12, v10
	v_mov_b32_e32 v11, 0
	s_and_saveexec_b64 s[10:11], vcc
	s_cbranch_execz .LBB263_9
; %bb.2:
	s_load_dwordx2 s[14:15], s[4:5], 0x18
	v_cvt_f32_u32_e32 v1, s0
	s_mov_b32 s9, 0
	s_lshl_b64 s[16:17], s[8:9], 2
	v_mul_lo_u32 v12, v9, s12
	s_waitcnt lgkmcnt(0)
	s_add_u32 s14, s14, s16
	v_rcp_iflag_f32_e32 v1, v1
	s_addc_u32 s15, s15, s17
	s_load_dword s1, s[14:15], 0x0
	s_load_dwordx4 s[16:19], s[4:5], 0x0
	s_mul_i32 s4, s12, s2
	v_mul_f32_e32 v1, 0x4f7ffffe, v1
	v_cvt_u32_f32_e32 v1, v1
	s_waitcnt lgkmcnt(0)
	s_mul_i32 s1, s4, s1
	s_mul_hi_i32 s4, s1, 0x90
	s_mulk_i32 s1, 0x90
	s_add_u32 s14, s16, s1
	s_addc_u32 s15, s17, s4
	s_sub_i32 s1, 0, s0
	v_readfirstlane_b32 s4, v1
	s_mul_i32 s1, s1, s4
	s_mul_hi_u32 s1, s4, s1
	s_add_i32 s4, s4, s1
	s_mul_hi_u32 s1, s8, s4
	s_mul_i32 s4, s1, s0
	s_sub_i32 s4, s8, s4
	s_add_i32 s5, s1, 1
	s_sub_i32 s16, s4, s0
	s_cmp_ge_u32 s4, s0
	s_cselect_b32 s1, s5, s1
	s_cselect_b32 s4, s16, s4
	s_add_i32 s5, s1, 1
	s_cmp_ge_u32 s4, s0
	s_cselect_b32 s0, s5, s1
	s_mul_i32 s0, s0, s3
	s_mov_b32 s1, s9
	s_lshl_b64 s[0:1], s[0:1], 2
	v_lshlrev_b32_e32 v1, 1, v0
	s_add_u32 s0, s18, s0
	v_bfe_u32 v5, v1, 3, 2
	s_addc_u32 s1, s19, s1
	v_and_b32_e32 v2, 30, v1
	v_lshlrev_b32_e32 v1, 1, v5
	v_cmp_lt_u32_e32 vcc, 15, v2
	v_mad_u64_u32 v[1:2], s[0:1], v1, 36, s[0:1]
	v_and_b32_e32 v6, 3, v0
	v_mov_b32_e32 v3, s14
	s_movk_i32 s13, 0x90
	v_lshlrev_b32_e32 v13, 5, v5
	v_mov_b32_e32 v11, 0
	v_lshlrev_b32_e32 v14, 2, v6
	v_lshlrev_b32_e32 v15, 3, v10
	s_mov_b64 s[4:5], 0
	v_mov_b32_e32 v4, s15
	v_lshlrev_b32_e32 v16, 1, v5
	s_mov_b32 s3, 0x5040100
	s_mov_b32 s9, 0x20004
	;; [unrolled: 1-line block ×3, first 2 shown]
	v_lshlrev_b32_e32 v17, 2, v6
	s_mov_b32 s15, 0x1010101
	s_branch .LBB263_4
.LBB263_3:                              ;   in Loop: Header=BB263_4 Depth=1
	s_or_b64 exec, exec, s[0:1]
	v_mad_i64_i32 v[7:8], s[0:1], v15, 36, v[1:2]
	v_add_u32_e32 v10, 4, v10
	v_add_u32_e32 v15, 32, v15
	v_add_co_u32_e64 v21, s[0:1], v7, v17
	v_addc_co_u32_e64 v22, s[0:1], 0, v8, s[0:1]
	global_load_dword v23, v[5:6], off
	global_load_dword v24, v[21:22], off offset:4
	global_load_dword v25, v[21:22], off offset:40
	;; [unrolled: 1-line block ×4, first 2 shown]
	global_load_dword v28, v[7:8], off
	global_load_dword v29, v[7:8], off offset:36
	s_waitcnt vmcnt(8)
	v_and_b32_e32 v5, 0xf0f0f0f, v18
	v_lshrrev_b32_e32 v8, 4, v18
	s_waitcnt vmcnt(7)
	v_and_b32_e32 v6, 0xf0f0f0f, v19
	v_lshrrev_b32_e32 v18, 4, v19
	v_and_b32_e32 v8, 0xf0f0f0f, v8
	v_and_b32_e32 v21, 0xff, v20
	;; [unrolled: 1-line block ×3, first 2 shown]
	v_lshrrev_b16_e32 v7, 8, v20
	v_lshrrev_b32_e32 v19, 24, v20
	v_bfe_u32 v20, v20, 16, 8
	v_cmp_le_u32_e64 s[0:1], s12, v10
	s_or_b64 s[4:5], s[0:1], s[4:5]
	s_waitcnt vmcnt(6)
	v_cvt_f32_f16_sdwa v22, v23 dst_sel:DWORD dst_unused:UNUSED_PAD src0_sel:WORD_1
	s_waitcnt vmcnt(5)
	v_dot4_i32_i8 v5, v5, v24, 0
	v_dot4_i32_i8 v24, s15, v24, 0
	s_waitcnt vmcnt(4)
	v_dot4_i32_i8 v8, v8, v25, 0
	v_dot4_i32_i8 v25, s15, v25, 0
	;; [unrolled: 3-line block ×4, first 2 shown]
	v_mul_lo_u32 v6, v6, v21
	v_mul_lo_u32 v5, v5, v20
	;; [unrolled: 1-line block ×4, first 2 shown]
	v_cvt_f32_i32_e32 v6, v6
	v_cvt_f32_i32_e32 v5, v5
	;; [unrolled: 1-line block ×4, first 2 shown]
	s_waitcnt vmcnt(1)
	v_fma_mix_f32 v6, v28, v6, 0 op_sel_hi:[1,0,0]
	v_fma_mix_f32 v5, v28, v5, 0 op_sel_hi:[1,0,0]
	s_waitcnt vmcnt(0)
	v_fma_mix_f32 v6, v29, v7, v6 op_sel_hi:[1,0,0]
	v_fma_mix_f32 v5, v29, v8, v5 op_sel_hi:[1,0,0]
	v_mul_f32_e32 v6, v6, v22
	v_fma_mix_f32 v5, v5, v23, -v6 op_sel_hi:[0,1,0]
	v_add_f32_e32 v11, v11, v5
	s_andn2_b64 exec, exec, s[4:5]
	s_cbranch_execz .LBB263_8
.LBB263_4:                              ; =>This Inner Loop Header: Depth=1
	v_add_u32_e32 v5, v12, v10
	v_mad_i64_i32 v[5:6], s[0:1], v5, s13, v[3:4]
                                        ; implicit-def: $vgpr20
	v_add_co_u32_e64 v7, s[0:1], v5, v13
	v_addc_co_u32_e64 v8, s[0:1], 0, v6, s[0:1]
	v_add_co_u32_e64 v7, s[0:1], v7, v14
	v_addc_co_u32_e64 v8, s[0:1], 0, v8, s[0:1]
	global_load_dword v18, v[7:8], off offset:16
	global_load_dword v19, v[7:8], off offset:32
	v_add_co_u32_e64 v7, s[0:1], v5, v16
	v_addc_co_u32_e64 v8, s[0:1], 0, v6, s[0:1]
	s_and_saveexec_b64 s[0:1], vcc
	s_xor_b64 s[0:1], exec, s[0:1]
	s_cbranch_execz .LBB263_6
; %bb.5:                                ;   in Loop: Header=BB263_4 Depth=1
	global_load_ushort v20, v[7:8], off
	global_load_ushort v21, v[7:8], off offset:8
	global_load_ushort v22, v[7:8], off offset:4
	s_waitcnt vmcnt(1)
	v_perm_b32 v7, v20, v21, s3
	s_waitcnt vmcnt(0)
	v_perm_b32 v8, v21, v22, s3
	v_pk_lshrrev_b16 v8, 2, v8
	v_pk_lshrrev_b16 v7, s9, v7
	v_and_b32_e32 v8, 0xf0f3030, v8
	v_and_or_b32 v20, v7, s14, v8
                                        ; implicit-def: $vgpr7_vgpr8
.LBB263_6:                              ;   in Loop: Header=BB263_4 Depth=1
	s_andn2_saveexec_b64 s[0:1], s[0:1]
	s_cbranch_execz .LBB263_3
; %bb.7:                                ;   in Loop: Header=BB263_4 Depth=1
	global_load_ushort v20, v[7:8], off offset:4
	global_load_ushort v21, v[7:8], off offset:8
	s_waitcnt vmcnt(0)
	v_perm_b32 v7, v20, v21, s3
	v_and_b32_e32 v20, 0x3f3f3f3f, v7
	s_branch .LBB263_3
.LBB263_8:
	s_or_b64 exec, exec, s[4:5]
.LBB263_9:
	s_or_b64 exec, exec, s[10:11]
	v_mbcnt_lo_u32_b32 v1, -1, 0
	v_mbcnt_hi_u32_b32 v2, -1, v1
	v_and_b32_e32 v1, 64, v2
	v_add_u32_e32 v3, 64, v1
	v_xor_b32_e32 v1, 32, v2
	v_cmp_lt_i32_e32 vcc, v1, v3
	v_cndmask_b32_e32 v1, v2, v1, vcc
	v_lshlrev_b32_e32 v1, 2, v1
	ds_bpermute_b32 v1, v1, v11
	v_xor_b32_e32 v4, 16, v2
	v_cmp_lt_i32_e32 vcc, v4, v3
	v_cndmask_b32_e32 v4, v2, v4, vcc
	v_lshlrev_b32_e32 v4, 2, v4
	s_waitcnt lgkmcnt(0)
	v_add_f32_e32 v1, v11, v1
	ds_bpermute_b32 v4, v4, v1
	v_xor_b32_e32 v5, 8, v2
	v_cmp_lt_i32_e32 vcc, v5, v3
	s_waitcnt lgkmcnt(0)
	v_add_f32_e32 v1, v1, v4
	v_cndmask_b32_e32 v4, v2, v5, vcc
	v_lshlrev_b32_e32 v4, 2, v4
	ds_bpermute_b32 v4, v4, v1
	v_xor_b32_e32 v5, 4, v2
	v_cmp_lt_i32_e32 vcc, v5, v3
	s_waitcnt lgkmcnt(0)
	v_add_f32_e32 v1, v1, v4
	v_cndmask_b32_e32 v4, v2, v5, vcc
	v_lshlrev_b32_e32 v4, 2, v4
	;; [unrolled: 7-line block ×3, first 2 shown]
	ds_bpermute_b32 v4, v4, v1
	v_xor_b32_e32 v5, 1, v2
	v_cmp_lt_i32_e32 vcc, v5, v3
	v_cndmask_b32_e32 v2, v2, v5, vcc
	v_lshlrev_b32_e32 v2, 2, v2
	s_waitcnt lgkmcnt(0)
	v_add_f32_e32 v1, v1, v4
	ds_bpermute_b32 v2, v2, v1
	v_cmp_eq_u32_e32 vcc, 0, v0
	s_and_b64 exec, exec, vcc
	s_cbranch_execz .LBB263_11
; %bb.10:
	s_waitcnt lgkmcnt(0)
	v_add_f32_e32 v0, v1, v2
	s_mul_i32 s0, s2, s8
	v_cvt_f16_f32_e32 v2, v0
	v_add_u32_e32 v0, s0, v9
	v_mov_b32_e32 v1, 0
	v_lshlrev_b64 v[0:1], 1, v[0:1]
	v_mov_b32_e32 v3, s7
	v_add_co_u32_e32 v0, vcc, s6, v0
	v_addc_co_u32_e32 v1, vcc, v3, v1, vcc
	global_store_short v[0:1], v2, off
.LBB263_11:
	s_endpgm
	.section	.rodata,"a",@progbits
	.p2align	6, 0x0
	.amdhsa_kernel _ZL9moe_vec_qIN3c104HalfELi256ELi32E10block_q4_KLi2EXadL_ZL17vec_dot_q4_K_q8_1PKvPK10block_q8_1RKiEEEvS4_S4_PT_PS8_iiii
		.amdhsa_group_segment_fixed_size 0
		.amdhsa_private_segment_fixed_size 0
		.amdhsa_kernarg_size 304
		.amdhsa_user_sgpr_count 6
		.amdhsa_user_sgpr_private_segment_buffer 1
		.amdhsa_user_sgpr_dispatch_ptr 0
		.amdhsa_user_sgpr_queue_ptr 0
		.amdhsa_user_sgpr_kernarg_segment_ptr 1
		.amdhsa_user_sgpr_dispatch_id 0
		.amdhsa_user_sgpr_flat_scratch_init 0
		.amdhsa_user_sgpr_private_segment_size 0
		.amdhsa_uses_dynamic_stack 0
		.amdhsa_system_sgpr_private_segment_wavefront_offset 0
		.amdhsa_system_sgpr_workgroup_id_x 1
		.amdhsa_system_sgpr_workgroup_id_y 0
		.amdhsa_system_sgpr_workgroup_id_z 1
		.amdhsa_system_sgpr_workgroup_info 0
		.amdhsa_system_vgpr_workitem_id 1
		.amdhsa_next_free_vgpr 30
		.amdhsa_next_free_sgpr 20
		.amdhsa_reserve_vcc 1
		.amdhsa_reserve_flat_scratch 0
		.amdhsa_float_round_mode_32 0
		.amdhsa_float_round_mode_16_64 0
		.amdhsa_float_denorm_mode_32 3
		.amdhsa_float_denorm_mode_16_64 3
		.amdhsa_dx10_clamp 1
		.amdhsa_ieee_mode 1
		.amdhsa_fp16_overflow 0
		.amdhsa_exception_fp_ieee_invalid_op 0
		.amdhsa_exception_fp_denorm_src 0
		.amdhsa_exception_fp_ieee_div_zero 0
		.amdhsa_exception_fp_ieee_overflow 0
		.amdhsa_exception_fp_ieee_underflow 0
		.amdhsa_exception_fp_ieee_inexact 0
		.amdhsa_exception_int_div_zero 0
	.end_amdhsa_kernel
	.section	.text._ZL9moe_vec_qIN3c104HalfELi256ELi32E10block_q4_KLi2EXadL_ZL17vec_dot_q4_K_q8_1PKvPK10block_q8_1RKiEEEvS4_S4_PT_PS8_iiii,"axG",@progbits,_ZL9moe_vec_qIN3c104HalfELi256ELi32E10block_q4_KLi2EXadL_ZL17vec_dot_q4_K_q8_1PKvPK10block_q8_1RKiEEEvS4_S4_PT_PS8_iiii,comdat
.Lfunc_end263:
	.size	_ZL9moe_vec_qIN3c104HalfELi256ELi32E10block_q4_KLi2EXadL_ZL17vec_dot_q4_K_q8_1PKvPK10block_q8_1RKiEEEvS4_S4_PT_PS8_iiii, .Lfunc_end263-_ZL9moe_vec_qIN3c104HalfELi256ELi32E10block_q4_KLi2EXadL_ZL17vec_dot_q4_K_q8_1PKvPK10block_q8_1RKiEEEvS4_S4_PT_PS8_iiii
                                        ; -- End function
	.set _ZL9moe_vec_qIN3c104HalfELi256ELi32E10block_q4_KLi2EXadL_ZL17vec_dot_q4_K_q8_1PKvPK10block_q8_1RKiEEEvS4_S4_PT_PS8_iiii.num_vgpr, 30
	.set _ZL9moe_vec_qIN3c104HalfELi256ELi32E10block_q4_KLi2EXadL_ZL17vec_dot_q4_K_q8_1PKvPK10block_q8_1RKiEEEvS4_S4_PT_PS8_iiii.num_agpr, 0
	.set _ZL9moe_vec_qIN3c104HalfELi256ELi32E10block_q4_KLi2EXadL_ZL17vec_dot_q4_K_q8_1PKvPK10block_q8_1RKiEEEvS4_S4_PT_PS8_iiii.numbered_sgpr, 20
	.set _ZL9moe_vec_qIN3c104HalfELi256ELi32E10block_q4_KLi2EXadL_ZL17vec_dot_q4_K_q8_1PKvPK10block_q8_1RKiEEEvS4_S4_PT_PS8_iiii.num_named_barrier, 0
	.set _ZL9moe_vec_qIN3c104HalfELi256ELi32E10block_q4_KLi2EXadL_ZL17vec_dot_q4_K_q8_1PKvPK10block_q8_1RKiEEEvS4_S4_PT_PS8_iiii.private_seg_size, 0
	.set _ZL9moe_vec_qIN3c104HalfELi256ELi32E10block_q4_KLi2EXadL_ZL17vec_dot_q4_K_q8_1PKvPK10block_q8_1RKiEEEvS4_S4_PT_PS8_iiii.uses_vcc, 1
	.set _ZL9moe_vec_qIN3c104HalfELi256ELi32E10block_q4_KLi2EXadL_ZL17vec_dot_q4_K_q8_1PKvPK10block_q8_1RKiEEEvS4_S4_PT_PS8_iiii.uses_flat_scratch, 0
	.set _ZL9moe_vec_qIN3c104HalfELi256ELi32E10block_q4_KLi2EXadL_ZL17vec_dot_q4_K_q8_1PKvPK10block_q8_1RKiEEEvS4_S4_PT_PS8_iiii.has_dyn_sized_stack, 0
	.set _ZL9moe_vec_qIN3c104HalfELi256ELi32E10block_q4_KLi2EXadL_ZL17vec_dot_q4_K_q8_1PKvPK10block_q8_1RKiEEEvS4_S4_PT_PS8_iiii.has_recursion, 0
	.set _ZL9moe_vec_qIN3c104HalfELi256ELi32E10block_q4_KLi2EXadL_ZL17vec_dot_q4_K_q8_1PKvPK10block_q8_1RKiEEEvS4_S4_PT_PS8_iiii.has_indirect_call, 0
	.section	.AMDGPU.csdata,"",@progbits
; Kernel info:
; codeLenInByte = 1272
; TotalNumSgprs: 24
; NumVgprs: 30
; ScratchSize: 0
; MemoryBound: 0
; FloatMode: 240
; IeeeMode: 1
; LDSByteSize: 0 bytes/workgroup (compile time only)
; SGPRBlocks: 2
; VGPRBlocks: 7
; NumSGPRsForWavesPerEU: 24
; NumVGPRsForWavesPerEU: 30
; Occupancy: 8
; WaveLimiterHint : 1
; COMPUTE_PGM_RSRC2:SCRATCH_EN: 0
; COMPUTE_PGM_RSRC2:USER_SGPR: 6
; COMPUTE_PGM_RSRC2:TRAP_HANDLER: 0
; COMPUTE_PGM_RSRC2:TGID_X_EN: 1
; COMPUTE_PGM_RSRC2:TGID_Y_EN: 0
; COMPUTE_PGM_RSRC2:TGID_Z_EN: 1
; COMPUTE_PGM_RSRC2:TIDIG_COMP_CNT: 1
	.section	.text._ZL9moe_vec_qIN3c104HalfELi256ELi32E10block_q5_KLi2EXadL_ZL17vec_dot_q5_K_q8_1PKvPK10block_q8_1RKiEEEvS4_S4_PT_PS8_iiii,"axG",@progbits,_ZL9moe_vec_qIN3c104HalfELi256ELi32E10block_q5_KLi2EXadL_ZL17vec_dot_q5_K_q8_1PKvPK10block_q8_1RKiEEEvS4_S4_PT_PS8_iiii,comdat
	.globl	_ZL9moe_vec_qIN3c104HalfELi256ELi32E10block_q5_KLi2EXadL_ZL17vec_dot_q5_K_q8_1PKvPK10block_q8_1RKiEEEvS4_S4_PT_PS8_iiii ; -- Begin function _ZL9moe_vec_qIN3c104HalfELi256ELi32E10block_q5_KLi2EXadL_ZL17vec_dot_q5_K_q8_1PKvPK10block_q8_1RKiEEEvS4_S4_PT_PS8_iiii
	.p2align	8
	.type	_ZL9moe_vec_qIN3c104HalfELi256ELi32E10block_q5_KLi2EXadL_ZL17vec_dot_q5_K_q8_1PKvPK10block_q8_1RKiEEEvS4_S4_PT_PS8_iiii,@function
_ZL9moe_vec_qIN3c104HalfELi256ELi32E10block_q5_KLi2EXadL_ZL17vec_dot_q5_K_q8_1PKvPK10block_q8_1RKiEEEvS4_S4_PT_PS8_iiii: ; @_ZL9moe_vec_qIN3c104HalfELi256ELi32E10block_q5_KLi2EXadL_ZL17vec_dot_q5_K_q8_1PKvPK10block_q8_1RKiEEEvS4_S4_PT_PS8_iiii
; %bb.0:
	s_mov_b32 s8, s7
	s_load_dword s7, s[4:5], 0x3c
	s_load_dwordx4 s[0:3], s[4:5], 0x20
	s_waitcnt lgkmcnt(0)
	s_lshr_b32 s7, s7, 16
	s_mul_i32 s6, s6, s7
	v_add_u32_e32 v9, s6, v1
	v_cmp_gt_u32_e32 vcc, s2, v9
	s_and_saveexec_b64 s[6:7], vcc
	s_cbranch_execz .LBB264_11
; %bb.1:
	s_load_dwordx2 s[6:7], s[4:5], 0x10
	s_ashr_i32 s9, s1, 31
	s_lshr_b32 s9, s9, 24
	s_add_i32 s1, s1, s9
	s_ashr_i32 s12, s1, 8
	v_lshrrev_b32_e32 v10, 4, v0
	v_cmp_gt_u32_e32 vcc, s12, v10
	v_mov_b32_e32 v11, 0
	s_and_saveexec_b64 s[10:11], vcc
	s_cbranch_execz .LBB264_9
; %bb.2:
	s_load_dwordx2 s[14:15], s[4:5], 0x18
	v_cvt_f32_u32_e32 v1, s0
	s_mov_b32 s9, 0
	s_lshl_b64 s[16:17], s[8:9], 2
	v_mul_lo_u32 v12, v9, s12
	s_waitcnt lgkmcnt(0)
	s_add_u32 s14, s14, s16
	v_rcp_iflag_f32_e32 v1, v1
	s_addc_u32 s15, s15, s17
	s_load_dword s1, s[14:15], 0x0
	s_load_dwordx4 s[16:19], s[4:5], 0x0
	s_mul_i32 s4, s12, s2
	v_mul_f32_e32 v1, 0x4f7ffffe, v1
	v_cvt_u32_f32_e32 v1, v1
	s_waitcnt lgkmcnt(0)
	s_mul_i32 s1, s4, s1
	s_mul_hi_i32 s4, s1, 0xb0
	s_mulk_i32 s1, 0xb0
	s_add_u32 s14, s16, s1
	s_addc_u32 s15, s17, s4
	s_sub_i32 s1, 0, s0
	v_readfirstlane_b32 s4, v1
	s_mul_i32 s1, s1, s4
	s_mul_hi_u32 s1, s4, s1
	s_add_i32 s4, s4, s1
	s_mul_hi_u32 s1, s8, s4
	s_mul_i32 s4, s1, s0
	s_sub_i32 s4, s8, s4
	s_add_i32 s5, s1, 1
	s_sub_i32 s16, s4, s0
	s_cmp_ge_u32 s4, s0
	s_cselect_b32 s1, s5, s1
	s_cselect_b32 s4, s16, s4
	s_add_i32 s5, s1, 1
	s_cmp_ge_u32 s4, s0
	s_cselect_b32 s0, s5, s1
	s_mul_i32 s0, s0, s3
	s_mov_b32 s1, s9
	s_lshl_b64 s[0:1], s[0:1], 2
	v_lshlrev_b32_e32 v1, 1, v0
	s_add_u32 s0, s18, s0
	v_bfe_u32 v5, v1, 3, 2
	s_addc_u32 s1, s19, s1
	v_and_b32_e32 v2, 30, v1
	v_lshlrev_b32_e32 v15, 1, v5
	v_cmp_lt_u32_e32 vcc, 15, v2
	v_mad_u64_u32 v[1:2], s[0:1], v15, 36, s[0:1]
	v_and_b32_e32 v6, 3, v0
	v_mov_b32_e32 v3, s14
	s_movk_i32 s13, 0xb0
	v_lshlrev_b32_e32 v13, 5, v5
	v_mov_b32_e32 v11, 0
	v_lshlrev_b32_e32 v14, 2, v6
	v_lshlrev_b32_e32 v16, 3, v10
	s_mov_b64 s[4:5], 0
	v_mov_b32_e32 v4, s15
	v_lshlrev_b32_e32 v17, 1, v5
	s_mov_b32 s3, 0x5040100
	s_mov_b32 s9, 0x20004
	;; [unrolled: 1-line block ×3, first 2 shown]
	v_lshlrev_b32_e32 v18, 2, v6
	s_mov_b32 s15, 0x10101010
	s_mov_b32 s16, 0x1010101
	s_branch .LBB264_4
.LBB264_3:                              ;   in Loop: Header=BB264_4 Depth=1
	s_or_b64 exec, exec, s[0:1]
	v_mad_i64_i32 v[7:8], s[0:1], v16, 36, v[1:2]
	v_add_u32_e32 v10, 4, v10
	v_add_u32_e32 v16, 32, v16
	v_add_co_u32_e64 v24, s[0:1], v7, v18
	v_addc_co_u32_e64 v25, s[0:1], 0, v8, s[0:1]
	global_load_dword v26, v[5:6], off
	global_load_dword v27, v[24:25], off offset:20
	global_load_dword v28, v[24:25], off offset:56
	;; [unrolled: 1-line block ×4, first 2 shown]
	global_load_dword v31, v[7:8], off
                                        ; kill: killed $vgpr5 killed $vgpr6
                                        ; kill: killed $vgpr24 killed $vgpr25
	global_load_dword v5, v[7:8], off offset:36
	s_waitcnt vmcnt(7)
	v_ashrrev_i32_e32 v6, v15, v23
	v_ashrrev_i32_e32 v7, v15, v22
	v_and_b32_e32 v8, 0xf0f0f0f, v21
	v_and_b32_e32 v22, 0xf0f0f0f, v19
	v_lshrrev_b32_e32 v21, 4, v21
	v_lshrrev_b32_e32 v19, 4, v19
	v_lshlrev_b32_e32 v33, 4, v6
	v_lshlrev_b32_e32 v32, 4, v7
	v_and_b32_e32 v21, 0xf0f0f0f, v21
	v_lshlrev_b32_e32 v7, 3, v7
	v_and_b32_e32 v19, 0xf0f0f0f, v19
	v_lshlrev_b32_e32 v6, 3, v6
	v_and_or_b32 v22, v33, s15, v22
	v_and_or_b32 v8, v32, s15, v8
	v_and_or_b32 v7, v7, s15, v21
	v_and_or_b32 v6, v6, s15, v19
	v_lshrrev_b16_e32 v23, 8, v20
	v_lshrrev_b32_e32 v24, 24, v20
	v_and_b32_e32 v25, 0xff, v20
	v_bfe_u32 v20, v20, 16, 8
	v_cmp_le_u32_e64 s[0:1], s12, v10
	s_or_b64 s[4:5], s[0:1], s[4:5]
	s_waitcnt vmcnt(6)
	v_cvt_f32_f16_sdwa v19, v26 dst_sel:DWORD dst_unused:UNUSED_PAD src0_sel:WORD_1
	s_waitcnt vmcnt(5)
	v_dot4_i32_i8 v21, v22, v27, 0
	v_dot4_i32_i8 v22, s16, v27, 0
	s_waitcnt vmcnt(4)
	v_dot4_i32_i8 v6, v6, v28, 0
	v_dot4_i32_i8 v27, s16, v28, 0
	;; [unrolled: 3-line block ×3, first 2 shown]
	v_dot4_i32_i8 v6, v7, v29, v6
	v_dot4_i32_i8 v7, s16, v29, v27
	v_mul_lo_u32 v8, v8, v20
	v_mul_lo_u32 v20, v21, v25
	;; [unrolled: 1-line block ×4, first 2 shown]
	v_cvt_f32_i32_e32 v8, v8
	v_cvt_f32_i32_e32 v20, v20
	;; [unrolled: 1-line block ×4, first 2 shown]
	s_waitcnt vmcnt(1)
	v_fma_mix_f32 v8, v31, v8, 0 op_sel_hi:[1,0,0]
	v_fma_mix_f32 v20, v31, v20, 0 op_sel_hi:[1,0,0]
	s_waitcnt vmcnt(0)
	v_fma_mix_f32 v6, v5, v6, v8 op_sel_hi:[1,0,0]
	v_fma_mix_f32 v5, v5, v7, v20 op_sel_hi:[1,0,0]
	v_mul_f32_e32 v5, v5, v19
	v_fma_mix_f32 v5, v6, v26, -v5 op_sel_hi:[0,1,0]
	v_add_f32_e32 v11, v11, v5
	s_andn2_b64 exec, exec, s[4:5]
	s_cbranch_execz .LBB264_8
.LBB264_4:                              ; =>This Inner Loop Header: Depth=1
	v_add_u32_e32 v5, v12, v10
	v_mad_i64_i32 v[5:6], s[0:1], v5, s13, v[3:4]
                                        ; implicit-def: $vgpr20
	v_add_co_u32_e64 v7, s[0:1], v5, v13
	v_addc_co_u32_e64 v8, s[0:1], 0, v6, s[0:1]
	v_add_co_u32_e64 v7, s[0:1], v7, v14
	v_addc_co_u32_e64 v8, s[0:1], 0, v8, s[0:1]
	;; [unrolled: 2-line block ×3, first 2 shown]
	global_load_dword v21, v[7:8], off offset:48
	global_load_dword v19, v[7:8], off offset:64
	;; [unrolled: 1-line block ×4, first 2 shown]
	v_add_co_u32_e64 v7, s[0:1], v5, v17
	v_addc_co_u32_e64 v8, s[0:1], 0, v6, s[0:1]
	s_and_saveexec_b64 s[0:1], vcc
	s_xor_b64 s[0:1], exec, s[0:1]
	s_cbranch_execz .LBB264_6
; %bb.5:                                ;   in Loop: Header=BB264_4 Depth=1
	global_load_ushort v20, v[7:8], off
	global_load_ushort v24, v[7:8], off offset:8
	global_load_ushort v25, v[7:8], off offset:4
	s_waitcnt vmcnt(1)
	v_perm_b32 v7, v20, v24, s3
	s_waitcnt vmcnt(0)
	v_perm_b32 v8, v24, v25, s3
	v_pk_lshrrev_b16 v8, 2, v8
	v_pk_lshrrev_b16 v7, s9, v7
	v_and_b32_e32 v8, 0xf0f3030, v8
	v_and_or_b32 v20, v7, s14, v8
                                        ; implicit-def: $vgpr7_vgpr8
.LBB264_6:                              ;   in Loop: Header=BB264_4 Depth=1
	s_andn2_saveexec_b64 s[0:1], s[0:1]
	s_cbranch_execz .LBB264_3
; %bb.7:                                ;   in Loop: Header=BB264_4 Depth=1
	global_load_ushort v20, v[7:8], off offset:4
	global_load_ushort v24, v[7:8], off offset:8
	s_waitcnt vmcnt(0)
	v_perm_b32 v7, v20, v24, s3
	v_and_b32_e32 v20, 0x3f3f3f3f, v7
	s_branch .LBB264_3
.LBB264_8:
	s_or_b64 exec, exec, s[4:5]
.LBB264_9:
	s_or_b64 exec, exec, s[10:11]
	v_mbcnt_lo_u32_b32 v1, -1, 0
	v_mbcnt_hi_u32_b32 v2, -1, v1
	v_and_b32_e32 v1, 64, v2
	v_add_u32_e32 v3, 64, v1
	v_xor_b32_e32 v1, 32, v2
	v_cmp_lt_i32_e32 vcc, v1, v3
	v_cndmask_b32_e32 v1, v2, v1, vcc
	v_lshlrev_b32_e32 v1, 2, v1
	ds_bpermute_b32 v1, v1, v11
	v_xor_b32_e32 v4, 16, v2
	v_cmp_lt_i32_e32 vcc, v4, v3
	v_cndmask_b32_e32 v4, v2, v4, vcc
	v_lshlrev_b32_e32 v4, 2, v4
	s_waitcnt lgkmcnt(0)
	v_add_f32_e32 v1, v11, v1
	ds_bpermute_b32 v4, v4, v1
	v_xor_b32_e32 v5, 8, v2
	v_cmp_lt_i32_e32 vcc, v5, v3
	s_waitcnt lgkmcnt(0)
	v_add_f32_e32 v1, v1, v4
	v_cndmask_b32_e32 v4, v2, v5, vcc
	v_lshlrev_b32_e32 v4, 2, v4
	ds_bpermute_b32 v4, v4, v1
	v_xor_b32_e32 v5, 4, v2
	v_cmp_lt_i32_e32 vcc, v5, v3
	s_waitcnt lgkmcnt(0)
	v_add_f32_e32 v1, v1, v4
	v_cndmask_b32_e32 v4, v2, v5, vcc
	v_lshlrev_b32_e32 v4, 2, v4
	;; [unrolled: 7-line block ×3, first 2 shown]
	ds_bpermute_b32 v4, v4, v1
	v_xor_b32_e32 v5, 1, v2
	v_cmp_lt_i32_e32 vcc, v5, v3
	v_cndmask_b32_e32 v2, v2, v5, vcc
	v_lshlrev_b32_e32 v2, 2, v2
	s_waitcnt lgkmcnt(0)
	v_add_f32_e32 v1, v1, v4
	ds_bpermute_b32 v2, v2, v1
	v_cmp_eq_u32_e32 vcc, 0, v0
	s_and_b64 exec, exec, vcc
	s_cbranch_execz .LBB264_11
; %bb.10:
	s_waitcnt lgkmcnt(0)
	v_add_f32_e32 v0, v1, v2
	s_mul_i32 s0, s2, s8
	v_cvt_f16_f32_e32 v2, v0
	v_add_u32_e32 v0, s0, v9
	v_mov_b32_e32 v1, 0
	v_lshlrev_b64 v[0:1], 1, v[0:1]
	v_mov_b32_e32 v3, s7
	v_add_co_u32_e32 v0, vcc, s6, v0
	v_addc_co_u32_e32 v1, vcc, v3, v1, vcc
	global_store_short v[0:1], v2, off
.LBB264_11:
	s_endpgm
	.section	.rodata,"a",@progbits
	.p2align	6, 0x0
	.amdhsa_kernel _ZL9moe_vec_qIN3c104HalfELi256ELi32E10block_q5_KLi2EXadL_ZL17vec_dot_q5_K_q8_1PKvPK10block_q8_1RKiEEEvS4_S4_PT_PS8_iiii
		.amdhsa_group_segment_fixed_size 0
		.amdhsa_private_segment_fixed_size 0
		.amdhsa_kernarg_size 304
		.amdhsa_user_sgpr_count 6
		.amdhsa_user_sgpr_private_segment_buffer 1
		.amdhsa_user_sgpr_dispatch_ptr 0
		.amdhsa_user_sgpr_queue_ptr 0
		.amdhsa_user_sgpr_kernarg_segment_ptr 1
		.amdhsa_user_sgpr_dispatch_id 0
		.amdhsa_user_sgpr_flat_scratch_init 0
		.amdhsa_user_sgpr_private_segment_size 0
		.amdhsa_uses_dynamic_stack 0
		.amdhsa_system_sgpr_private_segment_wavefront_offset 0
		.amdhsa_system_sgpr_workgroup_id_x 1
		.amdhsa_system_sgpr_workgroup_id_y 0
		.amdhsa_system_sgpr_workgroup_id_z 1
		.amdhsa_system_sgpr_workgroup_info 0
		.amdhsa_system_vgpr_workitem_id 1
		.amdhsa_next_free_vgpr 34
		.amdhsa_next_free_sgpr 20
		.amdhsa_reserve_vcc 1
		.amdhsa_reserve_flat_scratch 0
		.amdhsa_float_round_mode_32 0
		.amdhsa_float_round_mode_16_64 0
		.amdhsa_float_denorm_mode_32 3
		.amdhsa_float_denorm_mode_16_64 3
		.amdhsa_dx10_clamp 1
		.amdhsa_ieee_mode 1
		.amdhsa_fp16_overflow 0
		.amdhsa_exception_fp_ieee_invalid_op 0
		.amdhsa_exception_fp_denorm_src 0
		.amdhsa_exception_fp_ieee_div_zero 0
		.amdhsa_exception_fp_ieee_overflow 0
		.amdhsa_exception_fp_ieee_underflow 0
		.amdhsa_exception_fp_ieee_inexact 0
		.amdhsa_exception_int_div_zero 0
	.end_amdhsa_kernel
	.section	.text._ZL9moe_vec_qIN3c104HalfELi256ELi32E10block_q5_KLi2EXadL_ZL17vec_dot_q5_K_q8_1PKvPK10block_q8_1RKiEEEvS4_S4_PT_PS8_iiii,"axG",@progbits,_ZL9moe_vec_qIN3c104HalfELi256ELi32E10block_q5_KLi2EXadL_ZL17vec_dot_q5_K_q8_1PKvPK10block_q8_1RKiEEEvS4_S4_PT_PS8_iiii,comdat
.Lfunc_end264:
	.size	_ZL9moe_vec_qIN3c104HalfELi256ELi32E10block_q5_KLi2EXadL_ZL17vec_dot_q5_K_q8_1PKvPK10block_q8_1RKiEEEvS4_S4_PT_PS8_iiii, .Lfunc_end264-_ZL9moe_vec_qIN3c104HalfELi256ELi32E10block_q5_KLi2EXadL_ZL17vec_dot_q5_K_q8_1PKvPK10block_q8_1RKiEEEvS4_S4_PT_PS8_iiii
                                        ; -- End function
	.set _ZL9moe_vec_qIN3c104HalfELi256ELi32E10block_q5_KLi2EXadL_ZL17vec_dot_q5_K_q8_1PKvPK10block_q8_1RKiEEEvS4_S4_PT_PS8_iiii.num_vgpr, 34
	.set _ZL9moe_vec_qIN3c104HalfELi256ELi32E10block_q5_KLi2EXadL_ZL17vec_dot_q5_K_q8_1PKvPK10block_q8_1RKiEEEvS4_S4_PT_PS8_iiii.num_agpr, 0
	.set _ZL9moe_vec_qIN3c104HalfELi256ELi32E10block_q5_KLi2EXadL_ZL17vec_dot_q5_K_q8_1PKvPK10block_q8_1RKiEEEvS4_S4_PT_PS8_iiii.numbered_sgpr, 20
	.set _ZL9moe_vec_qIN3c104HalfELi256ELi32E10block_q5_KLi2EXadL_ZL17vec_dot_q5_K_q8_1PKvPK10block_q8_1RKiEEEvS4_S4_PT_PS8_iiii.num_named_barrier, 0
	.set _ZL9moe_vec_qIN3c104HalfELi256ELi32E10block_q5_KLi2EXadL_ZL17vec_dot_q5_K_q8_1PKvPK10block_q8_1RKiEEEvS4_S4_PT_PS8_iiii.private_seg_size, 0
	.set _ZL9moe_vec_qIN3c104HalfELi256ELi32E10block_q5_KLi2EXadL_ZL17vec_dot_q5_K_q8_1PKvPK10block_q8_1RKiEEEvS4_S4_PT_PS8_iiii.uses_vcc, 1
	.set _ZL9moe_vec_qIN3c104HalfELi256ELi32E10block_q5_KLi2EXadL_ZL17vec_dot_q5_K_q8_1PKvPK10block_q8_1RKiEEEvS4_S4_PT_PS8_iiii.uses_flat_scratch, 0
	.set _ZL9moe_vec_qIN3c104HalfELi256ELi32E10block_q5_KLi2EXadL_ZL17vec_dot_q5_K_q8_1PKvPK10block_q8_1RKiEEEvS4_S4_PT_PS8_iiii.has_dyn_sized_stack, 0
	.set _ZL9moe_vec_qIN3c104HalfELi256ELi32E10block_q5_KLi2EXadL_ZL17vec_dot_q5_K_q8_1PKvPK10block_q8_1RKiEEEvS4_S4_PT_PS8_iiii.has_recursion, 0
	.set _ZL9moe_vec_qIN3c104HalfELi256ELi32E10block_q5_KLi2EXadL_ZL17vec_dot_q5_K_q8_1PKvPK10block_q8_1RKiEEEvS4_S4_PT_PS8_iiii.has_indirect_call, 0
	.section	.AMDGPU.csdata,"",@progbits
; Kernel info:
; codeLenInByte = 1360
; TotalNumSgprs: 24
; NumVgprs: 34
; ScratchSize: 0
; MemoryBound: 0
; FloatMode: 240
; IeeeMode: 1
; LDSByteSize: 0 bytes/workgroup (compile time only)
; SGPRBlocks: 2
; VGPRBlocks: 8
; NumSGPRsForWavesPerEU: 24
; NumVGPRsForWavesPerEU: 34
; Occupancy: 7
; WaveLimiterHint : 1
; COMPUTE_PGM_RSRC2:SCRATCH_EN: 0
; COMPUTE_PGM_RSRC2:USER_SGPR: 6
; COMPUTE_PGM_RSRC2:TRAP_HANDLER: 0
; COMPUTE_PGM_RSRC2:TGID_X_EN: 1
; COMPUTE_PGM_RSRC2:TGID_Y_EN: 0
; COMPUTE_PGM_RSRC2:TGID_Z_EN: 1
; COMPUTE_PGM_RSRC2:TIDIG_COMP_CNT: 1
	.section	.text._ZL9moe_vec_qIN3c104HalfELi256ELi32E10block_q6_KLi1EXadL_ZL17vec_dot_q6_K_q8_1PKvPK10block_q8_1RKiEEEvS4_S4_PT_PS8_iiii,"axG",@progbits,_ZL9moe_vec_qIN3c104HalfELi256ELi32E10block_q6_KLi1EXadL_ZL17vec_dot_q6_K_q8_1PKvPK10block_q8_1RKiEEEvS4_S4_PT_PS8_iiii,comdat
	.globl	_ZL9moe_vec_qIN3c104HalfELi256ELi32E10block_q6_KLi1EXadL_ZL17vec_dot_q6_K_q8_1PKvPK10block_q8_1RKiEEEvS4_S4_PT_PS8_iiii ; -- Begin function _ZL9moe_vec_qIN3c104HalfELi256ELi32E10block_q6_KLi1EXadL_ZL17vec_dot_q6_K_q8_1PKvPK10block_q8_1RKiEEEvS4_S4_PT_PS8_iiii
	.p2align	8
	.type	_ZL9moe_vec_qIN3c104HalfELi256ELi32E10block_q6_KLi1EXadL_ZL17vec_dot_q6_K_q8_1PKvPK10block_q8_1RKiEEEvS4_S4_PT_PS8_iiii,@function
_ZL9moe_vec_qIN3c104HalfELi256ELi32E10block_q6_KLi1EXadL_ZL17vec_dot_q6_K_q8_1PKvPK10block_q8_1RKiEEEvS4_S4_PT_PS8_iiii: ; @_ZL9moe_vec_qIN3c104HalfELi256ELi32E10block_q6_KLi1EXadL_ZL17vec_dot_q6_K_q8_1PKvPK10block_q8_1RKiEEEvS4_S4_PT_PS8_iiii
; %bb.0:
	s_mov_b32 s8, s7
	s_load_dword s7, s[4:5], 0x3c
	s_load_dwordx4 s[0:3], s[4:5], 0x20
	s_waitcnt lgkmcnt(0)
	s_lshr_b32 s7, s7, 16
	s_mul_i32 s6, s6, s7
	v_add_u32_e32 v5, s6, v1
	v_cmp_gt_u32_e32 vcc, s2, v5
	s_and_saveexec_b64 s[6:7], vcc
	s_cbranch_execz .LBB265_7
; %bb.1:
	s_load_dwordx2 s[6:7], s[4:5], 0x10
	s_ashr_i32 s9, s1, 31
	s_lshr_b32 s9, s9, 24
	s_add_i32 s1, s1, s9
	s_ashr_i32 s12, s1, 8
	v_lshrrev_b32_e32 v6, 5, v0
	v_cmp_gt_u32_e32 vcc, s12, v6
	v_mov_b32_e32 v7, 0
	s_and_saveexec_b64 s[10:11], vcc
	s_cbranch_execz .LBB265_5
; %bb.2:
	s_load_dwordx2 s[14:15], s[4:5], 0x18
	v_cvt_f32_u32_e32 v1, s0
	s_mov_b32 s9, 0
	s_lshl_b64 s[16:17], s[8:9], 2
	v_mul_lo_u32 v8, v5, s12
	s_waitcnt lgkmcnt(0)
	s_add_u32 s14, s14, s16
	v_rcp_iflag_f32_e32 v1, v1
	s_addc_u32 s15, s15, s17
	s_load_dword s1, s[14:15], 0x0
	s_load_dwordx4 s[16:19], s[4:5], 0x0
	s_mul_i32 s4, s12, s2
	v_mul_f32_e32 v1, 0x4f7ffffe, v1
	v_cvt_u32_f32_e32 v1, v1
	s_waitcnt lgkmcnt(0)
	s_mul_i32 s1, s4, s1
	s_mul_hi_i32 s4, s1, 0xd2
	s_mulk_i32 s1, 0xd2
	s_add_u32 s14, s16, s1
	s_addc_u32 s15, s17, s4
	s_sub_i32 s1, 0, s0
	v_readfirstlane_b32 s4, v1
	s_mul_i32 s1, s1, s4
	s_mul_hi_u32 s1, s4, s1
	s_add_i32 s4, s4, s1
	s_mul_hi_u32 s1, s8, s4
	s_mul_i32 s4, s1, s0
	s_sub_i32 s4, s8, s4
	s_add_i32 s5, s1, 1
	s_sub_i32 s16, s4, s0
	s_cmp_ge_u32 s4, s0
	s_cselect_b32 s1, s5, s1
	s_cselect_b32 s4, s16, s4
	s_add_i32 s5, s1, 1
	s_cmp_ge_u32 s4, s0
	s_cselect_b32 s0, s5, s1
	v_and_b32_e32 v1, 31, v0
	s_mul_i32 s0, s0, s3
	s_mov_b32 s1, s9
	v_add_u32_e32 v2, 0xf0, v1
	v_cmp_gt_u32_e32 vcc, 16, v1
	s_lshl_b64 s[0:1], s[0:1], 2
	v_cndmask_b32_e32 v3, v2, v1, vcc
	v_cmp_lt_u32_e32 vcc, 15, v1
	s_add_u32 s0, s18, s0
	v_lshlrev_b32_e32 v9, 2, v1
	v_cndmask_b32_e64 v13, 0, 8, vcc
	v_and_b32_e32 v1, 7, v0
	s_addc_u32 s1, s19, s1
	v_or_b32_e32 v2, v13, v1
	v_lshlrev_b32_e32 v11, 2, v1
	v_cndmask_b32_e64 v1, 0, 4, vcc
	v_lshlrev_b32_e32 v10, 2, v2
	v_mad_u64_u32 v[1:2], s[0:1], v1, 36, s[0:1]
	v_and_b32_e32 v4, 0xf8, v3
	v_cmp_ne_u32_e32 vcc, 0, v4
	v_cndmask_b32_e64 v4, 0, 1, vcc
	v_mad_u64_u32 v[1:2], s[0:1], v4, 36, v[1:2]
	v_bfe_u32 v3, v3, 2, 6
	v_add_u32_e32 v13, v3, v13
	v_mov_b32_e32 v3, s14
	s_movk_i32 s13, 0xd2
	v_mov_b32_e32 v7, 0
	v_cndmask_b32_e64 v12, 0, 2, vcc
	v_lshlrev_b32_e32 v14, 3, v6
	s_mov_b64 s[4:5], 0
	v_mov_b32_e32 v4, s15
	s_mov_b32 s3, 0x30303030
	s_movk_i32 s9, 0x3f00
	s_movk_i32 s14, 0xe000
	v_mov_b32_e32 v15, 8
.LBB265_3:                              ; =>This Inner Loop Header: Depth=1
	v_add_u32_e32 v18, v8, v6
	v_mad_i64_i32 v[18:19], s[0:1], v18, s13, v[3:4]
	v_mad_i64_i32 v[16:17], s[0:1], v14, 36, v[1:2]
	v_add_co_u32_e64 v21, s[0:1], v18, v9
	v_addc_co_u32_e64 v22, s[0:1], 0, v19, s[0:1]
	v_add_co_u32_e64 v23, s[0:1], v18, v10
	v_addc_co_u32_e64 v24, s[0:1], 0, v19, s[0:1]
	global_load_dword v25, v[23:24], off offset:128
	global_load_dword v26, v[21:22], off
	v_add_co_u32_e32 v20, vcc, v16, v11
	v_addc_co_u32_e32 v21, vcc, 0, v17, vcc
	global_load_dword v22, v[20:21], off offset:4
	global_load_dword v23, v[20:21], off offset:76
	v_add_co_u32_e32 v20, vcc, v18, v13
	v_addc_co_u32_e32 v21, vcc, 0, v19, vcc
	global_load_sbyte v24, v[20:21], off offset:192
	global_load_sbyte v27, v[20:21], off offset:196
	global_load_dword v28, v[16:17], off
	global_load_dword v29, v[16:17], off offset:72
	global_load_ushort v30, v[18:19], off offset:208
	v_add_u32_e32 v6, 2, v6
	v_cmp_le_u32_e32 vcc, s12, v6
	v_add_u32_e32 v14, 16, v14
	s_or_b64 s[4:5], vcc, s[4:5]
	s_waitcnt vmcnt(8)
	v_ashrrev_i32_e32 v16, v12, v25
	s_waitcnt vmcnt(7)
	v_and_b32_e32 v17, 0xf0f0f0f, v26
	v_lshrrev_b32_e32 v18, 4, v26
	v_lshlrev_b32_e32 v19, 4, v16
	v_and_b32_e32 v18, 0xf0f0f0f, v18
	v_and_or_b32 v17, v19, s3, v17
	v_and_or_b32 v16, v16, s3, v18
	v_lshlrev_b16_e32 v18, 8, v17
	v_and_b32_e32 v19, 0x3f00, v17
	v_and_b32_sdwa v20, v17, s9 dst_sel:DWORD dst_unused:UNUSED_PAD src0_sel:WORD_1 src1_sel:DWORD
	v_lshlrev_b16_sdwa v17, v15, v17 dst_sel:DWORD dst_unused:UNUSED_PAD src0_sel:DWORD src1_sel:WORD_1
	v_add_u16_e32 v18, 0xe000, v18
	v_lshlrev_b16_e32 v21, 8, v16
	v_and_b32_e32 v25, 0x3f00, v16
	v_or_b32_sdwa v18, v19, v18 dst_sel:DWORD dst_unused:UNUSED_PAD src0_sel:DWORD src1_sel:BYTE_1
	v_and_b32_sdwa v19, v16, s9 dst_sel:DWORD dst_unused:UNUSED_PAD src0_sel:WORD_1 src1_sel:DWORD
	v_lshlrev_b16_sdwa v16, v15, v16 dst_sel:DWORD dst_unused:UNUSED_PAD src0_sel:DWORD src1_sel:WORD_1
	v_add_u16_e32 v17, 0xe000, v17
	v_add_u16_e32 v21, 0xe000, v21
	v_add_u16_e32 v16, 0xe000, v16
	v_or_b32_sdwa v17, v20, v17 dst_sel:DWORD dst_unused:UNUSED_PAD src0_sel:DWORD src1_sel:BYTE_1
	v_or_b32_sdwa v20, v25, v21 dst_sel:DWORD dst_unused:UNUSED_PAD src0_sel:DWORD src1_sel:BYTE_1
	;; [unrolled: 1-line block ×3, first 2 shown]
	v_add_u16_e32 v18, 0xe000, v18
	v_add_u16_sdwa v17, v17, s14 dst_sel:WORD_1 dst_unused:UNUSED_PAD src0_sel:DWORD src1_sel:DWORD
	v_add_u16_e32 v19, 0xe000, v20
	v_add_u16_sdwa v16, v16, s14 dst_sel:WORD_1 dst_unused:UNUSED_PAD src0_sel:DWORD src1_sel:DWORD
	v_or_b32_e32 v17, v18, v17
	v_or_b32_e32 v16, v19, v16
	s_waitcnt vmcnt(6)
	v_dot4_i32_i8 v17, v17, v22, 0
	s_waitcnt vmcnt(5)
	v_dot4_i32_i8 v16, v16, v23, 0
	s_waitcnt vmcnt(4)
	v_mul_lo_u32 v17, v17, v24
	s_waitcnt vmcnt(3)
	v_mul_lo_u32 v16, v16, v27
	v_cvt_f32_i32_e32 v17, v17
	v_cvt_f32_i32_e32 v16, v16
	s_waitcnt vmcnt(2)
	v_fma_mix_f32 v17, v28, v17, 0 op_sel_hi:[1,0,0]
	s_waitcnt vmcnt(1)
	v_fma_mix_f32 v16, v29, v16, v17 op_sel_hi:[1,0,0]
	;; [unrolled: 2-line block ×3, first 2 shown]
	s_andn2_b64 exec, exec, s[4:5]
	s_cbranch_execnz .LBB265_3
; %bb.4:
	s_or_b64 exec, exec, s[4:5]
.LBB265_5:
	s_or_b64 exec, exec, s[10:11]
	v_mbcnt_lo_u32_b32 v1, -1, 0
	v_mbcnt_hi_u32_b32 v2, -1, v1
	v_and_b32_e32 v1, 64, v2
	v_add_u32_e32 v3, 64, v1
	v_xor_b32_e32 v1, 32, v2
	v_cmp_lt_i32_e32 vcc, v1, v3
	v_cndmask_b32_e32 v1, v2, v1, vcc
	v_lshlrev_b32_e32 v1, 2, v1
	ds_bpermute_b32 v1, v1, v7
	v_xor_b32_e32 v4, 16, v2
	v_cmp_lt_i32_e32 vcc, v4, v3
	v_cndmask_b32_e32 v4, v2, v4, vcc
	v_lshlrev_b32_e32 v4, 2, v4
	s_waitcnt lgkmcnt(0)
	v_add_f32_e32 v1, v7, v1
	ds_bpermute_b32 v4, v4, v1
	v_xor_b32_e32 v6, 8, v2
	v_cmp_lt_i32_e32 vcc, v6, v3
	s_waitcnt lgkmcnt(0)
	v_add_f32_e32 v1, v1, v4
	v_cndmask_b32_e32 v4, v2, v6, vcc
	v_lshlrev_b32_e32 v4, 2, v4
	ds_bpermute_b32 v4, v4, v1
	v_xor_b32_e32 v6, 4, v2
	v_cmp_lt_i32_e32 vcc, v6, v3
	s_waitcnt lgkmcnt(0)
	v_add_f32_e32 v1, v1, v4
	v_cndmask_b32_e32 v4, v2, v6, vcc
	v_lshlrev_b32_e32 v4, 2, v4
	;; [unrolled: 7-line block ×3, first 2 shown]
	ds_bpermute_b32 v4, v4, v1
	v_xor_b32_e32 v6, 1, v2
	v_cmp_lt_i32_e32 vcc, v6, v3
	v_cndmask_b32_e32 v2, v2, v6, vcc
	v_lshlrev_b32_e32 v2, 2, v2
	s_waitcnt lgkmcnt(0)
	v_add_f32_e32 v1, v1, v4
	ds_bpermute_b32 v2, v2, v1
	v_cmp_eq_u32_e32 vcc, 0, v0
	s_and_b64 exec, exec, vcc
	s_cbranch_execz .LBB265_7
; %bb.6:
	s_waitcnt lgkmcnt(0)
	v_add_f32_e32 v0, v1, v2
	s_mul_i32 s0, s2, s8
	v_cvt_f16_f32_e32 v2, v0
	v_add_u32_e32 v0, s0, v5
	v_mov_b32_e32 v1, 0
	v_lshlrev_b64 v[0:1], 1, v[0:1]
	v_mov_b32_e32 v3, s7
	v_add_co_u32_e32 v0, vcc, s6, v0
	v_addc_co_u32_e32 v1, vcc, v3, v1, vcc
	global_store_short v[0:1], v2, off
.LBB265_7:
	s_endpgm
	.section	.rodata,"a",@progbits
	.p2align	6, 0x0
	.amdhsa_kernel _ZL9moe_vec_qIN3c104HalfELi256ELi32E10block_q6_KLi1EXadL_ZL17vec_dot_q6_K_q8_1PKvPK10block_q8_1RKiEEEvS4_S4_PT_PS8_iiii
		.amdhsa_group_segment_fixed_size 0
		.amdhsa_private_segment_fixed_size 0
		.amdhsa_kernarg_size 304
		.amdhsa_user_sgpr_count 6
		.amdhsa_user_sgpr_private_segment_buffer 1
		.amdhsa_user_sgpr_dispatch_ptr 0
		.amdhsa_user_sgpr_queue_ptr 0
		.amdhsa_user_sgpr_kernarg_segment_ptr 1
		.amdhsa_user_sgpr_dispatch_id 0
		.amdhsa_user_sgpr_flat_scratch_init 0
		.amdhsa_user_sgpr_private_segment_size 0
		.amdhsa_uses_dynamic_stack 0
		.amdhsa_system_sgpr_private_segment_wavefront_offset 0
		.amdhsa_system_sgpr_workgroup_id_x 1
		.amdhsa_system_sgpr_workgroup_id_y 0
		.amdhsa_system_sgpr_workgroup_id_z 1
		.amdhsa_system_sgpr_workgroup_info 0
		.amdhsa_system_vgpr_workitem_id 1
		.amdhsa_next_free_vgpr 31
		.amdhsa_next_free_sgpr 20
		.amdhsa_reserve_vcc 1
		.amdhsa_reserve_flat_scratch 0
		.amdhsa_float_round_mode_32 0
		.amdhsa_float_round_mode_16_64 0
		.amdhsa_float_denorm_mode_32 3
		.amdhsa_float_denorm_mode_16_64 3
		.amdhsa_dx10_clamp 1
		.amdhsa_ieee_mode 1
		.amdhsa_fp16_overflow 0
		.amdhsa_exception_fp_ieee_invalid_op 0
		.amdhsa_exception_fp_denorm_src 0
		.amdhsa_exception_fp_ieee_div_zero 0
		.amdhsa_exception_fp_ieee_overflow 0
		.amdhsa_exception_fp_ieee_underflow 0
		.amdhsa_exception_fp_ieee_inexact 0
		.amdhsa_exception_int_div_zero 0
	.end_amdhsa_kernel
	.section	.text._ZL9moe_vec_qIN3c104HalfELi256ELi32E10block_q6_KLi1EXadL_ZL17vec_dot_q6_K_q8_1PKvPK10block_q8_1RKiEEEvS4_S4_PT_PS8_iiii,"axG",@progbits,_ZL9moe_vec_qIN3c104HalfELi256ELi32E10block_q6_KLi1EXadL_ZL17vec_dot_q6_K_q8_1PKvPK10block_q8_1RKiEEEvS4_S4_PT_PS8_iiii,comdat
.Lfunc_end265:
	.size	_ZL9moe_vec_qIN3c104HalfELi256ELi32E10block_q6_KLi1EXadL_ZL17vec_dot_q6_K_q8_1PKvPK10block_q8_1RKiEEEvS4_S4_PT_PS8_iiii, .Lfunc_end265-_ZL9moe_vec_qIN3c104HalfELi256ELi32E10block_q6_KLi1EXadL_ZL17vec_dot_q6_K_q8_1PKvPK10block_q8_1RKiEEEvS4_S4_PT_PS8_iiii
                                        ; -- End function
	.set _ZL9moe_vec_qIN3c104HalfELi256ELi32E10block_q6_KLi1EXadL_ZL17vec_dot_q6_K_q8_1PKvPK10block_q8_1RKiEEEvS4_S4_PT_PS8_iiii.num_vgpr, 31
	.set _ZL9moe_vec_qIN3c104HalfELi256ELi32E10block_q6_KLi1EXadL_ZL17vec_dot_q6_K_q8_1PKvPK10block_q8_1RKiEEEvS4_S4_PT_PS8_iiii.num_agpr, 0
	.set _ZL9moe_vec_qIN3c104HalfELi256ELi32E10block_q6_KLi1EXadL_ZL17vec_dot_q6_K_q8_1PKvPK10block_q8_1RKiEEEvS4_S4_PT_PS8_iiii.numbered_sgpr, 20
	.set _ZL9moe_vec_qIN3c104HalfELi256ELi32E10block_q6_KLi1EXadL_ZL17vec_dot_q6_K_q8_1PKvPK10block_q8_1RKiEEEvS4_S4_PT_PS8_iiii.num_named_barrier, 0
	.set _ZL9moe_vec_qIN3c104HalfELi256ELi32E10block_q6_KLi1EXadL_ZL17vec_dot_q6_K_q8_1PKvPK10block_q8_1RKiEEEvS4_S4_PT_PS8_iiii.private_seg_size, 0
	.set _ZL9moe_vec_qIN3c104HalfELi256ELi32E10block_q6_KLi1EXadL_ZL17vec_dot_q6_K_q8_1PKvPK10block_q8_1RKiEEEvS4_S4_PT_PS8_iiii.uses_vcc, 1
	.set _ZL9moe_vec_qIN3c104HalfELi256ELi32E10block_q6_KLi1EXadL_ZL17vec_dot_q6_K_q8_1PKvPK10block_q8_1RKiEEEvS4_S4_PT_PS8_iiii.uses_flat_scratch, 0
	.set _ZL9moe_vec_qIN3c104HalfELi256ELi32E10block_q6_KLi1EXadL_ZL17vec_dot_q6_K_q8_1PKvPK10block_q8_1RKiEEEvS4_S4_PT_PS8_iiii.has_dyn_sized_stack, 0
	.set _ZL9moe_vec_qIN3c104HalfELi256ELi32E10block_q6_KLi1EXadL_ZL17vec_dot_q6_K_q8_1PKvPK10block_q8_1RKiEEEvS4_S4_PT_PS8_iiii.has_recursion, 0
	.set _ZL9moe_vec_qIN3c104HalfELi256ELi32E10block_q6_KLi1EXadL_ZL17vec_dot_q6_K_q8_1PKvPK10block_q8_1RKiEEEvS4_S4_PT_PS8_iiii.has_indirect_call, 0
	.section	.AMDGPU.csdata,"",@progbits
; Kernel info:
; codeLenInByte = 1192
; TotalNumSgprs: 24
; NumVgprs: 31
; ScratchSize: 0
; MemoryBound: 0
; FloatMode: 240
; IeeeMode: 1
; LDSByteSize: 0 bytes/workgroup (compile time only)
; SGPRBlocks: 2
; VGPRBlocks: 7
; NumSGPRsForWavesPerEU: 24
; NumVGPRsForWavesPerEU: 31
; Occupancy: 8
; WaveLimiterHint : 1
; COMPUTE_PGM_RSRC2:SCRATCH_EN: 0
; COMPUTE_PGM_RSRC2:USER_SGPR: 6
; COMPUTE_PGM_RSRC2:TRAP_HANDLER: 0
; COMPUTE_PGM_RSRC2:TGID_X_EN: 1
; COMPUTE_PGM_RSRC2:TGID_Y_EN: 0
; COMPUTE_PGM_RSRC2:TGID_Z_EN: 1
; COMPUTE_PGM_RSRC2:TIDIG_COMP_CNT: 1
	.section	.text._ZL9moe_vec_qIN3c104HalfELi256ELi8E13block_iq2_xxsLi1EXadL_ZL20vec_dot_iq2_xxs_q8_1PKvPK10block_q8_1RKiEEEvS4_S4_PT_PS8_iiii,"axG",@progbits,_ZL9moe_vec_qIN3c104HalfELi256ELi8E13block_iq2_xxsLi1EXadL_ZL20vec_dot_iq2_xxs_q8_1PKvPK10block_q8_1RKiEEEvS4_S4_PT_PS8_iiii,comdat
	.globl	_ZL9moe_vec_qIN3c104HalfELi256ELi8E13block_iq2_xxsLi1EXadL_ZL20vec_dot_iq2_xxs_q8_1PKvPK10block_q8_1RKiEEEvS4_S4_PT_PS8_iiii ; -- Begin function _ZL9moe_vec_qIN3c104HalfELi256ELi8E13block_iq2_xxsLi1EXadL_ZL20vec_dot_iq2_xxs_q8_1PKvPK10block_q8_1RKiEEEvS4_S4_PT_PS8_iiii
	.p2align	8
	.type	_ZL9moe_vec_qIN3c104HalfELi256ELi8E13block_iq2_xxsLi1EXadL_ZL20vec_dot_iq2_xxs_q8_1PKvPK10block_q8_1RKiEEEvS4_S4_PT_PS8_iiii,@function
_ZL9moe_vec_qIN3c104HalfELi256ELi8E13block_iq2_xxsLi1EXadL_ZL20vec_dot_iq2_xxs_q8_1PKvPK10block_q8_1RKiEEEvS4_S4_PT_PS8_iiii: ; @_ZL9moe_vec_qIN3c104HalfELi256ELi8E13block_iq2_xxsLi1EXadL_ZL20vec_dot_iq2_xxs_q8_1PKvPK10block_q8_1RKiEEEvS4_S4_PT_PS8_iiii
; %bb.0:
	s_load_dword s0, s[4:5], 0x3c
	s_load_dwordx4 s[44:47], s[4:5], 0x20
	s_waitcnt lgkmcnt(0)
	s_lshr_b32 s0, s0, 16
	s_mul_i32 s6, s6, s0
	v_add_u32_e32 v9, s6, v1
	v_cmp_gt_u32_e32 vcc, s46, v9
	s_and_saveexec_b64 s[0:1], vcc
	s_cbranch_execz .LBB266_7
; %bb.1:
	s_load_dwordx2 s[50:51], s[4:5], 0x10
	s_ashr_i32 s0, s45, 31
	s_lshr_b32 s0, s0, 24
	s_add_i32 s0, s45, s0
	s_ashr_i32 s33, s0, 8
	v_lshrrev_b32_e32 v10, 3, v0
	s_mov_b32 s48, s7
	v_cmp_gt_u32_e32 vcc, s33, v10
	v_mov_b32_e32 v11, 0
	s_and_saveexec_b64 s[52:53], vcc
	s_cbranch_execz .LBB266_5
; %bb.2:
	s_load_dwordx2 s[0:1], s[4:5], 0x18
	v_cvt_f32_u32_e32 v1, s44
	s_mov_b32 s49, 0
	s_lshl_b64 s[2:3], s[48:49], 2
	v_mul_lo_u32 v12, v9, s33
	s_waitcnt lgkmcnt(0)
	s_add_u32 s6, s0, s2
	v_rcp_iflag_f32_e32 v1, v1
	s_addc_u32 s7, s1, s3
	s_load_dword s8, s[6:7], 0x0
	s_load_dwordx4 s[0:3], s[4:5], 0x0
	s_mul_i32 s4, s33, s46
	v_mul_f32_e32 v1, 0x4f7ffffe, v1
	v_cvt_u32_f32_e32 v1, v1
	s_waitcnt lgkmcnt(0)
	s_mul_i32 s4, s4, s8
	s_mul_hi_i32 s5, s4, 0x42
	s_mulk_i32 s4, 0x42
	s_add_u32 s0, s0, s4
	s_addc_u32 s1, s1, s5
	s_sub_i32 s4, 0, s44
	v_readfirstlane_b32 s5, v1
	s_mul_i32 s4, s4, s5
	s_mul_hi_u32 s4, s5, s4
	s_add_i32 s5, s5, s4
	s_mul_hi_u32 s4, s48, s5
	s_mul_i32 s5, s4, s44
	s_sub_i32 s5, s48, s5
	s_add_i32 s6, s4, 1
	s_sub_i32 s7, s5, s44
	s_cmp_ge_u32 s5, s44
	s_cselect_b32 s4, s6, s4
	s_cselect_b32 s5, s7, s5
	s_add_i32 s6, s4, 1
	s_cmp_ge_u32 s5, s44
	s_cselect_b32 s4, s6, s4
	s_mul_i32 s4, s4, s47
	s_mov_b32 s5, s49
	s_lshl_b64 s[4:5], s[4:5], 2
	s_add_u32 s2, s2, s4
	s_addc_u32 s3, s3, s5
	v_and_b32_e32 v1, 7, v0
	v_lshlrev_b32_e32 v5, 2, v1
	v_mad_u64_u32 v[1:2], s[2:3], v1, 36, s[2:3]
	v_mov_b32_e32 v4, s1
	s_movk_i32 s54, 0x42
	v_mov_b32_e32 v11, 0
	v_lshlrev_b32_e32 v13, 3, v10
	s_mov_b64 s[44:45], 0
	v_mov_b32_e32 v3, s0
	v_lshlrev_b32_e32 v14, 1, v5
	v_mov_b32_e32 v15, 3
.LBB266_3:                              ; =>This Inner Loop Header: Depth=1
	v_add_u32_e32 v5, v12, v10
	v_mad_i64_i32 v[5:6], s[2:3], v5, s54, v[3:4]
	v_mad_i64_i32 v[7:8], s[0:1], v13, 36, v[1:2]
	v_add_co_u32_e32 v53, vcc, v5, v14
	v_addc_co_u32_e32 v54, vcc, 0, v6, vcc
	global_load_dword v24, v[53:54], off offset:2
	s_getpc_b64 s[0:1]
	s_add_u32 s0, s0, _ZL11iq2xxs_grid@rel32@lo+4
	s_addc_u32 s1, s1, _ZL11iq2xxs_grid@rel32@hi+12
	global_load_dwordx4 v[16:19], v[7:8], off offset:4
	s_getpc_b64 s[6:7]
	s_add_u32 s6, s6, _ZL12ksigns_iq2xs@rel32@lo+4
	s_addc_u32 s7, s7, _ZL12ksigns_iq2xs@rel32@hi+12
	v_add_u32_e32 v10, 8, v10
	v_add_u32_e32 v13, 64, v13
	s_waitcnt vmcnt(1)
	v_lshlrev_b32_sdwa v25, v15, v24 dst_sel:DWORD dst_unused:UNUSED_PAD src0_sel:DWORD src1_sel:BYTE_0
	v_lshlrev_b32_sdwa v26, v15, v24 dst_sel:DWORD dst_unused:UNUSED_PAD src0_sel:DWORD src1_sel:BYTE_1
	global_load_dwordx2 v[20:21], v25, s[0:1]
	global_load_dwordx2 v[22:23], v26, s[0:1]
	s_waitcnt vmcnt(1)
	v_mul_i32_i24_sdwa v48, v20, sext(v16) dst_sel:DWORD dst_unused:UNUSED_PAD src0_sel:BYTE_0 src1_sel:BYTE_0
	v_mul_i32_i24_sdwa v47, v20, sext(v16) dst_sel:DWORD dst_unused:UNUSED_PAD src0_sel:BYTE_1 src1_sel:BYTE_1
	v_mul_i32_i24_sdwa v46, v20, sext(v16) dst_sel:DWORD dst_unused:UNUSED_PAD src0_sel:BYTE_2 src1_sel:BYTE_2
	v_mul_i32_i24_sdwa v45, v20, sext(v16) dst_sel:DWORD dst_unused:UNUSED_PAD src0_sel:BYTE_3 src1_sel:BYTE_3
	v_lshlrev_b32_sdwa v16, v15, v24 dst_sel:DWORD dst_unused:UNUSED_PAD src0_sel:DWORD src1_sel:BYTE_2
	v_mul_i32_i24_sdwa v44, v21, sext(v17) dst_sel:DWORD dst_unused:UNUSED_PAD src0_sel:BYTE_0 src1_sel:BYTE_0
	v_mul_i32_i24_sdwa v43, v21, sext(v17) dst_sel:DWORD dst_unused:UNUSED_PAD src0_sel:BYTE_1 src1_sel:BYTE_1
	v_mul_i32_i24_sdwa v42, v21, sext(v17) dst_sel:DWORD dst_unused:UNUSED_PAD src0_sel:BYTE_2 src1_sel:BYTE_2
	v_mul_i32_i24_sdwa v41, v21, sext(v17) dst_sel:DWORD dst_unused:UNUSED_PAD src0_sel:BYTE_3 src1_sel:BYTE_3
	global_load_dwordx2 v[16:17], v16, s[0:1]
	s_nop 0
	global_load_dwordx4 v[49:52], v[7:8], off offset:20
	s_waitcnt vmcnt(2)
	v_mul_i32_i24_sdwa v40, v22, sext(v18) dst_sel:DWORD dst_unused:UNUSED_PAD src0_sel:BYTE_0 src1_sel:BYTE_0
	v_mul_i32_i24_sdwa v38, v22, sext(v18) dst_sel:DWORD dst_unused:UNUSED_PAD src0_sel:BYTE_1 src1_sel:BYTE_1
	v_mul_i32_i24_sdwa v37, v22, sext(v18) dst_sel:DWORD dst_unused:UNUSED_PAD src0_sel:BYTE_2 src1_sel:BYTE_2
	v_mul_i32_i24_sdwa v36, v22, sext(v18) dst_sel:DWORD dst_unused:UNUSED_PAD src0_sel:BYTE_3 src1_sel:BYTE_3
	global_load_dword v39, v[53:54], off offset:6
	v_mul_i32_i24_sdwa v35, v23, sext(v19) dst_sel:DWORD dst_unused:UNUSED_PAD src0_sel:BYTE_0 src1_sel:BYTE_0
	v_mul_i32_i24_sdwa v34, v23, sext(v19) dst_sel:DWORD dst_unused:UNUSED_PAD src0_sel:BYTE_1 src1_sel:BYTE_1
	v_mul_i32_i24_sdwa v33, v23, sext(v19) dst_sel:DWORD dst_unused:UNUSED_PAD src0_sel:BYTE_2 src1_sel:BYTE_2
	v_mul_i32_i24_sdwa v29, v23, sext(v19) dst_sel:DWORD dst_unused:UNUSED_PAD src0_sel:BYTE_3 src1_sel:BYTE_3
	s_waitcnt vmcnt(1)
	v_mul_i32_i24_sdwa v32, v16, sext(v49) dst_sel:DWORD dst_unused:UNUSED_PAD src0_sel:BYTE_0 src1_sel:BYTE_0
	v_mul_i32_i24_sdwa v31, v16, sext(v49) dst_sel:DWORD dst_unused:UNUSED_PAD src0_sel:BYTE_1 src1_sel:BYTE_1
	v_mul_i32_i24_sdwa v30, v16, sext(v49) dst_sel:DWORD dst_unused:UNUSED_PAD src0_sel:BYTE_2 src1_sel:BYTE_2
	v_mul_i32_i24_sdwa v28, v16, sext(v49) dst_sel:DWORD dst_unused:UNUSED_PAD src0_sel:BYTE_3 src1_sel:BYTE_3
	v_lshlrev_b32_sdwa v16, v15, v24 dst_sel:DWORD dst_unused:UNUSED_PAD src0_sel:DWORD src1_sel:BYTE_3
	v_mul_i32_i24_sdwa v27, v17, sext(v50) dst_sel:DWORD dst_unused:UNUSED_PAD src0_sel:BYTE_0 src1_sel:BYTE_0
	v_mul_i32_i24_sdwa v26, v17, sext(v50) dst_sel:DWORD dst_unused:UNUSED_PAD src0_sel:BYTE_1 src1_sel:BYTE_1
	v_mul_i32_i24_sdwa v25, v17, sext(v50) dst_sel:DWORD dst_unused:UNUSED_PAD src0_sel:BYTE_2 src1_sel:BYTE_2
	v_mul_i32_i24_sdwa v22, v17, sext(v50) dst_sel:DWORD dst_unused:UNUSED_PAD src0_sel:BYTE_3 src1_sel:BYTE_3
	global_load_dwordx2 v[49:50], v16, s[0:1]
	s_waitcnt vmcnt(0)
	v_mul_i32_i24_sdwa v24, v49, sext(v51) dst_sel:DWORD dst_unused:UNUSED_PAD src0_sel:BYTE_0 src1_sel:BYTE_0
	v_mul_i32_i24_sdwa v23, v49, sext(v51) dst_sel:DWORD dst_unused:UNUSED_PAD src0_sel:BYTE_1 src1_sel:BYTE_1
	v_mul_i32_i24_sdwa v21, v49, sext(v51) dst_sel:DWORD dst_unused:UNUSED_PAD src0_sel:BYTE_2 src1_sel:BYTE_2
	v_mul_i32_i24_sdwa v20, v49, sext(v51) dst_sel:DWORD dst_unused:UNUSED_PAD src0_sel:BYTE_3 src1_sel:BYTE_3
	v_and_b32_e32 v49, 0x7f, v39
	v_mul_i32_i24_sdwa v19, v50, sext(v52) dst_sel:DWORD dst_unused:UNUSED_PAD src0_sel:BYTE_0 src1_sel:BYTE_0
	v_mul_i32_i24_sdwa v18, v50, sext(v52) dst_sel:DWORD dst_unused:UNUSED_PAD src0_sel:BYTE_1 src1_sel:BYTE_1
	v_mul_i32_i24_sdwa v17, v50, sext(v52) dst_sel:DWORD dst_unused:UNUSED_PAD src0_sel:BYTE_2 src1_sel:BYTE_2
	v_mul_i32_i24_sdwa v16, v50, sext(v52) dst_sel:DWORD dst_unused:UNUSED_PAD src0_sel:BYTE_3 src1_sel:BYTE_3
	global_load_sbyte v50, v49, s[6:7]
	s_waitcnt vmcnt(0)
	v_and_b32_e32 v51, 2, v50
	v_cmp_eq_u16_e32 vcc, 0, v51
	v_and_b32_e32 v51, 4, v50
	v_cmp_eq_u16_e64 s[0:1], 0, v51
	v_and_b32_e32 v51, 8, v50
	v_cmp_eq_u16_e64 s[2:3], 0, v51
	;; [unrolled: 2-line block ×3, first 2 shown]
	v_sub_u32_e32 v51, 0, v48
	v_cndmask_b32_e64 v48, v51, v48, s[4:5]
	v_sub_u32_e32 v51, 0, v47
	v_cndmask_b32_e32 v47, v51, v47, vcc
	v_sub_u32_e32 v51, 0, v46
	v_cndmask_b32_e64 v46, v51, v46, s[0:1]
	v_sub_u32_e32 v51, 0, v45
	v_cndmask_b32_e64 v45, v51, v45, s[2:3]
	v_add_u32_e32 v47, v47, v48
	v_add3_u32 v45, v47, v46, v45
	v_and_b32_e32 v46, 32, v50
	v_cmp_eq_u16_e32 vcc, 0, v46
	v_and_b32_e32 v46, 16, v50
	v_cmp_eq_u16_e64 s[0:1], 0, v46
	v_sub_u32_e32 v46, 0, v44
	v_cndmask_b32_e64 v44, v46, v44, s[0:1]
	v_sub_u32_e32 v46, 0, v43
	v_cndmask_b32_e32 v43, v46, v43, vcc
	v_add3_u32 v43, v45, v44, v43
	v_cmp_gt_u32_e32 vcc, 64, v49
	v_sub_u32_e32 v44, 0, v42
	v_cmp_gt_i16_e64 s[0:1], 0, v50
	v_cndmask_b32_e32 v42, v44, v42, vcc
	v_sub_u32_e32 v44, 0, v41
	v_cndmask_b32_e64 v41, v41, v44, s[0:1]
	v_add3_u32 v42, v43, v42, v41
	v_bfe_u32 v43, v39, 7, 7
	global_load_sbyte v41, v43, s[6:7]
	s_nop 0
	global_load_ushort v7, v[7:8], off
	s_nop 0
	global_load_ushort v6, v[5:6], off
	s_waitcnt vmcnt(2)
	v_and_b32_e32 v5, 8, v41
	v_cmp_eq_u16_e64 s[36:37], 0, v5
	v_and_b32_e32 v5, 4, v41
	v_cmp_eq_u16_e64 s[38:39], 0, v5
	;; [unrolled: 2-line block ×4, first 2 shown]
	v_bfe_u32 v5, v39, 14, 7
	v_cmp_gt_u32_e64 s[16:17], 64, v5
	global_load_sbyte v5, v5, s[6:7]
	v_and_b32_e32 v44, 2, v41
	v_cmp_eq_u16_e32 vcc, 0, v44
	v_and_b32_e32 v44, 1, v41
	v_cmp_eq_u16_e64 s[0:1], 0, v44
	v_sub_u32_e32 v44, 0, v40
	v_cndmask_b32_e64 v40, v44, v40, s[0:1]
	v_sub_u32_e32 v44, 0, v38
	v_cndmask_b32_e32 v38, v44, v38, vcc
	v_cmp_le_u32_e32 vcc, s33, v10
	s_or_b64 s[44:45], vcc, s[44:45]
	v_cmp_gt_u32_e64 s[0:1], 64, v43
	v_cmp_gt_i16_e64 s[20:21], 0, v41
	v_add3_u32 v38, v42, v40, v38
	s_waitcnt vmcnt(1)
	v_cvt_f32_f16_e32 v6, v6
	s_waitcnt vmcnt(0)
	v_and_b32_e32 v8, 2, v5
	v_cmp_eq_u16_e64 s[22:23], 0, v8
	v_and_b32_e32 v8, 1, v5
	v_cmp_eq_u16_e64 s[28:29], 0, v8
	;; [unrolled: 2-line block ×4, first 2 shown]
	v_and_b32_e32 v8, 32, v5
	v_cmp_gt_i16_e64 s[4:5], 0, v5
	v_and_b32_e32 v5, 16, v5
	v_cmp_eq_u16_e64 s[34:35], 0, v5
	v_bfe_u32 v5, v39, 21, 7
	v_cmp_eq_u16_e64 s[26:27], 0, v8
	global_load_sbyte v8, v5, s[6:7]
	v_cmp_gt_u32_e64 s[2:3], 64, v5
	s_waitcnt vmcnt(0)
	v_and_b32_e32 v5, 2, v8
	v_cmp_eq_u16_e64 s[6:7], 0, v5
	v_and_b32_e32 v5, 1, v8
	v_cmp_eq_u16_e64 s[14:15], 0, v5
	;; [unrolled: 2-line block ×4, first 2 shown]
	v_and_b32_e32 v5, 32, v8
	v_cmp_gt_i16_e32 vcc, 0, v8
	v_and_b32_e32 v8, 4, v8
	v_cmp_eq_u16_e64 s[18:19], 0, v8
	v_sub_u32_e32 v8, 0, v37
	v_cndmask_b32_e64 v8, v8, v37, s[38:39]
	v_sub_u32_e32 v37, 0, v36
	v_cndmask_b32_e64 v36, v37, v36, s[36:37]
	;; [unrolled: 2-line block ×13, first 2 shown]
	v_sub_u32_e32 v37, 0, v22
	v_add3_u32 v8, v38, v8, v36
	v_cndmask_b32_e64 v22, v22, v37, s[4:5]
	v_sub_u32_e32 v37, 0, v24
	v_add3_u32 v8, v8, v35, v34
	v_cndmask_b32_e64 v24, v37, v24, s[14:15]
	;; [unrolled: 3-line block ×5, first 2 shown]
	v_sub_u32_e32 v37, 0, v19
	v_add3_u32 v8, v8, v27, v26
	v_cmp_eq_u16_e64 s[12:13], 0, v5
	v_cndmask_b32_e64 v19, v37, v19, s[10:11]
	v_sub_u32_e32 v37, 0, v18
	v_add3_u32 v8, v8, v25, v22
	v_cndmask_b32_e64 v18, v37, v18, s[12:13]
	v_sub_u32_e32 v37, 0, v17
	v_add3_u32 v8, v8, v24, v23
	;; [unrolled: 3-line block ×3, first 2 shown]
	v_cvt_f32_f16_e32 v5, v7
	v_lshrrev_b32_e32 v7, 28, v39
	v_cndmask_b32_e32 v16, v16, v37, vcc
	v_add3_u32 v8, v8, v19, v18
	v_cvt_f32_ubyte0_e32 v7, v7
	v_add3_u32 v8, v8, v17, v16
	v_add_f32_e32 v7, 0.5, v7
	v_cvt_f32_i32_e32 v8, v8
	v_mul_f32_e32 v6, v7, v6
	v_mul_f32_e32 v5, v6, v5
	;; [unrolled: 1-line block ×3, first 2 shown]
	v_fmac_f32_e32 v11, v5, v8
	s_andn2_b64 exec, exec, s[44:45]
	s_cbranch_execnz .LBB266_3
; %bb.4:
	s_or_b64 exec, exec, s[44:45]
.LBB266_5:
	s_or_b64 exec, exec, s[52:53]
	v_mbcnt_lo_u32_b32 v1, -1, 0
	v_mbcnt_hi_u32_b32 v2, -1, v1
	v_and_b32_e32 v1, 64, v2
	v_add_u32_e32 v3, 64, v1
	v_xor_b32_e32 v1, 32, v2
	v_cmp_lt_i32_e32 vcc, v1, v3
	v_cndmask_b32_e32 v1, v2, v1, vcc
	v_lshlrev_b32_e32 v1, 2, v1
	ds_bpermute_b32 v1, v1, v11
	v_xor_b32_e32 v4, 16, v2
	v_cmp_lt_i32_e32 vcc, v4, v3
	v_cndmask_b32_e32 v4, v2, v4, vcc
	v_lshlrev_b32_e32 v4, 2, v4
	s_waitcnt lgkmcnt(0)
	v_add_f32_e32 v1, v11, v1
	ds_bpermute_b32 v4, v4, v1
	v_xor_b32_e32 v5, 8, v2
	v_cmp_lt_i32_e32 vcc, v5, v3
	s_waitcnt lgkmcnt(0)
	v_add_f32_e32 v1, v1, v4
	v_cndmask_b32_e32 v4, v2, v5, vcc
	v_lshlrev_b32_e32 v4, 2, v4
	ds_bpermute_b32 v4, v4, v1
	v_xor_b32_e32 v5, 4, v2
	v_cmp_lt_i32_e32 vcc, v5, v3
	s_waitcnt lgkmcnt(0)
	v_add_f32_e32 v1, v1, v4
	v_cndmask_b32_e32 v4, v2, v5, vcc
	v_lshlrev_b32_e32 v4, 2, v4
	;; [unrolled: 7-line block ×3, first 2 shown]
	ds_bpermute_b32 v4, v4, v1
	v_xor_b32_e32 v5, 1, v2
	v_cmp_lt_i32_e32 vcc, v5, v3
	v_cndmask_b32_e32 v2, v2, v5, vcc
	v_lshlrev_b32_e32 v2, 2, v2
	s_waitcnt lgkmcnt(0)
	v_add_f32_e32 v1, v1, v4
	ds_bpermute_b32 v2, v2, v1
	v_cmp_eq_u32_e32 vcc, 0, v0
	s_and_b64 exec, exec, vcc
	s_cbranch_execz .LBB266_7
; %bb.6:
	s_waitcnt lgkmcnt(0)
	v_add_f32_e32 v0, v1, v2
	s_mul_i32 s0, s46, s48
	v_cvt_f16_f32_e32 v2, v0
	v_add_u32_e32 v0, s0, v9
	v_mov_b32_e32 v1, 0
	v_lshlrev_b64 v[0:1], 1, v[0:1]
	v_mov_b32_e32 v3, s51
	v_add_co_u32_e32 v0, vcc, s50, v0
	v_addc_co_u32_e32 v1, vcc, v3, v1, vcc
	global_store_short v[0:1], v2, off
.LBB266_7:
	s_endpgm
	.section	.rodata,"a",@progbits
	.p2align	6, 0x0
	.amdhsa_kernel _ZL9moe_vec_qIN3c104HalfELi256ELi8E13block_iq2_xxsLi1EXadL_ZL20vec_dot_iq2_xxs_q8_1PKvPK10block_q8_1RKiEEEvS4_S4_PT_PS8_iiii
		.amdhsa_group_segment_fixed_size 0
		.amdhsa_private_segment_fixed_size 0
		.amdhsa_kernarg_size 304
		.amdhsa_user_sgpr_count 6
		.amdhsa_user_sgpr_private_segment_buffer 1
		.amdhsa_user_sgpr_dispatch_ptr 0
		.amdhsa_user_sgpr_queue_ptr 0
		.amdhsa_user_sgpr_kernarg_segment_ptr 1
		.amdhsa_user_sgpr_dispatch_id 0
		.amdhsa_user_sgpr_flat_scratch_init 0
		.amdhsa_user_sgpr_private_segment_size 0
		.amdhsa_uses_dynamic_stack 0
		.amdhsa_system_sgpr_private_segment_wavefront_offset 0
		.amdhsa_system_sgpr_workgroup_id_x 1
		.amdhsa_system_sgpr_workgroup_id_y 0
		.amdhsa_system_sgpr_workgroup_id_z 1
		.amdhsa_system_sgpr_workgroup_info 0
		.amdhsa_system_vgpr_workitem_id 1
		.amdhsa_next_free_vgpr 55
		.amdhsa_next_free_sgpr 55
		.amdhsa_reserve_vcc 1
		.amdhsa_reserve_flat_scratch 0
		.amdhsa_float_round_mode_32 0
		.amdhsa_float_round_mode_16_64 0
		.amdhsa_float_denorm_mode_32 3
		.amdhsa_float_denorm_mode_16_64 3
		.amdhsa_dx10_clamp 1
		.amdhsa_ieee_mode 1
		.amdhsa_fp16_overflow 0
		.amdhsa_exception_fp_ieee_invalid_op 0
		.amdhsa_exception_fp_denorm_src 0
		.amdhsa_exception_fp_ieee_div_zero 0
		.amdhsa_exception_fp_ieee_overflow 0
		.amdhsa_exception_fp_ieee_underflow 0
		.amdhsa_exception_fp_ieee_inexact 0
		.amdhsa_exception_int_div_zero 0
	.end_amdhsa_kernel
	.section	.text._ZL9moe_vec_qIN3c104HalfELi256ELi8E13block_iq2_xxsLi1EXadL_ZL20vec_dot_iq2_xxs_q8_1PKvPK10block_q8_1RKiEEEvS4_S4_PT_PS8_iiii,"axG",@progbits,_ZL9moe_vec_qIN3c104HalfELi256ELi8E13block_iq2_xxsLi1EXadL_ZL20vec_dot_iq2_xxs_q8_1PKvPK10block_q8_1RKiEEEvS4_S4_PT_PS8_iiii,comdat
.Lfunc_end266:
	.size	_ZL9moe_vec_qIN3c104HalfELi256ELi8E13block_iq2_xxsLi1EXadL_ZL20vec_dot_iq2_xxs_q8_1PKvPK10block_q8_1RKiEEEvS4_S4_PT_PS8_iiii, .Lfunc_end266-_ZL9moe_vec_qIN3c104HalfELi256ELi8E13block_iq2_xxsLi1EXadL_ZL20vec_dot_iq2_xxs_q8_1PKvPK10block_q8_1RKiEEEvS4_S4_PT_PS8_iiii
                                        ; -- End function
	.set _ZL9moe_vec_qIN3c104HalfELi256ELi8E13block_iq2_xxsLi1EXadL_ZL20vec_dot_iq2_xxs_q8_1PKvPK10block_q8_1RKiEEEvS4_S4_PT_PS8_iiii.num_vgpr, 55
	.set _ZL9moe_vec_qIN3c104HalfELi256ELi8E13block_iq2_xxsLi1EXadL_ZL20vec_dot_iq2_xxs_q8_1PKvPK10block_q8_1RKiEEEvS4_S4_PT_PS8_iiii.num_agpr, 0
	.set _ZL9moe_vec_qIN3c104HalfELi256ELi8E13block_iq2_xxsLi1EXadL_ZL20vec_dot_iq2_xxs_q8_1PKvPK10block_q8_1RKiEEEvS4_S4_PT_PS8_iiii.numbered_sgpr, 55
	.set _ZL9moe_vec_qIN3c104HalfELi256ELi8E13block_iq2_xxsLi1EXadL_ZL20vec_dot_iq2_xxs_q8_1PKvPK10block_q8_1RKiEEEvS4_S4_PT_PS8_iiii.num_named_barrier, 0
	.set _ZL9moe_vec_qIN3c104HalfELi256ELi8E13block_iq2_xxsLi1EXadL_ZL20vec_dot_iq2_xxs_q8_1PKvPK10block_q8_1RKiEEEvS4_S4_PT_PS8_iiii.private_seg_size, 0
	.set _ZL9moe_vec_qIN3c104HalfELi256ELi8E13block_iq2_xxsLi1EXadL_ZL20vec_dot_iq2_xxs_q8_1PKvPK10block_q8_1RKiEEEvS4_S4_PT_PS8_iiii.uses_vcc, 1
	.set _ZL9moe_vec_qIN3c104HalfELi256ELi8E13block_iq2_xxsLi1EXadL_ZL20vec_dot_iq2_xxs_q8_1PKvPK10block_q8_1RKiEEEvS4_S4_PT_PS8_iiii.uses_flat_scratch, 0
	.set _ZL9moe_vec_qIN3c104HalfELi256ELi8E13block_iq2_xxsLi1EXadL_ZL20vec_dot_iq2_xxs_q8_1PKvPK10block_q8_1RKiEEEvS4_S4_PT_PS8_iiii.has_dyn_sized_stack, 0
	.set _ZL9moe_vec_qIN3c104HalfELi256ELi8E13block_iq2_xxsLi1EXadL_ZL20vec_dot_iq2_xxs_q8_1PKvPK10block_q8_1RKiEEEvS4_S4_PT_PS8_iiii.has_recursion, 0
	.set _ZL9moe_vec_qIN3c104HalfELi256ELi8E13block_iq2_xxsLi1EXadL_ZL20vec_dot_iq2_xxs_q8_1PKvPK10block_q8_1RKiEEEvS4_S4_PT_PS8_iiii.has_indirect_call, 0
	.section	.AMDGPU.csdata,"",@progbits
; Kernel info:
; codeLenInByte = 2052
; TotalNumSgprs: 59
; NumVgprs: 55
; ScratchSize: 0
; MemoryBound: 0
; FloatMode: 240
; IeeeMode: 1
; LDSByteSize: 0 bytes/workgroup (compile time only)
; SGPRBlocks: 7
; VGPRBlocks: 13
; NumSGPRsForWavesPerEU: 59
; NumVGPRsForWavesPerEU: 55
; Occupancy: 4
; WaveLimiterHint : 1
; COMPUTE_PGM_RSRC2:SCRATCH_EN: 0
; COMPUTE_PGM_RSRC2:USER_SGPR: 6
; COMPUTE_PGM_RSRC2:TRAP_HANDLER: 0
; COMPUTE_PGM_RSRC2:TGID_X_EN: 1
; COMPUTE_PGM_RSRC2:TGID_Y_EN: 0
; COMPUTE_PGM_RSRC2:TGID_Z_EN: 1
; COMPUTE_PGM_RSRC2:TIDIG_COMP_CNT: 1
	.section	.text._ZL9moe_vec_qIN3c104HalfELi256ELi8E12block_iq2_xsLi1EXadL_ZL19vec_dot_iq2_xs_q8_1PKvPK10block_q8_1RKiEEEvS4_S4_PT_PS8_iiii,"axG",@progbits,_ZL9moe_vec_qIN3c104HalfELi256ELi8E12block_iq2_xsLi1EXadL_ZL19vec_dot_iq2_xs_q8_1PKvPK10block_q8_1RKiEEEvS4_S4_PT_PS8_iiii,comdat
	.globl	_ZL9moe_vec_qIN3c104HalfELi256ELi8E12block_iq2_xsLi1EXadL_ZL19vec_dot_iq2_xs_q8_1PKvPK10block_q8_1RKiEEEvS4_S4_PT_PS8_iiii ; -- Begin function _ZL9moe_vec_qIN3c104HalfELi256ELi8E12block_iq2_xsLi1EXadL_ZL19vec_dot_iq2_xs_q8_1PKvPK10block_q8_1RKiEEEvS4_S4_PT_PS8_iiii
	.p2align	8
	.type	_ZL9moe_vec_qIN3c104HalfELi256ELi8E12block_iq2_xsLi1EXadL_ZL19vec_dot_iq2_xs_q8_1PKvPK10block_q8_1RKiEEEvS4_S4_PT_PS8_iiii,@function
_ZL9moe_vec_qIN3c104HalfELi256ELi8E12block_iq2_xsLi1EXadL_ZL19vec_dot_iq2_xs_q8_1PKvPK10block_q8_1RKiEEEvS4_S4_PT_PS8_iiii: ; @_ZL9moe_vec_qIN3c104HalfELi256ELi8E12block_iq2_xsLi1EXadL_ZL19vec_dot_iq2_xs_q8_1PKvPK10block_q8_1RKiEEEvS4_S4_PT_PS8_iiii
; %bb.0:
	s_load_dword s0, s[4:5], 0x3c
	s_load_dwordx4 s[40:43], s[4:5], 0x20
	s_waitcnt lgkmcnt(0)
	s_lshr_b32 s0, s0, 16
	s_mul_i32 s6, s6, s0
	v_add_u32_e32 v11, s6, v1
	v_cmp_gt_u32_e32 vcc, s42, v11
	s_and_saveexec_b64 s[0:1], vcc
	s_cbranch_execz .LBB267_7
; %bb.1:
	s_load_dwordx2 s[46:47], s[4:5], 0x10
	s_ashr_i32 s0, s41, 31
	s_lshr_b32 s0, s0, 24
	s_add_i32 s0, s41, s0
	s_ashr_i32 s33, s0, 8
	v_lshrrev_b32_e32 v12, 3, v0
	s_mov_b32 s44, s7
	v_cmp_gt_u32_e32 vcc, s33, v12
	v_mov_b32_e32 v13, 0
	s_and_saveexec_b64 s[48:49], vcc
	s_cbranch_execz .LBB267_5
; %bb.2:
	s_load_dwordx2 s[0:1], s[4:5], 0x18
	v_cvt_f32_u32_e32 v1, s40
	s_mov_b32 s45, 0
	s_lshl_b64 s[2:3], s[44:45], 2
	v_and_b32_e32 v15, 7, v0
	s_waitcnt lgkmcnt(0)
	s_add_u32 s6, s0, s2
	v_rcp_iflag_f32_e32 v1, v1
	s_addc_u32 s7, s1, s3
	s_load_dword s8, s[6:7], 0x0
	s_load_dwordx4 s[0:3], s[4:5], 0x0
	s_mul_i32 s4, s33, s42
	v_mul_f32_e32 v1, 0x4f7ffffe, v1
	v_cvt_u32_f32_e32 v1, v1
	s_waitcnt lgkmcnt(0)
	s_mul_i32 s4, s4, s8
	s_mul_hi_i32 s5, s4, 0x4a
	s_mulk_i32 s4, 0x4a
	s_add_u32 s0, s0, s4
	s_addc_u32 s1, s1, s5
	s_sub_i32 s4, 0, s40
	v_readfirstlane_b32 s5, v1
	s_mul_i32 s4, s4, s5
	s_mul_hi_u32 s4, s5, s4
	s_add_i32 s5, s5, s4
	s_mul_hi_u32 s4, s44, s5
	s_mul_i32 s5, s4, s40
	s_sub_i32 s5, s44, s5
	s_add_i32 s6, s4, 1
	s_sub_i32 s7, s5, s40
	s_cmp_ge_u32 s5, s40
	s_cselect_b32 s4, s6, s4
	s_cselect_b32 s5, s7, s5
	s_add_i32 s6, s4, 1
	s_cmp_ge_u32 s5, s40
	s_cselect_b32 s4, s6, s4
	s_mul_i32 s4, s4, s43
	s_mov_b32 s5, s45
	s_lshl_b64 s[4:5], s[4:5], 2
	s_add_u32 s2, s2, s4
	s_addc_u32 s3, s3, s5
	v_mul_lo_u32 v14, v11, s33
	v_mad_u64_u32 v[1:2], s[2:3], v15, 36, s[2:3]
	v_lshlrev_b32_e32 v5, 2, v15
	v_mov_b32_e32 v4, s1
	s_movk_i32 s50, 0x4a
	v_mov_b32_e32 v16, 0
	v_lshlrev_b32_e32 v17, 3, v12
	s_mov_b64 s[40:41], 0
	v_mov_b32_e32 v3, s0
	v_lshlrev_b32_e32 v18, 1, v5
	v_mov_b32_e32 v13, 0
.LBB267_3:                              ; =>This Inner Loop Header: Depth=1
	v_add_u32_e32 v5, v14, v12
	v_mad_i64_i32 v[9:10], s[2:3], v5, s50, v[3:4]
	v_mad_i64_i32 v[7:8], s[0:1], v17, 36, v[1:2]
	v_add_co_u32_e32 v5, vcc, v9, v18
	v_addc_co_u32_e32 v6, vcc, 0, v10, vcc
	global_load_dwordx2 v[5:6], v[5:6], off offset:2
	s_getpc_b64 s[0:1]
	s_add_u32 s0, s0, _ZL10iq2xs_grid@rel32@lo+4
	s_addc_u32 s1, s1, _ZL10iq2xs_grid@rel32@hi+12
	global_load_dwordx4 v[25:28], v[7:8], off offset:4
	s_getpc_b64 s[8:9]
	s_add_u32 s8, s8, _ZL12ksigns_iq2xs@rel32@lo+4
	s_addc_u32 s9, s9, _ZL12ksigns_iq2xs@rel32@hi+12
	v_add_u32_e32 v12, 8, v12
	v_add_u32_e32 v17, 64, v17
	s_waitcnt vmcnt(1)
	v_and_b32_e32 v19, 0x1ff, v5
	v_lshrrev_b32_e32 v20, 13, v5
	v_lshlrev_b32_e32 v21, 3, v19
	v_and_b32_e32 v22, 0xff8, v20
	global_load_dwordx2 v[19:20], v21, s[0:1]
	global_load_dwordx2 v[31:32], v22, s[0:1]
	v_cmp_gt_i16_e64 s[6:7], 0, v5
	s_waitcnt vmcnt(1)
	v_mul_i32_i24_sdwa v49, v19, sext(v25) dst_sel:DWORD dst_unused:UNUSED_PAD src0_sel:BYTE_0 src1_sel:BYTE_0
	v_mul_i32_i24_sdwa v47, v19, sext(v25) dst_sel:DWORD dst_unused:UNUSED_PAD src0_sel:BYTE_1 src1_sel:BYTE_1
	v_mul_i32_i24_sdwa v45, v19, sext(v25) dst_sel:DWORD dst_unused:UNUSED_PAD src0_sel:BYTE_2 src1_sel:BYTE_2
	v_mul_i32_i24_sdwa v43, v19, sext(v25) dst_sel:DWORD dst_unused:UNUSED_PAD src0_sel:BYTE_3 src1_sel:BYTE_3
	v_mul_i32_i24_sdwa v40, v20, sext(v26) dst_sel:DWORD dst_unused:UNUSED_PAD src0_sel:BYTE_0 src1_sel:BYTE_0
	v_mul_i32_i24_sdwa v39, v20, sext(v26) dst_sel:DWORD dst_unused:UNUSED_PAD src0_sel:BYTE_1 src1_sel:BYTE_1
	v_mul_i32_i24_sdwa v30, v20, sext(v26) dst_sel:DWORD dst_unused:UNUSED_PAD src0_sel:BYTE_2 src1_sel:BYTE_2
	v_mul_i32_i24_sdwa v29, v20, sext(v26) dst_sel:DWORD dst_unused:UNUSED_PAD src0_sel:BYTE_3 src1_sel:BYTE_3
	s_waitcnt vmcnt(0)
	v_mul_i32_i24_sdwa v26, v31, sext(v27) dst_sel:DWORD dst_unused:UNUSED_PAD src0_sel:BYTE_0 src1_sel:BYTE_0
	v_mul_i32_i24_sdwa v25, v31, sext(v27) dst_sel:DWORD dst_unused:UNUSED_PAD src0_sel:BYTE_1 src1_sel:BYTE_1
	v_mul_i32_i24_sdwa v24, v31, sext(v27) dst_sel:DWORD dst_unused:UNUSED_PAD src0_sel:BYTE_2 src1_sel:BYTE_2
	v_mul_i32_i24_sdwa v23, v31, sext(v27) dst_sel:DWORD dst_unused:UNUSED_PAD src0_sel:BYTE_3 src1_sel:BYTE_3
	v_and_b32_e32 v27, 0x1ff, v6
	v_lshlrev_b32_e32 v27, 3, v27
	v_mul_i32_i24_sdwa v22, v32, sext(v28) dst_sel:DWORD dst_unused:UNUSED_PAD src0_sel:BYTE_0 src1_sel:BYTE_0
	v_mul_i32_i24_sdwa v21, v32, sext(v28) dst_sel:DWORD dst_unused:UNUSED_PAD src0_sel:BYTE_1 src1_sel:BYTE_1
	v_mul_i32_i24_sdwa v20, v32, sext(v28) dst_sel:DWORD dst_unused:UNUSED_PAD src0_sel:BYTE_2 src1_sel:BYTE_2
	v_mul_i32_i24_sdwa v19, v32, sext(v28) dst_sel:DWORD dst_unused:UNUSED_PAD src0_sel:BYTE_3 src1_sel:BYTE_3
	global_load_dwordx2 v[27:28], v27, s[0:1]
	s_nop 0
	global_load_dwordx4 v[51:54], v[7:8], off offset:20
	s_waitcnt vmcnt(0)
	v_mul_i32_i24_sdwa v50, v27, sext(v51) dst_sel:DWORD dst_unused:UNUSED_PAD src0_sel:BYTE_0 src1_sel:BYTE_0
	v_mul_i32_i24_sdwa v48, v27, sext(v51) dst_sel:DWORD dst_unused:UNUSED_PAD src0_sel:BYTE_1 src1_sel:BYTE_1
	v_mul_i32_i24_sdwa v46, v27, sext(v51) dst_sel:DWORD dst_unused:UNUSED_PAD src0_sel:BYTE_2 src1_sel:BYTE_2
	v_mul_i32_i24_sdwa v44, v27, sext(v51) dst_sel:DWORD dst_unused:UNUSED_PAD src0_sel:BYTE_3 src1_sel:BYTE_3
	v_lshrrev_b32_e32 v27, 13, v6
	v_and_b32_e32 v27, 0xff8, v27
	v_mul_i32_i24_sdwa v42, v28, sext(v52) dst_sel:DWORD dst_unused:UNUSED_PAD src0_sel:BYTE_0 src1_sel:BYTE_0
	v_mul_i32_i24_sdwa v41, v28, sext(v52) dst_sel:DWORD dst_unused:UNUSED_PAD src0_sel:BYTE_1 src1_sel:BYTE_1
	v_mul_i32_i24_sdwa v36, v28, sext(v52) dst_sel:DWORD dst_unused:UNUSED_PAD src0_sel:BYTE_2 src1_sel:BYTE_2
	v_mul_i32_i24_sdwa v35, v28, sext(v52) dst_sel:DWORD dst_unused:UNUSED_PAD src0_sel:BYTE_3 src1_sel:BYTE_3
	global_load_dwordx2 v[51:52], v27, s[0:1]
	s_waitcnt vmcnt(0)
	v_mul_i32_i24_sdwa v38, v51, sext(v53) dst_sel:DWORD dst_unused:UNUSED_PAD src0_sel:BYTE_0 src1_sel:BYTE_0
	v_mul_i32_i24_sdwa v37, v51, sext(v53) dst_sel:DWORD dst_unused:UNUSED_PAD src0_sel:BYTE_1 src1_sel:BYTE_1
	v_mul_i32_i24_sdwa v34, v51, sext(v53) dst_sel:DWORD dst_unused:UNUSED_PAD src0_sel:BYTE_2 src1_sel:BYTE_2
	v_mul_i32_i24_sdwa v33, v51, sext(v53) dst_sel:DWORD dst_unused:UNUSED_PAD src0_sel:BYTE_3 src1_sel:BYTE_3
	v_bfe_u32 v51, v5, 9, 7
	global_load_sbyte v51, v51, s[8:9]
	v_mul_i32_i24_sdwa v32, v52, sext(v54) dst_sel:DWORD dst_unused:UNUSED_PAD src0_sel:BYTE_0 src1_sel:BYTE_0
	v_mul_i32_i24_sdwa v31, v52, sext(v54) dst_sel:DWORD dst_unused:UNUSED_PAD src0_sel:BYTE_1 src1_sel:BYTE_1
	v_mul_i32_i24_sdwa v28, v52, sext(v54) dst_sel:DWORD dst_unused:UNUSED_PAD src0_sel:BYTE_2 src1_sel:BYTE_2
	v_mul_i32_i24_sdwa v27, v52, sext(v54) dst_sel:DWORD dst_unused:UNUSED_PAD src0_sel:BYTE_3 src1_sel:BYTE_3
	global_load_ushort v8, v[7:8], off
	s_waitcnt vmcnt(1)
	v_and_b32_e32 v52, 2, v51
	v_cmp_eq_u16_e32 vcc, 0, v52
	v_and_b32_e32 v52, 4, v51
	v_cmp_eq_u16_e64 s[0:1], 0, v52
	v_and_b32_e32 v52, 8, v51
	v_cmp_eq_u16_e64 s[2:3], 0, v52
	;; [unrolled: 2-line block ×3, first 2 shown]
	v_sub_u32_e32 v52, 0, v49
	v_cndmask_b32_e64 v49, v52, v49, s[4:5]
	v_sub_u32_e32 v52, 0, v47
	v_cndmask_b32_e32 v47, v52, v47, vcc
	v_sub_u32_e32 v52, 0, v45
	v_cndmask_b32_e64 v45, v52, v45, s[0:1]
	v_sub_u32_e32 v52, 0, v43
	v_cndmask_b32_e64 v43, v52, v43, s[2:3]
	v_add_u32_e32 v47, v47, v49
	v_add3_u32 v45, v47, v45, v43
	v_bfe_u32 v43, v6, 9, 7
	global_load_sbyte v43, v43, s[8:9]
	v_sub_u32_e32 v49, 0, v48
	v_cmp_gt_i16_e64 s[36:37], 0, v51
	s_waitcnt vmcnt(0)
	v_and_b32_e32 v47, 2, v43
	v_cmp_eq_u16_e32 vcc, 0, v47
	v_and_b32_e32 v47, 4, v43
	v_cmp_eq_u16_e64 s[0:1], 0, v47
	v_and_b32_e32 v47, 8, v43
	v_cmp_eq_u16_e64 s[2:3], 0, v47
	;; [unrolled: 2-line block ×3, first 2 shown]
	v_sub_u32_e32 v47, 0, v50
	v_cndmask_b32_e32 v48, v49, v48, vcc
	v_sub_u32_e32 v49, 0, v46
	v_cndmask_b32_e64 v47, v47, v50, s[4:5]
	v_cndmask_b32_e64 v46, v49, v46, s[0:1]
	v_sub_u32_e32 v49, 0, v44
	v_cndmask_b32_e64 v44, v49, v44, s[2:3]
	v_add_u32_e32 v47, v48, v47
	v_add3_u32 v44, v47, v46, v44
	v_and_b32_e32 v46, 32, v51
	v_cmp_eq_u16_e32 vcc, 0, v46
	v_and_b32_e32 v46, 16, v51
	v_cmp_eq_u16_e64 s[0:1], 0, v46
	v_sub_u32_e32 v46, 0, v40
	v_cndmask_b32_e64 v40, v46, v40, s[0:1]
	v_sub_u32_e32 v46, 0, v39
	v_cndmask_b32_e32 v39, v46, v39, vcc
	v_add3_u32 v39, v45, v40, v39
	v_and_b32_e32 v40, 32, v43
	v_cmp_eq_u16_e32 vcc, 0, v40
	v_and_b32_e32 v40, 16, v43
	v_cmp_eq_u16_e64 s[0:1], 0, v40
	v_sub_u32_e32 v40, 0, v42
	v_cndmask_b32_e64 v40, v40, v42, s[0:1]
	v_sub_u32_e32 v42, 0, v41
	v_cndmask_b32_e32 v41, v42, v41, vcc
	v_add3_u32 v40, v44, v40, v41
	v_add_co_u32_e32 v41, vcc, v9, v15
	v_cmp_gt_i16_e64 s[4:5], 0, v6
	v_cmp_lt_i16_sdwa s[2:3], v6, v16 src0_sel:WORD_1 src1_sel:DWORD
	v_lshrrev_b32_e32 v6, 25, v6
	v_addc_co_u32_e32 v42, vcc, 0, v10, vcc
	global_load_ushort v9, v[9:10], off
	s_nop 0
	global_load_ubyte v7, v[41:42], off offset:66
	v_cmp_lt_i16_sdwa s[0:1], v5, v16 src0_sel:WORD_1 src1_sel:DWORD
	global_load_sbyte v6, v6, s[8:9]
	v_lshrrev_b32_e32 v5, 25, v5
	v_cmp_le_u32_e32 vcc, s33, v12
	s_or_b64 s[40:41], vcc, s[40:41]
	v_cmp_gt_i16_e64 s[16:17], 0, v43
	s_waitcnt vmcnt(0)
	v_and_b32_e32 v10, 2, v6
	v_cmp_eq_u16_e64 s[10:11], 0, v10
	v_and_b32_e32 v10, 1, v6
	v_cmp_eq_u16_e64 s[24:25], 0, v10
	global_load_sbyte v10, v5, s[8:9]
	v_cmp_gt_i16_e64 s[8:9], 0, v6
	s_waitcnt vmcnt(0)
	v_and_b32_e32 v5, 2, v10
	v_cmp_eq_u16_e64 s[12:13], 0, v5
	v_and_b32_e32 v5, 1, v10
	v_cmp_eq_u16_e64 s[26:27], 0, v5
	;; [unrolled: 2-line block ×9, first 2 shown]
	v_cvt_f32_f16_e32 v5, v8
	v_cmp_gt_i16_e32 vcc, 0, v10
	v_and_b32_e32 v8, 16, v10
	v_sub_u32_e32 v10, 0, v36
	v_cndmask_b32_e64 v10, v36, v10, s[4:5]
	v_sub_u32_e32 v36, 0, v26
	v_cndmask_b32_e64 v26, v36, v26, s[26:27]
	;; [unrolled: 2-line block ×7, first 2 shown]
	v_sub_u32_e32 v36, 0, v32
	v_cvt_f32_f16_e32 v6, v9
	v_sub_u32_e32 v9, 0, v29
	v_cndmask_b32_e64 v32, v36, v32, s[34:35]
	v_sub_u32_e32 v36, 0, v31
	v_cmp_eq_u16_e64 s[38:39], 0, v8
	v_sub_u32_e32 v8, 0, v30
	v_cndmask_b32_e64 v9, v29, v9, s[36:37]
	v_sub_u32_e32 v29, 0, v35
	v_cndmask_b32_e64 v31, v36, v31, s[20:21]
	;; [unrolled: 2-line block ×3, first 2 shown]
	v_cndmask_b32_e64 v29, v35, v29, s[16:17]
	v_sub_u32_e32 v30, 0, v38
	v_sub_u32_e32 v35, 0, v37
	v_cndmask_b32_e64 v22, v36, v22, s[38:39]
	v_sub_u32_e32 v36, 0, v21
	v_cndmask_b32_e64 v30, v30, v38, s[24:25]
	v_cndmask_b32_e64 v35, v35, v37, s[10:11]
	;; [unrolled: 1-line block ×3, first 2 shown]
	v_sub_u32_e32 v36, 0, v28
	v_add3_u32 v8, v39, v8, v9
	v_add3_u32 v9, v40, v10, v29
	v_cndmask_b32_e64 v28, v28, v36, s[2:3]
	v_sub_u32_e32 v36, 0, v27
	v_add3_u32 v9, v9, v30, v35
	v_cndmask_b32_e64 v27, v27, v36, s[8:9]
	v_sub_u32_e32 v36, 0, v20
	v_add3_u32 v8, v8, v26, v25
	v_add3_u32 v9, v9, v34, v33
	v_cndmask_b32_e64 v20, v20, v36, s[0:1]
	v_sub_u32_e32 v36, 0, v19
	v_add3_u32 v8, v8, v24, v23
	v_add3_u32 v9, v9, v32, v31
	v_cndmask_b32_e32 v19, v19, v36, vcc
	v_add3_u32 v8, v8, v22, v21
	v_add3_u32 v9, v9, v28, v27
	;; [unrolled: 1-line block ×3, first 2 shown]
	v_cvt_f32_i32_e32 v9, v9
	v_lshrrev_b16_e32 v36, 4, v7
	v_cvt_f32_i32_e32 v8, v8
	v_and_b32_e32 v7, 15, v7
	v_cvt_f32_ubyte0_e32 v36, v36
	v_cvt_f32_ubyte0_e32 v7, v7
	v_add_f32_e32 v36, 0.5, v36
	v_add_f32_e32 v7, 0.5, v7
	v_mul_f32_e32 v5, v6, v5
	v_mul_f32_e32 v6, v36, v9
	;; [unrolled: 1-line block ×3, first 2 shown]
	v_fmac_f32_e32 v6, v7, v8
	v_fmac_f32_e32 v13, v5, v6
	s_andn2_b64 exec, exec, s[40:41]
	s_cbranch_execnz .LBB267_3
; %bb.4:
	s_or_b64 exec, exec, s[40:41]
.LBB267_5:
	s_or_b64 exec, exec, s[48:49]
	v_mbcnt_lo_u32_b32 v1, -1, 0
	v_mbcnt_hi_u32_b32 v2, -1, v1
	v_and_b32_e32 v1, 64, v2
	v_add_u32_e32 v3, 64, v1
	v_xor_b32_e32 v1, 32, v2
	v_cmp_lt_i32_e32 vcc, v1, v3
	v_cndmask_b32_e32 v1, v2, v1, vcc
	v_lshlrev_b32_e32 v1, 2, v1
	ds_bpermute_b32 v1, v1, v13
	v_xor_b32_e32 v4, 16, v2
	v_cmp_lt_i32_e32 vcc, v4, v3
	v_cndmask_b32_e32 v4, v2, v4, vcc
	v_lshlrev_b32_e32 v4, 2, v4
	s_waitcnt lgkmcnt(0)
	v_add_f32_e32 v1, v13, v1
	ds_bpermute_b32 v4, v4, v1
	v_xor_b32_e32 v5, 8, v2
	v_cmp_lt_i32_e32 vcc, v5, v3
	s_waitcnt lgkmcnt(0)
	v_add_f32_e32 v1, v1, v4
	v_cndmask_b32_e32 v4, v2, v5, vcc
	v_lshlrev_b32_e32 v4, 2, v4
	ds_bpermute_b32 v4, v4, v1
	v_xor_b32_e32 v5, 4, v2
	v_cmp_lt_i32_e32 vcc, v5, v3
	s_waitcnt lgkmcnt(0)
	v_add_f32_e32 v1, v1, v4
	v_cndmask_b32_e32 v4, v2, v5, vcc
	v_lshlrev_b32_e32 v4, 2, v4
	;; [unrolled: 7-line block ×3, first 2 shown]
	ds_bpermute_b32 v4, v4, v1
	v_xor_b32_e32 v5, 1, v2
	v_cmp_lt_i32_e32 vcc, v5, v3
	v_cndmask_b32_e32 v2, v2, v5, vcc
	v_lshlrev_b32_e32 v2, 2, v2
	s_waitcnt lgkmcnt(0)
	v_add_f32_e32 v1, v1, v4
	ds_bpermute_b32 v2, v2, v1
	v_cmp_eq_u32_e32 vcc, 0, v0
	s_and_b64 exec, exec, vcc
	s_cbranch_execz .LBB267_7
; %bb.6:
	s_waitcnt lgkmcnt(0)
	v_add_f32_e32 v0, v1, v2
	s_mul_i32 s0, s42, s44
	v_cvt_f16_f32_e32 v2, v0
	v_add_u32_e32 v0, s0, v11
	v_mov_b32_e32 v1, 0
	v_lshlrev_b64 v[0:1], 1, v[0:1]
	v_mov_b32_e32 v3, s47
	v_add_co_u32_e32 v0, vcc, s46, v0
	v_addc_co_u32_e32 v1, vcc, v3, v1, vcc
	global_store_short v[0:1], v2, off
.LBB267_7:
	s_endpgm
	.section	.rodata,"a",@progbits
	.p2align	6, 0x0
	.amdhsa_kernel _ZL9moe_vec_qIN3c104HalfELi256ELi8E12block_iq2_xsLi1EXadL_ZL19vec_dot_iq2_xs_q8_1PKvPK10block_q8_1RKiEEEvS4_S4_PT_PS8_iiii
		.amdhsa_group_segment_fixed_size 0
		.amdhsa_private_segment_fixed_size 0
		.amdhsa_kernarg_size 304
		.amdhsa_user_sgpr_count 6
		.amdhsa_user_sgpr_private_segment_buffer 1
		.amdhsa_user_sgpr_dispatch_ptr 0
		.amdhsa_user_sgpr_queue_ptr 0
		.amdhsa_user_sgpr_kernarg_segment_ptr 1
		.amdhsa_user_sgpr_dispatch_id 0
		.amdhsa_user_sgpr_flat_scratch_init 0
		.amdhsa_user_sgpr_private_segment_size 0
		.amdhsa_uses_dynamic_stack 0
		.amdhsa_system_sgpr_private_segment_wavefront_offset 0
		.amdhsa_system_sgpr_workgroup_id_x 1
		.amdhsa_system_sgpr_workgroup_id_y 0
		.amdhsa_system_sgpr_workgroup_id_z 1
		.amdhsa_system_sgpr_workgroup_info 0
		.amdhsa_system_vgpr_workitem_id 1
		.amdhsa_next_free_vgpr 55
		.amdhsa_next_free_sgpr 51
		.amdhsa_reserve_vcc 1
		.amdhsa_reserve_flat_scratch 0
		.amdhsa_float_round_mode_32 0
		.amdhsa_float_round_mode_16_64 0
		.amdhsa_float_denorm_mode_32 3
		.amdhsa_float_denorm_mode_16_64 3
		.amdhsa_dx10_clamp 1
		.amdhsa_ieee_mode 1
		.amdhsa_fp16_overflow 0
		.amdhsa_exception_fp_ieee_invalid_op 0
		.amdhsa_exception_fp_denorm_src 0
		.amdhsa_exception_fp_ieee_div_zero 0
		.amdhsa_exception_fp_ieee_overflow 0
		.amdhsa_exception_fp_ieee_underflow 0
		.amdhsa_exception_fp_ieee_inexact 0
		.amdhsa_exception_int_div_zero 0
	.end_amdhsa_kernel
	.section	.text._ZL9moe_vec_qIN3c104HalfELi256ELi8E12block_iq2_xsLi1EXadL_ZL19vec_dot_iq2_xs_q8_1PKvPK10block_q8_1RKiEEEvS4_S4_PT_PS8_iiii,"axG",@progbits,_ZL9moe_vec_qIN3c104HalfELi256ELi8E12block_iq2_xsLi1EXadL_ZL19vec_dot_iq2_xs_q8_1PKvPK10block_q8_1RKiEEEvS4_S4_PT_PS8_iiii,comdat
.Lfunc_end267:
	.size	_ZL9moe_vec_qIN3c104HalfELi256ELi8E12block_iq2_xsLi1EXadL_ZL19vec_dot_iq2_xs_q8_1PKvPK10block_q8_1RKiEEEvS4_S4_PT_PS8_iiii, .Lfunc_end267-_ZL9moe_vec_qIN3c104HalfELi256ELi8E12block_iq2_xsLi1EXadL_ZL19vec_dot_iq2_xs_q8_1PKvPK10block_q8_1RKiEEEvS4_S4_PT_PS8_iiii
                                        ; -- End function
	.set _ZL9moe_vec_qIN3c104HalfELi256ELi8E12block_iq2_xsLi1EXadL_ZL19vec_dot_iq2_xs_q8_1PKvPK10block_q8_1RKiEEEvS4_S4_PT_PS8_iiii.num_vgpr, 55
	.set _ZL9moe_vec_qIN3c104HalfELi256ELi8E12block_iq2_xsLi1EXadL_ZL19vec_dot_iq2_xs_q8_1PKvPK10block_q8_1RKiEEEvS4_S4_PT_PS8_iiii.num_agpr, 0
	.set _ZL9moe_vec_qIN3c104HalfELi256ELi8E12block_iq2_xsLi1EXadL_ZL19vec_dot_iq2_xs_q8_1PKvPK10block_q8_1RKiEEEvS4_S4_PT_PS8_iiii.numbered_sgpr, 51
	.set _ZL9moe_vec_qIN3c104HalfELi256ELi8E12block_iq2_xsLi1EXadL_ZL19vec_dot_iq2_xs_q8_1PKvPK10block_q8_1RKiEEEvS4_S4_PT_PS8_iiii.num_named_barrier, 0
	.set _ZL9moe_vec_qIN3c104HalfELi256ELi8E12block_iq2_xsLi1EXadL_ZL19vec_dot_iq2_xs_q8_1PKvPK10block_q8_1RKiEEEvS4_S4_PT_PS8_iiii.private_seg_size, 0
	.set _ZL9moe_vec_qIN3c104HalfELi256ELi8E12block_iq2_xsLi1EXadL_ZL19vec_dot_iq2_xs_q8_1PKvPK10block_q8_1RKiEEEvS4_S4_PT_PS8_iiii.uses_vcc, 1
	.set _ZL9moe_vec_qIN3c104HalfELi256ELi8E12block_iq2_xsLi1EXadL_ZL19vec_dot_iq2_xs_q8_1PKvPK10block_q8_1RKiEEEvS4_S4_PT_PS8_iiii.uses_flat_scratch, 0
	.set _ZL9moe_vec_qIN3c104HalfELi256ELi8E12block_iq2_xsLi1EXadL_ZL19vec_dot_iq2_xs_q8_1PKvPK10block_q8_1RKiEEEvS4_S4_PT_PS8_iiii.has_dyn_sized_stack, 0
	.set _ZL9moe_vec_qIN3c104HalfELi256ELi8E12block_iq2_xsLi1EXadL_ZL19vec_dot_iq2_xs_q8_1PKvPK10block_q8_1RKiEEEvS4_S4_PT_PS8_iiii.has_recursion, 0
	.set _ZL9moe_vec_qIN3c104HalfELi256ELi8E12block_iq2_xsLi1EXadL_ZL19vec_dot_iq2_xs_q8_1PKvPK10block_q8_1RKiEEEvS4_S4_PT_PS8_iiii.has_indirect_call, 0
	.section	.AMDGPU.csdata,"",@progbits
; Kernel info:
; codeLenInByte = 2076
; TotalNumSgprs: 55
; NumVgprs: 55
; ScratchSize: 0
; MemoryBound: 0
; FloatMode: 240
; IeeeMode: 1
; LDSByteSize: 0 bytes/workgroup (compile time only)
; SGPRBlocks: 6
; VGPRBlocks: 13
; NumSGPRsForWavesPerEU: 55
; NumVGPRsForWavesPerEU: 55
; Occupancy: 4
; WaveLimiterHint : 1
; COMPUTE_PGM_RSRC2:SCRATCH_EN: 0
; COMPUTE_PGM_RSRC2:USER_SGPR: 6
; COMPUTE_PGM_RSRC2:TRAP_HANDLER: 0
; COMPUTE_PGM_RSRC2:TGID_X_EN: 1
; COMPUTE_PGM_RSRC2:TGID_Y_EN: 0
; COMPUTE_PGM_RSRC2:TGID_Z_EN: 1
; COMPUTE_PGM_RSRC2:TIDIG_COMP_CNT: 1
	.section	.text._ZL9moe_vec_qIN3c104HalfELi256ELi8E13block_iq3_xxsLi1EXadL_ZL20vec_dot_iq3_xxs_q8_1PKvPK10block_q8_1RKiEEEvS4_S4_PT_PS8_iiii,"axG",@progbits,_ZL9moe_vec_qIN3c104HalfELi256ELi8E13block_iq3_xxsLi1EXadL_ZL20vec_dot_iq3_xxs_q8_1PKvPK10block_q8_1RKiEEEvS4_S4_PT_PS8_iiii,comdat
	.globl	_ZL9moe_vec_qIN3c104HalfELi256ELi8E13block_iq3_xxsLi1EXadL_ZL20vec_dot_iq3_xxs_q8_1PKvPK10block_q8_1RKiEEEvS4_S4_PT_PS8_iiii ; -- Begin function _ZL9moe_vec_qIN3c104HalfELi256ELi8E13block_iq3_xxsLi1EXadL_ZL20vec_dot_iq3_xxs_q8_1PKvPK10block_q8_1RKiEEEvS4_S4_PT_PS8_iiii
	.p2align	8
	.type	_ZL9moe_vec_qIN3c104HalfELi256ELi8E13block_iq3_xxsLi1EXadL_ZL20vec_dot_iq3_xxs_q8_1PKvPK10block_q8_1RKiEEEvS4_S4_PT_PS8_iiii,@function
_ZL9moe_vec_qIN3c104HalfELi256ELi8E13block_iq3_xxsLi1EXadL_ZL20vec_dot_iq3_xxs_q8_1PKvPK10block_q8_1RKiEEEvS4_S4_PT_PS8_iiii: ; @_ZL9moe_vec_qIN3c104HalfELi256ELi8E13block_iq3_xxsLi1EXadL_ZL20vec_dot_iq3_xxs_q8_1PKvPK10block_q8_1RKiEEEvS4_S4_PT_PS8_iiii
; %bb.0:
	s_mov_b32 s8, s7
	s_load_dword s7, s[4:5], 0x3c
	s_load_dwordx4 s[0:3], s[4:5], 0x20
	s_waitcnt lgkmcnt(0)
	s_lshr_b32 s7, s7, 16
	s_mul_i32 s6, s6, s7
	v_add_u32_e32 v9, s6, v1
	v_cmp_gt_u32_e32 vcc, s2, v9
	s_and_saveexec_b64 s[6:7], vcc
	s_cbranch_execz .LBB268_7
; %bb.1:
	s_load_dwordx2 s[6:7], s[4:5], 0x10
	s_ashr_i32 s9, s1, 31
	s_lshr_b32 s9, s9, 24
	s_add_i32 s1, s1, s9
	s_ashr_i32 s14, s1, 8
	v_lshrrev_b32_e32 v10, 3, v0
	v_cmp_gt_u32_e32 vcc, s14, v10
	v_mov_b32_e32 v11, 0
	s_and_saveexec_b64 s[10:11], vcc
	s_cbranch_execz .LBB268_5
; %bb.2:
	s_load_dwordx2 s[12:13], s[4:5], 0x18
	v_cvt_f32_u32_e32 v1, s0
	s_mov_b32 s9, 0
	s_lshl_b64 s[16:17], s[8:9], 2
	v_mul_lo_u32 v12, v9, s14
	s_waitcnt lgkmcnt(0)
	s_add_u32 s12, s12, s16
	v_rcp_iflag_f32_e32 v1, v1
	s_addc_u32 s13, s13, s17
	s_load_dword s1, s[12:13], 0x0
	s_load_dwordx4 s[16:19], s[4:5], 0x0
	s_mul_i32 s4, s14, s2
	v_mul_f32_e32 v1, 0x4f7ffffe, v1
	v_cvt_u32_f32_e32 v1, v1
	s_waitcnt lgkmcnt(0)
	s_mul_i32 s1, s4, s1
	s_mul_hi_i32 s5, s1, 0x62
	s_mulk_i32 s1, 0x62
	s_add_u32 s4, s16, s1
	s_addc_u32 s5, s17, s5
	s_sub_i32 s1, 0, s0
	v_readfirstlane_b32 s12, v1
	s_mul_i32 s1, s1, s12
	s_mul_hi_u32 s1, s12, s1
	s_add_i32 s12, s12, s1
	s_mul_hi_u32 s1, s8, s12
	s_mul_i32 s12, s1, s0
	s_sub_i32 s12, s8, s12
	s_add_i32 s13, s1, 1
	s_sub_i32 s16, s12, s0
	s_cmp_ge_u32 s12, s0
	s_cselect_b32 s1, s13, s1
	s_cselect_b32 s12, s16, s12
	s_add_i32 s13, s1, 1
	s_cmp_ge_u32 s12, s0
	s_cselect_b32 s0, s13, s1
	s_mul_i32 s0, s0, s3
	s_mov_b32 s1, s9
	s_lshl_b64 s[0:1], s[0:1], 2
	s_add_u32 s0, s18, s0
	s_addc_u32 s1, s19, s1
	v_and_b32_e32 v1, 7, v0
	v_lshlrev_b32_e32 v13, 3, v1
	v_lshlrev_b32_e32 v5, 1, v1
	v_mad_u64_u32 v[1:2], s[0:1], v1, 36, s[0:1]
	v_mov_b32_e32 v3, s4
	s_movk_i32 s15, 0x62
	v_mov_b32_e32 v11, 0
	v_lshlrev_b32_e32 v14, 3, v10
	s_mov_b64 s[0:1], 0
	v_mov_b32_e32 v4, s5
	v_lshlrev_b32_e32 v15, 1, v5
	s_mov_b32 s3, 0xc060c00
	v_mov_b32_e32 v16, 2
	s_getpc_b64 s[4:5]
	s_add_u32 s4, s4, _ZL11iq3xxs_grid@rel32@lo+4
	s_addc_u32 s5, s5, _ZL11iq3xxs_grid@rel32@hi+12
.LBB268_3:                              ; =>This Inner Loop Header: Depth=1
	v_add_u32_e32 v7, v12, v10
	v_mad_i64_i32 v[19:20], s[16:17], v7, s15, v[3:4]
	s_getpc_b64 s[12:13]
	s_add_u32 s12, s12, _ZL8ksigns64@rel32@lo+4
	s_addc_u32 s13, s13, _ZL8ksigns64@rel32@hi+12
	v_mad_i64_i32 v[5:6], s[16:17], v14, 36, v[1:2]
	v_add_co_u32_e32 v21, vcc, v19, v13
	v_addc_co_u32_e32 v22, vcc, 0, v20, vcc
	v_add_co_u32_e32 v23, vcc, v19, v15
	v_addc_co_u32_e32 v24, vcc, 0, v20, vcc
	global_load_dwordx2 v[7:8], v[21:22], off offset:2
	global_load_dword v17, v[23:24], off offset:66
	global_load_ushort v18, v[19:20], off
	v_add_u32_e32 v10, 8, v10
	v_cmp_le_u32_e32 vcc, s14, v10
	v_add_u32_e32 v14, 64, v14
	s_or_b64 s[0:1], vcc, s[0:1]
	s_waitcnt vmcnt(2)
	v_lshlrev_b32_sdwa v19, v16, v7 dst_sel:DWORD dst_unused:UNUSED_PAD src0_sel:DWORD src1_sel:BYTE_0
	s_waitcnt vmcnt(1)
	v_and_b32_e32 v20, 0x7f, v17
	v_lshlrev_b32_sdwa v21, v16, v7 dst_sel:DWORD dst_unused:UNUSED_PAD src0_sel:DWORD src1_sel:BYTE_1
	v_lshlrev_b32_sdwa v22, v16, v7 dst_sel:DWORD dst_unused:UNUSED_PAD src0_sel:DWORD src1_sel:BYTE_2
	v_lshrrev_b32_e32 v23, 4, v17
	v_lshlrev_b32_sdwa v7, v16, v7 dst_sel:DWORD dst_unused:UNUSED_PAD src0_sel:DWORD src1_sel:BYTE_3
	v_lshlrev_b32_e32 v24, 3, v20
	global_load_dword v25, v19, s[4:5]
	global_load_dword v28, v21, s[4:5]
	v_and_b32_e32 v21, 0x3f8, v23
	global_load_dword v23, v22, s[4:5]
	global_load_dword v29, v7, s[4:5]
	global_load_dwordx2 v[19:20], v24, s[12:13]
	global_load_dwordx2 v[26:27], v21, s[12:13]
	s_waitcnt vmcnt(6)
	v_cvt_f32_f16_e32 v18, v18
	s_waitcnt vmcnt(1)
	v_xor_b32_e32 v7, v19, v25
	v_and_b32_e32 v21, 0xff000000, v19
	v_and_b32_e32 v22, 0xff0000, v19
	;; [unrolled: 1-line block ×3, first 2 shown]
	v_sub_u32_e32 v21, v7, v21
	v_sub_u32_e32 v22, v7, v22
	;; [unrolled: 1-line block ×4, first 2 shown]
	v_perm_b32 v7, v22, v7, s3
	v_and_b32_e32 v21, 0xff000000, v21
	v_and_b32_e32 v22, 0xff00, v24
	v_xor_b32_e32 v25, v20, v28
	v_or3_b32 v7, v7, v21, v22
	v_and_b32_e32 v21, 0xff0000, v20
	v_and_b32_e32 v19, 0xff000000, v20
	;; [unrolled: 1-line block ×3, first 2 shown]
	v_sub_u32_e32 v20, v25, v20
	v_sub_u32_e32 v21, v25, v21
	s_waitcnt vmcnt(0)
	v_xor_b32_e32 v23, v26, v23
	v_and_b32_e32 v24, 0xff000000, v26
	v_sub_u32_e32 v19, v25, v19
	v_sub_u32_e32 v22, v25, v22
	v_and_b32_e32 v25, 0xff0000, v26
	v_perm_b32 v20, v21, v20, s3
	v_and_b32_e32 v21, 0xff00, v26
	v_sub_u32_e32 v24, v23, v24
	v_sub_u32_e32 v25, v23, v25
	;; [unrolled: 1-line block ×4, first 2 shown]
	v_and_b32_e32 v19, 0xff000000, v19
	v_and_b32_e32 v22, 0xff00, v22
	v_perm_b32 v23, v25, v23, s3
	v_and_b32_e32 v24, 0xff000000, v24
	v_and_b32_e32 v21, 0xff00, v21
	v_or3_b32 v28, v20, v19, v22
	v_or3_b32 v30, v23, v24, v21
	global_load_dwordx4 v[19:22], v[5:6], off
	global_load_dwordx4 v[23:26], v[5:6], off offset:16
	s_waitcnt vmcnt(1)
	v_dot4_i32_i8 v7, v7, v20, 0
	v_dot4_i32_i8 v7, v28, v21, v7
	;; [unrolled: 1-line block ×3, first 2 shown]
	v_cvt_f32_f16_e32 v22, v19
	v_xor_b32_e32 v7, v27, v29
	v_and_b32_e32 v19, 0xff000000, v27
	v_and_b32_e32 v20, 0xff0000, v27
	;; [unrolled: 1-line block ×3, first 2 shown]
	v_sub_u32_e32 v27, v7, v27
	v_sub_u32_e32 v19, v7, v19
	;; [unrolled: 1-line block ×4, first 2 shown]
	v_lshrrev_b32_e32 v28, 11, v17
	v_perm_b32 v20, v20, v27, s3
	v_lshlrev_b32_sdwa v27, v16, v8 dst_sel:DWORD dst_unused:UNUSED_PAD src0_sel:DWORD src1_sel:BYTE_0
	v_and_b32_e32 v19, 0xff000000, v19
	v_and_b32_e32 v7, 0xff00, v7
	v_or3_b32 v29, v20, v19, v7
	v_lshlrev_b32_sdwa v7, v16, v8 dst_sel:DWORD dst_unused:UNUSED_PAD src0_sel:DWORD src1_sel:BYTE_1
	v_and_b32_e32 v28, 0x3f8, v28
	global_load_dword v30, v27, s[4:5]
	global_load_dword v31, v7, s[4:5]
	global_load_dwordx2 v[19:20], v28, s[12:13]
	s_waitcnt vmcnt(0)
	v_xor_b32_e32 v7, v19, v30
	v_and_b32_e32 v27, 0xff000000, v19
	v_and_b32_e32 v28, 0xff0000, v19
	v_and_b32_e32 v30, 0xff00, v19
	v_sub_u32_e32 v27, v7, v27
	v_sub_u32_e32 v28, v7, v28
	;; [unrolled: 1-line block ×4, first 2 shown]
	v_perm_b32 v7, v28, v7, s3
	v_and_b32_e32 v19, 0xff000000, v27
	v_and_b32_e32 v27, 0xff00, v30
	v_or3_b32 v19, v7, v19, v27
	v_xor_b32_e32 v7, v20, v31
	v_and_b32_e32 v27, 0xff000000, v20
	v_and_b32_e32 v28, 0xff0000, v20
	;; [unrolled: 1-line block ×3, first 2 shown]
	v_sub_u32_e32 v20, v7, v20
	v_sub_u32_e32 v27, v7, v27
	;; [unrolled: 1-line block ×4, first 2 shown]
	v_perm_b32 v20, v28, v20, s3
	v_and_b32_e32 v27, 0xff000000, v27
	v_and_b32_e32 v7, 0xff00, v7
	v_or3_b32 v20, v20, v27, v7
	v_lshrrev_b32_e32 v7, 18, v17
	v_lshlrev_b32_sdwa v27, v16, v8 dst_sel:DWORD dst_unused:UNUSED_PAD src0_sel:DWORD src1_sel:BYTE_2
	v_lshlrev_b32_sdwa v28, v16, v8 dst_sel:DWORD dst_unused:UNUSED_PAD src0_sel:DWORD src1_sel:BYTE_3
	v_and_b32_e32 v30, 0x3f8, v7
	global_load_dword v27, v27, s[4:5]
	s_nop 0
	global_load_dword v31, v28, s[4:5]
	global_load_dwordx2 v[7:8], v30, s[12:13]
	v_lshrrev_b32_e32 v17, 28, v17
	global_load_dword v5, v[5:6], off offset:32
	v_cvt_f32_ubyte0_e32 v17, v17
	v_add_f32_e32 v17, 0.5, v17
	s_waitcnt vmcnt(1)
	v_xor_b32_e32 v27, v7, v27
	v_and_b32_e32 v28, 0xff000000, v7
	v_and_b32_e32 v30, 0xff0000, v7
	;; [unrolled: 1-line block ×3, first 2 shown]
	v_sub_u32_e32 v28, v27, v28
	v_sub_u32_e32 v30, v27, v30
	;; [unrolled: 1-line block ×4, first 2 shown]
	v_perm_b32 v7, v30, v7, s3
	v_and_b32_e32 v27, 0xff000000, v28
	v_and_b32_e32 v28, 0xff00, v32
	v_or3_b32 v7, v7, v27, v28
	v_xor_b32_e32 v6, v8, v31
	v_and_b32_e32 v27, 0xff000000, v8
	v_and_b32_e32 v28, 0xff0000, v8
	;; [unrolled: 1-line block ×3, first 2 shown]
	v_sub_u32_e32 v8, v6, v8
	v_sub_u32_e32 v27, v6, v27
	;; [unrolled: 1-line block ×4, first 2 shown]
	v_and_b32_e32 v27, 0xff000000, v27
	v_and_b32_e32 v6, 0xff00, v6
	v_perm_b32 v8, v28, v8, s3
	v_or3_b32 v6, v8, v27, v6
	v_dot4_i32_i8 v8, v29, v23, v21
	v_dot4_i32_i8 v8, v19, v24, v8
	;; [unrolled: 1-line block ×4, first 2 shown]
	s_waitcnt vmcnt(0)
	v_dot4_i32_i8 v5, v6, v5, v7
	v_cvt_f32_i32_e32 v5, v5
	v_mul_f32_e32 v6, v17, v18
	v_mul_f32_e32 v6, v6, v22
	v_mul_f32_e32 v6, 0.5, v6
	v_fmac_f32_e32 v11, v6, v5
	s_andn2_b64 exec, exec, s[0:1]
	s_cbranch_execnz .LBB268_3
; %bb.4:
	s_or_b64 exec, exec, s[0:1]
.LBB268_5:
	s_or_b64 exec, exec, s[10:11]
	v_mbcnt_lo_u32_b32 v1, -1, 0
	v_mbcnt_hi_u32_b32 v2, -1, v1
	v_and_b32_e32 v1, 64, v2
	v_add_u32_e32 v3, 64, v1
	v_xor_b32_e32 v1, 32, v2
	v_cmp_lt_i32_e32 vcc, v1, v3
	v_cndmask_b32_e32 v1, v2, v1, vcc
	v_lshlrev_b32_e32 v1, 2, v1
	ds_bpermute_b32 v1, v1, v11
	v_xor_b32_e32 v4, 16, v2
	v_cmp_lt_i32_e32 vcc, v4, v3
	v_cndmask_b32_e32 v4, v2, v4, vcc
	v_lshlrev_b32_e32 v4, 2, v4
	s_waitcnt lgkmcnt(0)
	v_add_f32_e32 v1, v11, v1
	ds_bpermute_b32 v4, v4, v1
	v_xor_b32_e32 v5, 8, v2
	v_cmp_lt_i32_e32 vcc, v5, v3
	s_waitcnt lgkmcnt(0)
	v_add_f32_e32 v1, v1, v4
	v_cndmask_b32_e32 v4, v2, v5, vcc
	v_lshlrev_b32_e32 v4, 2, v4
	ds_bpermute_b32 v4, v4, v1
	v_xor_b32_e32 v5, 4, v2
	v_cmp_lt_i32_e32 vcc, v5, v3
	s_waitcnt lgkmcnt(0)
	v_add_f32_e32 v1, v1, v4
	v_cndmask_b32_e32 v4, v2, v5, vcc
	v_lshlrev_b32_e32 v4, 2, v4
	;; [unrolled: 7-line block ×3, first 2 shown]
	ds_bpermute_b32 v4, v4, v1
	v_xor_b32_e32 v5, 1, v2
	v_cmp_lt_i32_e32 vcc, v5, v3
	v_cndmask_b32_e32 v2, v2, v5, vcc
	v_lshlrev_b32_e32 v2, 2, v2
	s_waitcnt lgkmcnt(0)
	v_add_f32_e32 v1, v1, v4
	ds_bpermute_b32 v2, v2, v1
	v_cmp_eq_u32_e32 vcc, 0, v0
	s_and_b64 exec, exec, vcc
	s_cbranch_execz .LBB268_7
; %bb.6:
	s_waitcnt lgkmcnt(0)
	v_add_f32_e32 v0, v1, v2
	s_mul_i32 s0, s2, s8
	v_cvt_f16_f32_e32 v2, v0
	v_add_u32_e32 v0, s0, v9
	v_mov_b32_e32 v1, 0
	v_lshlrev_b64 v[0:1], 1, v[0:1]
	v_mov_b32_e32 v3, s7
	v_add_co_u32_e32 v0, vcc, s6, v0
	v_addc_co_u32_e32 v1, vcc, v3, v1, vcc
	global_store_short v[0:1], v2, off
.LBB268_7:
	s_endpgm
	.section	.rodata,"a",@progbits
	.p2align	6, 0x0
	.amdhsa_kernel _ZL9moe_vec_qIN3c104HalfELi256ELi8E13block_iq3_xxsLi1EXadL_ZL20vec_dot_iq3_xxs_q8_1PKvPK10block_q8_1RKiEEEvS4_S4_PT_PS8_iiii
		.amdhsa_group_segment_fixed_size 0
		.amdhsa_private_segment_fixed_size 0
		.amdhsa_kernarg_size 304
		.amdhsa_user_sgpr_count 6
		.amdhsa_user_sgpr_private_segment_buffer 1
		.amdhsa_user_sgpr_dispatch_ptr 0
		.amdhsa_user_sgpr_queue_ptr 0
		.amdhsa_user_sgpr_kernarg_segment_ptr 1
		.amdhsa_user_sgpr_dispatch_id 0
		.amdhsa_user_sgpr_flat_scratch_init 0
		.amdhsa_user_sgpr_private_segment_size 0
		.amdhsa_uses_dynamic_stack 0
		.amdhsa_system_sgpr_private_segment_wavefront_offset 0
		.amdhsa_system_sgpr_workgroup_id_x 1
		.amdhsa_system_sgpr_workgroup_id_y 0
		.amdhsa_system_sgpr_workgroup_id_z 1
		.amdhsa_system_sgpr_workgroup_info 0
		.amdhsa_system_vgpr_workitem_id 1
		.amdhsa_next_free_vgpr 33
		.amdhsa_next_free_sgpr 20
		.amdhsa_reserve_vcc 1
		.amdhsa_reserve_flat_scratch 0
		.amdhsa_float_round_mode_32 0
		.amdhsa_float_round_mode_16_64 0
		.amdhsa_float_denorm_mode_32 3
		.amdhsa_float_denorm_mode_16_64 3
		.amdhsa_dx10_clamp 1
		.amdhsa_ieee_mode 1
		.amdhsa_fp16_overflow 0
		.amdhsa_exception_fp_ieee_invalid_op 0
		.amdhsa_exception_fp_denorm_src 0
		.amdhsa_exception_fp_ieee_div_zero 0
		.amdhsa_exception_fp_ieee_overflow 0
		.amdhsa_exception_fp_ieee_underflow 0
		.amdhsa_exception_fp_ieee_inexact 0
		.amdhsa_exception_int_div_zero 0
	.end_amdhsa_kernel
	.section	.text._ZL9moe_vec_qIN3c104HalfELi256ELi8E13block_iq3_xxsLi1EXadL_ZL20vec_dot_iq3_xxs_q8_1PKvPK10block_q8_1RKiEEEvS4_S4_PT_PS8_iiii,"axG",@progbits,_ZL9moe_vec_qIN3c104HalfELi256ELi8E13block_iq3_xxsLi1EXadL_ZL20vec_dot_iq3_xxs_q8_1PKvPK10block_q8_1RKiEEEvS4_S4_PT_PS8_iiii,comdat
.Lfunc_end268:
	.size	_ZL9moe_vec_qIN3c104HalfELi256ELi8E13block_iq3_xxsLi1EXadL_ZL20vec_dot_iq3_xxs_q8_1PKvPK10block_q8_1RKiEEEvS4_S4_PT_PS8_iiii, .Lfunc_end268-_ZL9moe_vec_qIN3c104HalfELi256ELi8E13block_iq3_xxsLi1EXadL_ZL20vec_dot_iq3_xxs_q8_1PKvPK10block_q8_1RKiEEEvS4_S4_PT_PS8_iiii
                                        ; -- End function
	.set _ZL9moe_vec_qIN3c104HalfELi256ELi8E13block_iq3_xxsLi1EXadL_ZL20vec_dot_iq3_xxs_q8_1PKvPK10block_q8_1RKiEEEvS4_S4_PT_PS8_iiii.num_vgpr, 33
	.set _ZL9moe_vec_qIN3c104HalfELi256ELi8E13block_iq3_xxsLi1EXadL_ZL20vec_dot_iq3_xxs_q8_1PKvPK10block_q8_1RKiEEEvS4_S4_PT_PS8_iiii.num_agpr, 0
	.set _ZL9moe_vec_qIN3c104HalfELi256ELi8E13block_iq3_xxsLi1EXadL_ZL20vec_dot_iq3_xxs_q8_1PKvPK10block_q8_1RKiEEEvS4_S4_PT_PS8_iiii.numbered_sgpr, 20
	.set _ZL9moe_vec_qIN3c104HalfELi256ELi8E13block_iq3_xxsLi1EXadL_ZL20vec_dot_iq3_xxs_q8_1PKvPK10block_q8_1RKiEEEvS4_S4_PT_PS8_iiii.num_named_barrier, 0
	.set _ZL9moe_vec_qIN3c104HalfELi256ELi8E13block_iq3_xxsLi1EXadL_ZL20vec_dot_iq3_xxs_q8_1PKvPK10block_q8_1RKiEEEvS4_S4_PT_PS8_iiii.private_seg_size, 0
	.set _ZL9moe_vec_qIN3c104HalfELi256ELi8E13block_iq3_xxsLi1EXadL_ZL20vec_dot_iq3_xxs_q8_1PKvPK10block_q8_1RKiEEEvS4_S4_PT_PS8_iiii.uses_vcc, 1
	.set _ZL9moe_vec_qIN3c104HalfELi256ELi8E13block_iq3_xxsLi1EXadL_ZL20vec_dot_iq3_xxs_q8_1PKvPK10block_q8_1RKiEEEvS4_S4_PT_PS8_iiii.uses_flat_scratch, 0
	.set _ZL9moe_vec_qIN3c104HalfELi256ELi8E13block_iq3_xxsLi1EXadL_ZL20vec_dot_iq3_xxs_q8_1PKvPK10block_q8_1RKiEEEvS4_S4_PT_PS8_iiii.has_dyn_sized_stack, 0
	.set _ZL9moe_vec_qIN3c104HalfELi256ELi8E13block_iq3_xxsLi1EXadL_ZL20vec_dot_iq3_xxs_q8_1PKvPK10block_q8_1RKiEEEvS4_S4_PT_PS8_iiii.has_recursion, 0
	.set _ZL9moe_vec_qIN3c104HalfELi256ELi8E13block_iq3_xxsLi1EXadL_ZL20vec_dot_iq3_xxs_q8_1PKvPK10block_q8_1RKiEEEvS4_S4_PT_PS8_iiii.has_indirect_call, 0
	.section	.AMDGPU.csdata,"",@progbits
; Kernel info:
; codeLenInByte = 1732
; TotalNumSgprs: 24
; NumVgprs: 33
; ScratchSize: 0
; MemoryBound: 0
; FloatMode: 240
; IeeeMode: 1
; LDSByteSize: 0 bytes/workgroup (compile time only)
; SGPRBlocks: 2
; VGPRBlocks: 8
; NumSGPRsForWavesPerEU: 24
; NumVGPRsForWavesPerEU: 33
; Occupancy: 7
; WaveLimiterHint : 1
; COMPUTE_PGM_RSRC2:SCRATCH_EN: 0
; COMPUTE_PGM_RSRC2:USER_SGPR: 6
; COMPUTE_PGM_RSRC2:TRAP_HANDLER: 0
; COMPUTE_PGM_RSRC2:TGID_X_EN: 1
; COMPUTE_PGM_RSRC2:TGID_Y_EN: 0
; COMPUTE_PGM_RSRC2:TGID_Z_EN: 1
; COMPUTE_PGM_RSRC2:TIDIG_COMP_CNT: 1
	.section	.text._ZL9moe_vec_qIN3c104HalfELi256ELi8E11block_iq1_sLi1EXadL_ZL18vec_dot_iq1_s_q8_1PKvPK10block_q8_1RKiEEEvS4_S4_PT_PS8_iiii,"axG",@progbits,_ZL9moe_vec_qIN3c104HalfELi256ELi8E11block_iq1_sLi1EXadL_ZL18vec_dot_iq1_s_q8_1PKvPK10block_q8_1RKiEEEvS4_S4_PT_PS8_iiii,comdat
	.globl	_ZL9moe_vec_qIN3c104HalfELi256ELi8E11block_iq1_sLi1EXadL_ZL18vec_dot_iq1_s_q8_1PKvPK10block_q8_1RKiEEEvS4_S4_PT_PS8_iiii ; -- Begin function _ZL9moe_vec_qIN3c104HalfELi256ELi8E11block_iq1_sLi1EXadL_ZL18vec_dot_iq1_s_q8_1PKvPK10block_q8_1RKiEEEvS4_S4_PT_PS8_iiii
	.p2align	8
	.type	_ZL9moe_vec_qIN3c104HalfELi256ELi8E11block_iq1_sLi1EXadL_ZL18vec_dot_iq1_s_q8_1PKvPK10block_q8_1RKiEEEvS4_S4_PT_PS8_iiii,@function
_ZL9moe_vec_qIN3c104HalfELi256ELi8E11block_iq1_sLi1EXadL_ZL18vec_dot_iq1_s_q8_1PKvPK10block_q8_1RKiEEEvS4_S4_PT_PS8_iiii: ; @_ZL9moe_vec_qIN3c104HalfELi256ELi8E11block_iq1_sLi1EXadL_ZL18vec_dot_iq1_s_q8_1PKvPK10block_q8_1RKiEEEvS4_S4_PT_PS8_iiii
; %bb.0:
	s_mov_b32 s8, s7
	s_load_dword s7, s[4:5], 0x3c
	s_load_dwordx4 s[0:3], s[4:5], 0x20
	s_waitcnt lgkmcnt(0)
	s_lshr_b32 s7, s7, 16
	s_mul_i32 s6, s6, s7
	v_add_u32_e32 v9, s6, v1
	v_cmp_gt_u32_e32 vcc, s2, v9
	s_and_saveexec_b64 s[6:7], vcc
	s_cbranch_execz .LBB269_7
; %bb.1:
	s_load_dwordx2 s[6:7], s[4:5], 0x10
	s_ashr_i32 s9, s1, 31
	s_lshr_b32 s9, s9, 24
	s_add_i32 s1, s1, s9
	s_ashr_i32 s12, s1, 8
	v_lshrrev_b32_e32 v10, 3, v0
	v_cmp_gt_u32_e32 vcc, s12, v10
	v_mov_b32_e32 v11, 0
	s_and_saveexec_b64 s[10:11], vcc
	s_cbranch_execz .LBB269_5
; %bb.2:
	s_load_dwordx2 s[14:15], s[4:5], 0x18
	v_cvt_f32_u32_e32 v1, s0
	s_mov_b32 s9, 0
	s_lshl_b64 s[16:17], s[8:9], 2
	v_mul_lo_u32 v12, v9, s12
	v_rcp_iflag_f32_e32 v1, v1
	s_waitcnt lgkmcnt(0)
	s_add_u32 s14, s14, s16
	s_addc_u32 s15, s15, s17
	s_load_dword s1, s[14:15], 0x0
	s_load_dwordx4 s[16:19], s[4:5], 0x0
	v_mul_f32_e32 v1, 0x4f7ffffe, v1
	s_mul_i32 s4, s12, s2
	v_cvt_u32_f32_e32 v1, v1
	s_waitcnt lgkmcnt(0)
	s_mul_i32 s1, s4, s1
	s_mul_hi_i32 s5, s1, 50
	s_mul_i32 s1, s1, 50
	s_add_u32 s4, s16, s1
	s_addc_u32 s5, s17, s5
	s_sub_i32 s1, 0, s0
	v_readfirstlane_b32 s13, v1
	s_mul_i32 s1, s1, s13
	s_mul_hi_u32 s1, s13, s1
	s_add_i32 s13, s13, s1
	s_mul_hi_u32 s1, s8, s13
	s_mul_i32 s13, s1, s0
	s_sub_i32 s13, s8, s13
	s_add_i32 s14, s1, 1
	s_sub_i32 s15, s13, s0
	s_cmp_ge_u32 s13, s0
	s_cselect_b32 s1, s14, s1
	s_cselect_b32 s13, s15, s13
	s_add_i32 s14, s1, 1
	s_cmp_ge_u32 s13, s0
	s_cselect_b32 s0, s14, s1
	s_mul_i32 s0, s0, s3
	s_mov_b32 s1, s9
	s_lshl_b64 s[0:1], s[0:1], 2
	s_add_u32 s0, s18, s0
	s_addc_u32 s1, s19, s1
	v_and_b32_e32 v1, 7, v0
	v_mad_u64_u32 v[5:6], s[0:1], v1, 36, s[0:1]
	v_lshlrev_b32_e32 v2, 1, v1
	v_mov_b32_e32 v11, 0
	v_lshlrev_b32_e32 v13, 3, v10
	s_mov_b64 s[0:1], 0
	v_lshlrev_b32_e32 v14, 1, v2
	v_lshlrev_b32_e32 v15, 1, v1
	s_movk_i32 s3, 0x700
.LBB269_3:                              ; =>This Inner Loop Header: Depth=1
	v_add_u32_e32 v1, v12, v10
	v_mad_i64_i32 v[7:8], s[14:15], v1, 50, s[4:5]
	v_mad_i64_i32 v[21:22], s[14:15], v13, 36, v[5:6]
	v_add_co_u32_e32 v1, vcc, v7, v14
	v_addc_co_u32_e32 v2, vcc, 0, v8, vcc
	v_add_co_u32_e32 v3, vcc, v7, v15
	v_addc_co_u32_e32 v4, vcc, 0, v8, vcc
	global_load_dword v17, v[1:2], off offset:2
	global_load_ushort v16, v[3:4], off offset:34
	s_nop 0
	global_load_dwordx4 v[1:4], v[21:22], off
	global_load_ushort v23, v[7:8], off
	s_getpc_b64 s[14:15]
	s_add_u32 s14, s14, _ZL13iq1s_grid_gpu@rel32@lo+4
	s_addc_u32 s15, s15, _ZL13iq1s_grid_gpu@rel32@hi+12
	v_add_u32_e32 v10, 8, v10
	v_cmp_le_u32_e32 vcc, s12, v10
	v_add_u32_e32 v13, 64, v13
	s_or_b64 s[0:1], vcc, s[0:1]
	s_waitcnt vmcnt(3)
	v_and_b32_e32 v7, 0xff, v17
	s_waitcnt vmcnt(2)
	v_lshlrev_b32_e32 v8, 8, v16
	v_bfe_u32 v18, v17, 8, 8
	v_lshlrev_b32_e32 v19, 5, v16
	v_bfe_u32 v20, v17, 16, 8
	v_lshlrev_b32_e32 v24, 2, v16
	v_lshrrev_b32_e32 v17, 24, v17
	v_lshrrev_b32_e32 v25, 1, v16
	v_and_or_b32 v7, v8, s3, v7
	v_and_or_b32 v8, v19, s3, v18
	;; [unrolled: 1-line block ×4, first 2 shown]
	v_lshlrev_b32_e32 v7, 3, v7
	global_load_dwordx4 v[17:20], v[21:22], off offset:16
	v_lshlrev_b32_e32 v8, 3, v8
	v_lshlrev_b32_e32 v24, 3, v24
	;; [unrolled: 1-line block ×3, first 2 shown]
	global_load_dword v26, v7, s[14:15]
	global_load_dword v27, v8, s[14:15]
	;; [unrolled: 1-line block ×4, first 2 shown]
	global_load_dword v30, v[21:22], off offset:32
	s_waitcnt vmcnt(4)
	v_and_b32_e32 v7, 0xf0f0f0f, v26
	v_lshrrev_b32_e32 v8, 4, v26
	v_and_b32_e32 v8, 0xf0f0f0f, v8
	v_dot4_i32_i8 v2, v7, v2, 0
	v_dot4_i32_i8 v2, v8, v3, v2
	s_waitcnt vmcnt(3)
	v_and_b32_e32 v3, 0xf0f0f0f, v27
	v_dot4_i32_i8 v2, v3, v4, v2
	v_lshrrev_b32_e32 v4, 4, v27
	v_and_b32_e32 v4, 0xf0f0f0f, v4
	v_dot4_i32_i8 v2, v4, v17, v2
	s_waitcnt vmcnt(2)
	v_and_b32_e32 v4, 0xf0f0f0f, v28
	v_lshrrev_b32_e32 v7, 4, v28
	v_dot4_i32_i8 v2, v4, v18, v2
	v_and_b32_e32 v7, 0xf0f0f0f, v7
	v_dot4_i32_i8 v2, v7, v19, v2
	s_waitcnt vmcnt(1)
	v_and_b32_e32 v7, 0xf0f0f0f, v29
	v_dot4_i32_i8 v2, v7, v20, v2
	v_and_b32_e32 v7, 0x8000, v16
	v_lshrrev_b32_e32 v17, 4, v29
	v_cvt_f32_u32_e32 v7, v7
	v_and_b32_e32 v17, 0xf0f0f0f, v17
	v_cvt_f32_f16_sdwa v4, v1 dst_sel:DWORD dst_unused:UNUSED_PAD src0_sel:WORD_1
	s_waitcnt vmcnt(0)
	v_dot4_i32_i8 v2, v17, v30, v2
	v_cvt_f32_f16_e32 v8, v23
	v_cvt_f32_i32_e32 v2, v2
	v_mov_b32_e32 v3, 0xbf600000
	v_lshrrev_b32_e32 v16, 11, v16
	v_and_or_b32 v16, v16, 14, 1
	v_fmac_f32_e32 v3, 0xb7000000, v7
	v_cvt_f32_ubyte0_e32 v16, v16
	v_mul_f32_e32 v3, v3, v4
	v_mul_f32_e32 v8, v16, v8
	v_fma_mix_f32 v1, v2, v1, v3 op_sel_hi:[0,1,0]
	v_fmac_f32_e32 v11, v8, v1
	s_andn2_b64 exec, exec, s[0:1]
	s_cbranch_execnz .LBB269_3
; %bb.4:
	s_or_b64 exec, exec, s[0:1]
.LBB269_5:
	s_or_b64 exec, exec, s[10:11]
	v_mbcnt_lo_u32_b32 v1, -1, 0
	v_mbcnt_hi_u32_b32 v2, -1, v1
	v_and_b32_e32 v1, 64, v2
	v_add_u32_e32 v3, 64, v1
	v_xor_b32_e32 v1, 32, v2
	v_cmp_lt_i32_e32 vcc, v1, v3
	v_cndmask_b32_e32 v1, v2, v1, vcc
	v_lshlrev_b32_e32 v1, 2, v1
	ds_bpermute_b32 v1, v1, v11
	v_xor_b32_e32 v4, 16, v2
	v_cmp_lt_i32_e32 vcc, v4, v3
	v_cndmask_b32_e32 v4, v2, v4, vcc
	v_lshlrev_b32_e32 v4, 2, v4
	s_waitcnt lgkmcnt(0)
	v_add_f32_e32 v1, v11, v1
	ds_bpermute_b32 v4, v4, v1
	v_xor_b32_e32 v5, 8, v2
	v_cmp_lt_i32_e32 vcc, v5, v3
	s_waitcnt lgkmcnt(0)
	v_add_f32_e32 v1, v1, v4
	v_cndmask_b32_e32 v4, v2, v5, vcc
	v_lshlrev_b32_e32 v4, 2, v4
	ds_bpermute_b32 v4, v4, v1
	v_xor_b32_e32 v5, 4, v2
	v_cmp_lt_i32_e32 vcc, v5, v3
	s_waitcnt lgkmcnt(0)
	v_add_f32_e32 v1, v1, v4
	v_cndmask_b32_e32 v4, v2, v5, vcc
	v_lshlrev_b32_e32 v4, 2, v4
	;; [unrolled: 7-line block ×3, first 2 shown]
	ds_bpermute_b32 v4, v4, v1
	v_xor_b32_e32 v5, 1, v2
	v_cmp_lt_i32_e32 vcc, v5, v3
	v_cndmask_b32_e32 v2, v2, v5, vcc
	v_lshlrev_b32_e32 v2, 2, v2
	s_waitcnt lgkmcnt(0)
	v_add_f32_e32 v1, v1, v4
	ds_bpermute_b32 v2, v2, v1
	v_cmp_eq_u32_e32 vcc, 0, v0
	s_and_b64 exec, exec, vcc
	s_cbranch_execz .LBB269_7
; %bb.6:
	s_waitcnt lgkmcnt(0)
	v_add_f32_e32 v0, v1, v2
	s_mul_i32 s0, s2, s8
	v_cvt_f16_f32_e32 v2, v0
	v_add_u32_e32 v0, s0, v9
	v_mov_b32_e32 v1, 0
	v_lshlrev_b64 v[0:1], 1, v[0:1]
	v_mov_b32_e32 v3, s7
	v_add_co_u32_e32 v0, vcc, s6, v0
	v_addc_co_u32_e32 v1, vcc, v3, v1, vcc
	global_store_short v[0:1], v2, off
.LBB269_7:
	s_endpgm
	.section	.rodata,"a",@progbits
	.p2align	6, 0x0
	.amdhsa_kernel _ZL9moe_vec_qIN3c104HalfELi256ELi8E11block_iq1_sLi1EXadL_ZL18vec_dot_iq1_s_q8_1PKvPK10block_q8_1RKiEEEvS4_S4_PT_PS8_iiii
		.amdhsa_group_segment_fixed_size 0
		.amdhsa_private_segment_fixed_size 0
		.amdhsa_kernarg_size 304
		.amdhsa_user_sgpr_count 6
		.amdhsa_user_sgpr_private_segment_buffer 1
		.amdhsa_user_sgpr_dispatch_ptr 0
		.amdhsa_user_sgpr_queue_ptr 0
		.amdhsa_user_sgpr_kernarg_segment_ptr 1
		.amdhsa_user_sgpr_dispatch_id 0
		.amdhsa_user_sgpr_flat_scratch_init 0
		.amdhsa_user_sgpr_private_segment_size 0
		.amdhsa_uses_dynamic_stack 0
		.amdhsa_system_sgpr_private_segment_wavefront_offset 0
		.amdhsa_system_sgpr_workgroup_id_x 1
		.amdhsa_system_sgpr_workgroup_id_y 0
		.amdhsa_system_sgpr_workgroup_id_z 1
		.amdhsa_system_sgpr_workgroup_info 0
		.amdhsa_system_vgpr_workitem_id 1
		.amdhsa_next_free_vgpr 31
		.amdhsa_next_free_sgpr 20
		.amdhsa_reserve_vcc 1
		.amdhsa_reserve_flat_scratch 0
		.amdhsa_float_round_mode_32 0
		.amdhsa_float_round_mode_16_64 0
		.amdhsa_float_denorm_mode_32 3
		.amdhsa_float_denorm_mode_16_64 3
		.amdhsa_dx10_clamp 1
		.amdhsa_ieee_mode 1
		.amdhsa_fp16_overflow 0
		.amdhsa_exception_fp_ieee_invalid_op 0
		.amdhsa_exception_fp_denorm_src 0
		.amdhsa_exception_fp_ieee_div_zero 0
		.amdhsa_exception_fp_ieee_overflow 0
		.amdhsa_exception_fp_ieee_underflow 0
		.amdhsa_exception_fp_ieee_inexact 0
		.amdhsa_exception_int_div_zero 0
	.end_amdhsa_kernel
	.section	.text._ZL9moe_vec_qIN3c104HalfELi256ELi8E11block_iq1_sLi1EXadL_ZL18vec_dot_iq1_s_q8_1PKvPK10block_q8_1RKiEEEvS4_S4_PT_PS8_iiii,"axG",@progbits,_ZL9moe_vec_qIN3c104HalfELi256ELi8E11block_iq1_sLi1EXadL_ZL18vec_dot_iq1_s_q8_1PKvPK10block_q8_1RKiEEEvS4_S4_PT_PS8_iiii,comdat
.Lfunc_end269:
	.size	_ZL9moe_vec_qIN3c104HalfELi256ELi8E11block_iq1_sLi1EXadL_ZL18vec_dot_iq1_s_q8_1PKvPK10block_q8_1RKiEEEvS4_S4_PT_PS8_iiii, .Lfunc_end269-_ZL9moe_vec_qIN3c104HalfELi256ELi8E11block_iq1_sLi1EXadL_ZL18vec_dot_iq1_s_q8_1PKvPK10block_q8_1RKiEEEvS4_S4_PT_PS8_iiii
                                        ; -- End function
	.set _ZL9moe_vec_qIN3c104HalfELi256ELi8E11block_iq1_sLi1EXadL_ZL18vec_dot_iq1_s_q8_1PKvPK10block_q8_1RKiEEEvS4_S4_PT_PS8_iiii.num_vgpr, 31
	.set _ZL9moe_vec_qIN3c104HalfELi256ELi8E11block_iq1_sLi1EXadL_ZL18vec_dot_iq1_s_q8_1PKvPK10block_q8_1RKiEEEvS4_S4_PT_PS8_iiii.num_agpr, 0
	.set _ZL9moe_vec_qIN3c104HalfELi256ELi8E11block_iq1_sLi1EXadL_ZL18vec_dot_iq1_s_q8_1PKvPK10block_q8_1RKiEEEvS4_S4_PT_PS8_iiii.numbered_sgpr, 20
	.set _ZL9moe_vec_qIN3c104HalfELi256ELi8E11block_iq1_sLi1EXadL_ZL18vec_dot_iq1_s_q8_1PKvPK10block_q8_1RKiEEEvS4_S4_PT_PS8_iiii.num_named_barrier, 0
	.set _ZL9moe_vec_qIN3c104HalfELi256ELi8E11block_iq1_sLi1EXadL_ZL18vec_dot_iq1_s_q8_1PKvPK10block_q8_1RKiEEEvS4_S4_PT_PS8_iiii.private_seg_size, 0
	.set _ZL9moe_vec_qIN3c104HalfELi256ELi8E11block_iq1_sLi1EXadL_ZL18vec_dot_iq1_s_q8_1PKvPK10block_q8_1RKiEEEvS4_S4_PT_PS8_iiii.uses_vcc, 1
	.set _ZL9moe_vec_qIN3c104HalfELi256ELi8E11block_iq1_sLi1EXadL_ZL18vec_dot_iq1_s_q8_1PKvPK10block_q8_1RKiEEEvS4_S4_PT_PS8_iiii.uses_flat_scratch, 0
	.set _ZL9moe_vec_qIN3c104HalfELi256ELi8E11block_iq1_sLi1EXadL_ZL18vec_dot_iq1_s_q8_1PKvPK10block_q8_1RKiEEEvS4_S4_PT_PS8_iiii.has_dyn_sized_stack, 0
	.set _ZL9moe_vec_qIN3c104HalfELi256ELi8E11block_iq1_sLi1EXadL_ZL18vec_dot_iq1_s_q8_1PKvPK10block_q8_1RKiEEEvS4_S4_PT_PS8_iiii.has_recursion, 0
	.set _ZL9moe_vec_qIN3c104HalfELi256ELi8E11block_iq1_sLi1EXadL_ZL18vec_dot_iq1_s_q8_1PKvPK10block_q8_1RKiEEEvS4_S4_PT_PS8_iiii.has_indirect_call, 0
	.section	.AMDGPU.csdata,"",@progbits
; Kernel info:
; codeLenInByte = 1108
; TotalNumSgprs: 24
; NumVgprs: 31
; ScratchSize: 0
; MemoryBound: 0
; FloatMode: 240
; IeeeMode: 1
; LDSByteSize: 0 bytes/workgroup (compile time only)
; SGPRBlocks: 2
; VGPRBlocks: 7
; NumSGPRsForWavesPerEU: 24
; NumVGPRsForWavesPerEU: 31
; Occupancy: 8
; WaveLimiterHint : 1
; COMPUTE_PGM_RSRC2:SCRATCH_EN: 0
; COMPUTE_PGM_RSRC2:USER_SGPR: 6
; COMPUTE_PGM_RSRC2:TRAP_HANDLER: 0
; COMPUTE_PGM_RSRC2:TGID_X_EN: 1
; COMPUTE_PGM_RSRC2:TGID_Y_EN: 0
; COMPUTE_PGM_RSRC2:TGID_Z_EN: 1
; COMPUTE_PGM_RSRC2:TIDIG_COMP_CNT: 1
	.section	.text._ZL9moe_vec_qIN3c104HalfELi32ELi4E12block_iq4_nlLi2EXadL_ZL19vec_dot_iq4_nl_q8_1PKvPK10block_q8_1RKiEEEvS4_S4_PT_PS8_iiii,"axG",@progbits,_ZL9moe_vec_qIN3c104HalfELi32ELi4E12block_iq4_nlLi2EXadL_ZL19vec_dot_iq4_nl_q8_1PKvPK10block_q8_1RKiEEEvS4_S4_PT_PS8_iiii,comdat
	.globl	_ZL9moe_vec_qIN3c104HalfELi32ELi4E12block_iq4_nlLi2EXadL_ZL19vec_dot_iq4_nl_q8_1PKvPK10block_q8_1RKiEEEvS4_S4_PT_PS8_iiii ; -- Begin function _ZL9moe_vec_qIN3c104HalfELi32ELi4E12block_iq4_nlLi2EXadL_ZL19vec_dot_iq4_nl_q8_1PKvPK10block_q8_1RKiEEEvS4_S4_PT_PS8_iiii
	.p2align	8
	.type	_ZL9moe_vec_qIN3c104HalfELi32ELi4E12block_iq4_nlLi2EXadL_ZL19vec_dot_iq4_nl_q8_1PKvPK10block_q8_1RKiEEEvS4_S4_PT_PS8_iiii,@function
_ZL9moe_vec_qIN3c104HalfELi32ELi4E12block_iq4_nlLi2EXadL_ZL19vec_dot_iq4_nl_q8_1PKvPK10block_q8_1RKiEEEvS4_S4_PT_PS8_iiii: ; @_ZL9moe_vec_qIN3c104HalfELi32ELi4E12block_iq4_nlLi2EXadL_ZL19vec_dot_iq4_nl_q8_1PKvPK10block_q8_1RKiEEEvS4_S4_PT_PS8_iiii
; %bb.0:
	s_mov_b32 s8, s7
	s_load_dword s7, s[4:5], 0x3c
	s_load_dwordx4 s[0:3], s[4:5], 0x20
	s_waitcnt lgkmcnt(0)
	s_lshr_b32 s7, s7, 16
	s_mul_i32 s6, s6, s7
	v_add_u32_e32 v3, s6, v1
	v_cmp_gt_u32_e32 vcc, s2, v3
	s_and_saveexec_b64 s[6:7], vcc
	s_cbranch_execz .LBB270_7
; %bb.1:
	v_cvt_f32_u32_e32 v1, s0
	s_load_dwordx2 s[6:7], s[4:5], 0x10
	s_ashr_i32 s9, s1, 31
	s_lshr_b32 s9, s9, 27
	v_rcp_iflag_f32_e32 v1, v1
	s_add_i32 s1, s1, s9
	v_lshrrev_b32_e32 v4, 1, v0
	s_ashr_i32 s16, s1, 5
	v_mul_f32_e32 v1, 0x4f7ffffe, v1
	v_cvt_u32_f32_e32 v1, v1
	v_cmp_gt_u32_e32 vcc, s16, v4
	v_mov_b32_e32 v5, 0
	v_readfirstlane_b32 s1, v1
	s_and_saveexec_b64 s[10:11], vcc
	s_cbranch_execz .LBB270_5
; %bb.2:
	s_sub_i32 s12, 0, s0
	s_mul_i32 s17, s12, s1
	s_load_dwordx4 s[12:15], s[4:5], 0x0
	s_load_dwordx2 s[18:19], s[4:5], 0x18
	s_mov_b32 s9, 0
	s_mul_hi_u32 s4, s1, s17
	s_add_i32 s1, s1, s4
	s_lshl_b64 s[4:5], s[8:9], 2
	s_waitcnt lgkmcnt(0)
	s_add_u32 s4, s18, s4
	s_mul_hi_u32 s1, s8, s1
	s_addc_u32 s5, s19, s5
	s_load_dword s4, s[4:5], 0x0
	s_mul_i32 s5, s1, s0
	s_sub_i32 s5, s8, s5
	s_add_i32 s17, s1, 1
	s_sub_i32 s18, s5, s0
	s_cmp_ge_u32 s5, s0
	s_cselect_b32 s1, s17, s1
	s_cselect_b32 s5, s18, s5
	s_add_i32 s17, s1, 1
	s_cmp_ge_u32 s5, s0
	s_mul_i32 s0, s16, s2
	s_waitcnt lgkmcnt(0)
	s_mul_i32 s0, s0, s4
	s_cselect_b32 s5, s17, s1
	s_mul_hi_i32 s1, s0, 18
	s_mul_i32 s0, s0, 18
	s_add_u32 s0, s12, s0
	s_mul_i32 s4, s5, s3
	s_mov_b32 s5, s9
	v_mul_lo_u32 v6, v3, s16
	v_lshlrev_b32_e32 v1, 1, v0
	s_addc_u32 s1, s13, s1
	s_lshl_b64 s[4:5], s[4:5], 2
	v_and_b32_e32 v1, 2, v1
	s_add_u32 s4, s14, s4
	v_lshlrev_b32_e32 v2, 1, v1
	s_addc_u32 s5, s15, s5
	v_mov_b32_e32 v5, 0
	s_mov_b64 s[12:13], 0
	v_lshlrev_b32_e32 v7, 1, v2
	v_lshlrev_b32_e32 v8, 2, v1
	s_getpc_b64 s[14:15]
	s_add_u32 s14, s14, _ZL13kvalues_iq4nl@rel32@lo+4
	s_addc_u32 s15, s15, _ZL13kvalues_iq4nl@rel32@hi+12
.LBB270_3:                              ; =>This Inner Loop Header: Depth=1
	v_add_u32_e32 v1, v6, v4
	v_mad_i64_i32 v[1:2], s[18:19], v1, 18, s[0:1]
	v_add_co_u32_e32 v9, vcc, v1, v7
	v_addc_co_u32_e32 v10, vcc, 0, v2, vcc
	global_load_dwordx2 v[9:10], v[9:10], off offset:2
	s_waitcnt vmcnt(0)
	v_and_b32_e32 v12, 15, v9
	v_bfe_u32 v13, v9, 8, 4
	global_load_ubyte v15, v12, s[14:15]
	global_load_ubyte v16, v13, s[14:15]
	v_bfe_u32 v11, v9, 24, 4
	v_bfe_u32 v14, v9, 16, 4
	;; [unrolled: 1-line block ×3, first 2 shown]
	s_waitcnt vmcnt(0)
	v_lshl_or_b32 v12, v16, 8, v15
	global_load_ubyte v15, v11, s[14:15]
	global_load_ubyte v16, v14, s[14:15]
	s_waitcnt vmcnt(1)
	v_lshlrev_b32_e32 v11, 24, v15
	s_waitcnt vmcnt(0)
	v_lshlrev_b32_e32 v14, 16, v16
	v_or3_b32 v17, v12, v14, v11
	v_and_b32_e32 v11, 15, v10
	v_bfe_u32 v12, v10, 8, 4
	global_load_ubyte v14, v11, s[14:15]
	global_load_ubyte v15, v12, s[14:15]
	v_bfe_u32 v12, v10, 16, 4
	s_waitcnt vmcnt(0)
	v_lshl_or_b32 v11, v15, 8, v14
	global_load_ubyte v14, v13, s[14:15]
	global_load_ubyte v15, v12, s[14:15]
	s_waitcnt vmcnt(1)
	v_lshlrev_b32_e32 v12, 24, v14
	s_waitcnt vmcnt(0)
	v_lshlrev_b32_e32 v13, 16, v15
	v_or3_b32 v18, v11, v13, v12
	v_mad_i64_i32 v[11:12], s[18:19], v4, 36, s[4:5]
	v_add_u32_e32 v4, 32, v4
	v_add_co_u32_e32 v13, vcc, v11, v8
	v_addc_co_u32_e32 v14, vcc, 0, v12, vcc
	global_load_dwordx2 v[15:16], v[13:14], off offset:4
	v_cmp_le_u32_e32 vcc, s16, v4
	s_or_b64 s[12:13], vcc, s[12:13]
	s_waitcnt vmcnt(0)
	v_dot4_i32_i8 v15, v17, v15, 0
	v_dot4_i32_i8 v15, v18, v16, v15
	v_bfe_u32 v16, v9, 12, 4
	v_bfe_u32 v17, v9, 4, 4
	global_load_ubyte v16, v16, s[14:15]
	v_lshrrev_b32_e32 v18, 28, v10
	global_load_ubyte v17, v17, s[14:15]
	s_waitcnt vmcnt(0)
	v_lshl_or_b32 v16, v16, 8, v17
	v_lshrrev_b32_e32 v17, 28, v9
	v_bfe_u32 v9, v9, 20, 4
	global_load_ubyte v17, v17, s[14:15]
	s_nop 0
	global_load_ubyte v9, v9, s[14:15]
	s_waitcnt vmcnt(1)
	v_lshlrev_b32_e32 v17, 24, v17
	s_waitcnt vmcnt(0)
	v_lshlrev_b32_e32 v9, 16, v9
	v_or3_b32 v16, v16, v9, v17
	v_bfe_u32 v9, v10, 12, 4
	v_bfe_u32 v17, v10, 20, 4
	;; [unrolled: 1-line block ×3, first 2 shown]
	global_load_ubyte v19, v9, s[14:15]
	global_load_ubyte v20, v10, s[14:15]
	s_waitcnt vmcnt(0)
	v_lshl_or_b32 v9, v19, 8, v20
	global_load_ubyte v10, v18, s[14:15]
	global_load_ubyte v19, v17, s[14:15]
	s_waitcnt vmcnt(1)
	v_lshlrev_b32_e32 v10, 24, v10
	s_waitcnt vmcnt(0)
	v_lshlrev_b32_e32 v17, 16, v19
	v_or3_b32 v17, v9, v17, v10
	global_load_dword v18, v[11:12], off
	global_load_dwordx2 v[9:10], v[13:14], off offset:20
	global_load_ushort v19, v[1:2], off
	s_waitcnt vmcnt(2)
	v_cvt_f32_f16_e32 v1, v18
	s_waitcnt vmcnt(1)
	v_dot4_i32_i8 v9, v16, v9, 0
	v_dot4_i32_i8 v9, v17, v10, v9
	s_waitcnt vmcnt(0)
	v_cvt_f32_f16_e32 v2, v19
	v_add_u32_e32 v9, v9, v15
	v_cvt_f32_i32_e32 v9, v9
	v_mul_f32_e32 v1, v2, v1
	v_fmac_f32_e32 v5, v1, v9
	s_andn2_b64 exec, exec, s[12:13]
	s_cbranch_execnz .LBB270_3
; %bb.4:
	s_or_b64 exec, exec, s[12:13]
.LBB270_5:
	s_or_b64 exec, exec, s[10:11]
	v_mbcnt_lo_u32_b32 v1, -1, 0
	v_mbcnt_hi_u32_b32 v2, -1, v1
	v_and_b32_e32 v1, 64, v2
	v_add_u32_e32 v4, 64, v1
	v_xor_b32_e32 v1, 32, v2
	v_cmp_lt_i32_e32 vcc, v1, v4
	v_cndmask_b32_e32 v1, v2, v1, vcc
	v_lshlrev_b32_e32 v1, 2, v1
	ds_bpermute_b32 v1, v1, v5
	v_xor_b32_e32 v6, 16, v2
	v_cmp_lt_i32_e32 vcc, v6, v4
	s_waitcnt lgkmcnt(0)
	v_add_f32_e32 v1, v5, v1
	v_cndmask_b32_e32 v5, v2, v6, vcc
	v_lshlrev_b32_e32 v5, 2, v5
	ds_bpermute_b32 v5, v5, v1
	v_xor_b32_e32 v6, 8, v2
	v_cmp_lt_i32_e32 vcc, v6, v4
	s_waitcnt lgkmcnt(0)
	v_add_f32_e32 v1, v1, v5
	;; [unrolled: 7-line block ×4, first 2 shown]
	v_cndmask_b32_e32 v5, v2, v6, vcc
	v_lshlrev_b32_e32 v5, 2, v5
	ds_bpermute_b32 v5, v5, v1
	v_xor_b32_e32 v6, 1, v2
	v_cmp_lt_i32_e32 vcc, v6, v4
	v_cndmask_b32_e32 v2, v2, v6, vcc
	v_lshlrev_b32_e32 v2, 2, v2
	s_waitcnt lgkmcnt(0)
	v_add_f32_e32 v1, v1, v5
	ds_bpermute_b32 v2, v2, v1
	v_cmp_eq_u32_e32 vcc, 0, v0
	s_and_b64 exec, exec, vcc
	s_cbranch_execz .LBB270_7
; %bb.6:
	s_waitcnt lgkmcnt(0)
	v_add_f32_e32 v0, v1, v2
	s_mul_i32 s0, s2, s8
	v_cvt_f16_f32_e32 v2, v0
	v_add_u32_e32 v0, s0, v3
	v_mov_b32_e32 v1, 0
	v_lshlrev_b64 v[0:1], 1, v[0:1]
	v_mov_b32_e32 v3, s7
	v_add_co_u32_e32 v0, vcc, s6, v0
	v_addc_co_u32_e32 v1, vcc, v3, v1, vcc
	global_store_short v[0:1], v2, off
.LBB270_7:
	s_endpgm
	.section	.rodata,"a",@progbits
	.p2align	6, 0x0
	.amdhsa_kernel _ZL9moe_vec_qIN3c104HalfELi32ELi4E12block_iq4_nlLi2EXadL_ZL19vec_dot_iq4_nl_q8_1PKvPK10block_q8_1RKiEEEvS4_S4_PT_PS8_iiii
		.amdhsa_group_segment_fixed_size 0
		.amdhsa_private_segment_fixed_size 0
		.amdhsa_kernarg_size 304
		.amdhsa_user_sgpr_count 6
		.amdhsa_user_sgpr_private_segment_buffer 1
		.amdhsa_user_sgpr_dispatch_ptr 0
		.amdhsa_user_sgpr_queue_ptr 0
		.amdhsa_user_sgpr_kernarg_segment_ptr 1
		.amdhsa_user_sgpr_dispatch_id 0
		.amdhsa_user_sgpr_flat_scratch_init 0
		.amdhsa_user_sgpr_private_segment_size 0
		.amdhsa_uses_dynamic_stack 0
		.amdhsa_system_sgpr_private_segment_wavefront_offset 0
		.amdhsa_system_sgpr_workgroup_id_x 1
		.amdhsa_system_sgpr_workgroup_id_y 0
		.amdhsa_system_sgpr_workgroup_id_z 1
		.amdhsa_system_sgpr_workgroup_info 0
		.amdhsa_system_vgpr_workitem_id 1
		.amdhsa_next_free_vgpr 21
		.amdhsa_next_free_sgpr 20
		.amdhsa_reserve_vcc 1
		.amdhsa_reserve_flat_scratch 0
		.amdhsa_float_round_mode_32 0
		.amdhsa_float_round_mode_16_64 0
		.amdhsa_float_denorm_mode_32 3
		.amdhsa_float_denorm_mode_16_64 3
		.amdhsa_dx10_clamp 1
		.amdhsa_ieee_mode 1
		.amdhsa_fp16_overflow 0
		.amdhsa_exception_fp_ieee_invalid_op 0
		.amdhsa_exception_fp_denorm_src 0
		.amdhsa_exception_fp_ieee_div_zero 0
		.amdhsa_exception_fp_ieee_overflow 0
		.amdhsa_exception_fp_ieee_underflow 0
		.amdhsa_exception_fp_ieee_inexact 0
		.amdhsa_exception_int_div_zero 0
	.end_amdhsa_kernel
	.section	.text._ZL9moe_vec_qIN3c104HalfELi32ELi4E12block_iq4_nlLi2EXadL_ZL19vec_dot_iq4_nl_q8_1PKvPK10block_q8_1RKiEEEvS4_S4_PT_PS8_iiii,"axG",@progbits,_ZL9moe_vec_qIN3c104HalfELi32ELi4E12block_iq4_nlLi2EXadL_ZL19vec_dot_iq4_nl_q8_1PKvPK10block_q8_1RKiEEEvS4_S4_PT_PS8_iiii,comdat
.Lfunc_end270:
	.size	_ZL9moe_vec_qIN3c104HalfELi32ELi4E12block_iq4_nlLi2EXadL_ZL19vec_dot_iq4_nl_q8_1PKvPK10block_q8_1RKiEEEvS4_S4_PT_PS8_iiii, .Lfunc_end270-_ZL9moe_vec_qIN3c104HalfELi32ELi4E12block_iq4_nlLi2EXadL_ZL19vec_dot_iq4_nl_q8_1PKvPK10block_q8_1RKiEEEvS4_S4_PT_PS8_iiii
                                        ; -- End function
	.set _ZL9moe_vec_qIN3c104HalfELi32ELi4E12block_iq4_nlLi2EXadL_ZL19vec_dot_iq4_nl_q8_1PKvPK10block_q8_1RKiEEEvS4_S4_PT_PS8_iiii.num_vgpr, 21
	.set _ZL9moe_vec_qIN3c104HalfELi32ELi4E12block_iq4_nlLi2EXadL_ZL19vec_dot_iq4_nl_q8_1PKvPK10block_q8_1RKiEEEvS4_S4_PT_PS8_iiii.num_agpr, 0
	.set _ZL9moe_vec_qIN3c104HalfELi32ELi4E12block_iq4_nlLi2EXadL_ZL19vec_dot_iq4_nl_q8_1PKvPK10block_q8_1RKiEEEvS4_S4_PT_PS8_iiii.numbered_sgpr, 20
	.set _ZL9moe_vec_qIN3c104HalfELi32ELi4E12block_iq4_nlLi2EXadL_ZL19vec_dot_iq4_nl_q8_1PKvPK10block_q8_1RKiEEEvS4_S4_PT_PS8_iiii.num_named_barrier, 0
	.set _ZL9moe_vec_qIN3c104HalfELi32ELi4E12block_iq4_nlLi2EXadL_ZL19vec_dot_iq4_nl_q8_1PKvPK10block_q8_1RKiEEEvS4_S4_PT_PS8_iiii.private_seg_size, 0
	.set _ZL9moe_vec_qIN3c104HalfELi32ELi4E12block_iq4_nlLi2EXadL_ZL19vec_dot_iq4_nl_q8_1PKvPK10block_q8_1RKiEEEvS4_S4_PT_PS8_iiii.uses_vcc, 1
	.set _ZL9moe_vec_qIN3c104HalfELi32ELi4E12block_iq4_nlLi2EXadL_ZL19vec_dot_iq4_nl_q8_1PKvPK10block_q8_1RKiEEEvS4_S4_PT_PS8_iiii.uses_flat_scratch, 0
	.set _ZL9moe_vec_qIN3c104HalfELi32ELi4E12block_iq4_nlLi2EXadL_ZL19vec_dot_iq4_nl_q8_1PKvPK10block_q8_1RKiEEEvS4_S4_PT_PS8_iiii.has_dyn_sized_stack, 0
	.set _ZL9moe_vec_qIN3c104HalfELi32ELi4E12block_iq4_nlLi2EXadL_ZL19vec_dot_iq4_nl_q8_1PKvPK10block_q8_1RKiEEEvS4_S4_PT_PS8_iiii.has_recursion, 0
	.set _ZL9moe_vec_qIN3c104HalfELi32ELi4E12block_iq4_nlLi2EXadL_ZL19vec_dot_iq4_nl_q8_1PKvPK10block_q8_1RKiEEEvS4_S4_PT_PS8_iiii.has_indirect_call, 0
	.section	.AMDGPU.csdata,"",@progbits
; Kernel info:
; codeLenInByte = 1168
; TotalNumSgprs: 24
; NumVgprs: 21
; ScratchSize: 0
; MemoryBound: 0
; FloatMode: 240
; IeeeMode: 1
; LDSByteSize: 0 bytes/workgroup (compile time only)
; SGPRBlocks: 2
; VGPRBlocks: 5
; NumSGPRsForWavesPerEU: 24
; NumVGPRsForWavesPerEU: 21
; Occupancy: 10
; WaveLimiterHint : 1
; COMPUTE_PGM_RSRC2:SCRATCH_EN: 0
; COMPUTE_PGM_RSRC2:USER_SGPR: 6
; COMPUTE_PGM_RSRC2:TRAP_HANDLER: 0
; COMPUTE_PGM_RSRC2:TGID_X_EN: 1
; COMPUTE_PGM_RSRC2:TGID_Y_EN: 0
; COMPUTE_PGM_RSRC2:TGID_Z_EN: 1
; COMPUTE_PGM_RSRC2:TIDIG_COMP_CNT: 1
	.section	.text._ZL9moe_vec_qIN3c104HalfELi256ELi8E11block_iq3_sLi1EXadL_ZL18vec_dot_iq3_s_q8_1PKvPK10block_q8_1RKiEEEvS4_S4_PT_PS8_iiii,"axG",@progbits,_ZL9moe_vec_qIN3c104HalfELi256ELi8E11block_iq3_sLi1EXadL_ZL18vec_dot_iq3_s_q8_1PKvPK10block_q8_1RKiEEEvS4_S4_PT_PS8_iiii,comdat
	.globl	_ZL9moe_vec_qIN3c104HalfELi256ELi8E11block_iq3_sLi1EXadL_ZL18vec_dot_iq3_s_q8_1PKvPK10block_q8_1RKiEEEvS4_S4_PT_PS8_iiii ; -- Begin function _ZL9moe_vec_qIN3c104HalfELi256ELi8E11block_iq3_sLi1EXadL_ZL18vec_dot_iq3_s_q8_1PKvPK10block_q8_1RKiEEEvS4_S4_PT_PS8_iiii
	.p2align	8
	.type	_ZL9moe_vec_qIN3c104HalfELi256ELi8E11block_iq3_sLi1EXadL_ZL18vec_dot_iq3_s_q8_1PKvPK10block_q8_1RKiEEEvS4_S4_PT_PS8_iiii,@function
_ZL9moe_vec_qIN3c104HalfELi256ELi8E11block_iq3_sLi1EXadL_ZL18vec_dot_iq3_s_q8_1PKvPK10block_q8_1RKiEEEvS4_S4_PT_PS8_iiii: ; @_ZL9moe_vec_qIN3c104HalfELi256ELi8E11block_iq3_sLi1EXadL_ZL18vec_dot_iq3_s_q8_1PKvPK10block_q8_1RKiEEEvS4_S4_PT_PS8_iiii
; %bb.0:
	s_load_dword s0, s[4:5], 0x3c
	s_load_dwordx4 s[8:11], s[4:5], 0x20
	s_waitcnt lgkmcnt(0)
	s_lshr_b32 s0, s0, 16
	s_mul_i32 s6, s6, s0
	v_add_u32_e32 v19, s6, v1
	v_cmp_gt_u32_e32 vcc, s10, v19
	s_and_saveexec_b64 s[0:1], vcc
	s_cbranch_execz .LBB271_9
; %bb.1:
	s_mov_b32 s12, s7
	s_load_dwordx2 s[6:7], s[4:5], 0x10
	s_ashr_i32 s0, s9, 31
	s_lshr_b32 s0, s0, 24
	s_add_i32 s0, s9, s0
	s_ashr_i32 s16, s0, 8
	v_lshrrev_b32_e32 v20, 3, v0
	v_cmp_gt_u32_e32 vcc, s16, v20
	v_mov_b32_e32 v21, 0
	s_and_saveexec_b64 s[14:15], vcc
	s_cbranch_execz .LBB271_7
; %bb.2:
	s_load_dwordx2 s[18:19], s[4:5], 0x18
	s_load_dwordx4 s[0:3], s[4:5], 0x0
	v_cvt_f32_u32_e32 v1, s8
	s_mov_b32 s13, 0
	s_lshl_b64 s[4:5], s[12:13], 2
	s_waitcnt lgkmcnt(0)
	s_add_u32 s4, s18, s4
	s_addc_u32 s5, s19, s5
	v_rcp_iflag_f32_e32 v1, v1
	s_load_dword s4, s[4:5], 0x0
	s_mul_i32 s5, s16, s10
	v_and_b32_e32 v23, 7, v0
	v_mul_f32_e32 v1, 0x4f7ffffe, v1
	v_cvt_u32_f32_e32 v1, v1
	s_waitcnt lgkmcnt(0)
	s_mul_i32 s4, s5, s4
	s_mul_hi_i32 s5, s4, 0x6e
	s_mulk_i32 s4, 0x6e
	s_add_u32 s0, s0, s4
	s_addc_u32 s1, s1, s5
	s_sub_i32 s4, 0, s8
	v_readfirstlane_b32 s5, v1
	s_mul_i32 s4, s4, s5
	s_mul_hi_u32 s4, s5, s4
	s_add_i32 s5, s5, s4
	s_mul_hi_u32 s4, s12, s5
	s_mul_i32 s5, s4, s8
	s_sub_i32 s5, s12, s5
	s_add_i32 s9, s4, 1
	s_sub_i32 s18, s5, s8
	s_cmp_ge_u32 s5, s8
	s_cselect_b32 s4, s9, s4
	s_cselect_b32 s5, s18, s5
	s_add_i32 s9, s4, 1
	s_cmp_ge_u32 s5, s8
	s_cselect_b32 s4, s9, s4
	s_mul_i32 s4, s4, s11
	s_mov_b32 s5, s13
	s_lshl_b64 s[4:5], s[4:5], 2
	s_add_u32 s2, s2, s4
	v_lshlrev_b32_e32 v3, 2, v0
	s_addc_u32 s3, s3, s5
	v_and_b32_e32 v25, 4, v3
	v_lshlrev_b32_e32 v3, 2, v23
	v_mad_u64_u32 v[1:2], s[2:3], v23, 36, s[2:3]
	v_mov_b32_e32 v4, s1
	v_add_co_u32_e32 v3, vcc, s0, v3
	v_addc_co_u32_e32 v4, vcc, 0, v4, vcc
	s_movk_i32 s2, 0x4a
	v_add_co_u32_e32 v3, vcc, s2, v3
	v_mul_lo_u32 v22, v19, s16
	v_lshlrev_b32_e32 v5, 3, v23
	v_addc_co_u32_e32 v4, vcc, 0, v4, vcc
	v_mov_b32_e32 v6, s1
	v_add_co_u32_e32 v5, vcc, s0, v5
	v_addc_co_u32_e32 v6, vcc, 0, v6, vcc
	v_add_co_u32_e32 v5, vcc, 2, v5
	v_mov_b32_e32 v8, s1
	s_movk_i32 s17, 0x6e
	v_mov_b32_e32 v21, 0
	v_bfe_u32 v24, v0, 1, 2
	v_add_u32_e32 v26, v20, v22
	v_addc_co_u32_e32 v6, vcc, 0, v6, vcc
	s_mov_b64 s[8:9], 0
	s_movk_i32 s11, 0x100
	s_mov_b32 s13, 0x1010101
	s_mov_b32 s18, 0x1000000
	;; [unrolled: 1-line block ×3, first 2 shown]
	v_mov_b32_e32 v7, s0
	v_mov_b32_e32 v27, 0xff0000
	;; [unrolled: 1-line block ×4, first 2 shown]
.LBB271_3:                              ; =>This Loop Header: Depth=1
                                        ;     Child Loop BB271_4 Depth 2
	v_add_u32_e32 v9, v20, v22
	v_mad_i64_i32 v[9:10], s[0:1], v9, s17, v[7:8]
	v_mad_i64_i32 v[13:14], s[0:1], v26, s17, v[3:4]
	v_add_co_u32_e32 v11, vcc, v9, v23
	v_addc_co_u32_e32 v12, vcc, 0, v10, vcc
	global_load_ubyte v31, v[11:12], off offset:66
	v_lshlrev_b32_e32 v11, 3, v20
	v_mad_i64_i32 v[11:12], s[0:1], v11, 36, v[1:2]
	v_mad_i64_i32 v[15:16], s[0:1], v26, s17, v[5:6]
	v_add_co_u32_e32 v17, vcc, 4, v11
	v_addc_co_u32_e32 v18, vcc, 0, v12, vcc
	s_mov_b32 s20, 7
	v_mov_b32_e32 v30, 0
.LBB271_4:                              ;   Parent Loop BB271_3 Depth=1
                                        ; =>  This Inner Loop Header: Depth=2
	global_load_ushort v32, v[15:16], off
	global_load_ubyte v34, v[13:14], off
	s_add_i32 s2, s20, 1
	s_waitcnt vmcnt(2)
	v_lshlrev_b32_e32 v33, s20, v31
	v_lshlrev_b32_e32 v35, s2, v31
	s_getpc_b64 s[0:1]
	s_add_u32 s0, s0, _ZL10iq3xs_grid@rel32@lo+4
	s_addc_u32 s1, s1, _ZL10iq3xs_grid@rel32@hi+12
	v_add_co_u32_e64 v15, s[2:3], 2, v15
	s_add_i32 s20, s20, -2
	s_cmp_lg_u32 s20, -1
	s_waitcnt vmcnt(1)
	v_and_b32_e32 v36, 0xff, v32
	v_lshrrev_b16_e32 v32, 8, v32
	v_and_or_b32 v35, v35, s11, v36
	v_and_or_b32 v32, v33, s11, v32
	v_lshlrev_b32_e32 v33, 2, v35
	v_lshlrev_b32_e32 v32, 2, v32
	global_load_dword v35, v33, s[0:1]
	global_load_dword v36, v32, s[0:1]
	s_nop 0
	global_load_dwordx2 v[32:33], v[17:18], off
	s_waitcnt vmcnt(3)
	v_and_b32_e32 v37, 15, v34
	v_lshrrev_b16_e32 v34, 4, v34
	v_and_b32_e32 v37, 0xffff, v37
	v_mul_lo_u32 v34, v34, s13
	v_mul_lo_u32 v37, v37, s13
	v_add_co_u32_e32 v17, vcc, 8, v17
	v_add_co_u32_e64 v13, s[0:1], 1, v13
	v_not_b32_e32 v34, v34
	v_addc_co_u32_e32 v18, vcc, 0, v18, vcc
	v_addc_co_u32_e64 v14, vcc, 0, v14, s[0:1]
	v_addc_co_u32_e64 v16, vcc, 0, v16, s[2:3]
	v_not_b32_e32 v37, v37
	v_and_b32_e32 v38, 0x8040201, v34
	v_and_b32_e32 v39, 0x40000, v34
	;; [unrolled: 1-line block ×8, first 2 shown]
	v_cmp_gt_u32_e32 vcc, s18, v38
	v_cmp_eq_u32_e64 s[2:3], 0, v40
	v_cmp_eq_u32_e64 s[4:5], 0, v34
	;; [unrolled: 1-line block ×3, first 2 shown]
	v_cndmask_b32_e64 v34, 0, -1, vcc
	v_cndmask_b32_e64 v39, 0, v28, s[2:3]
	v_cndmask_b32_e64 v40, 0, v29, s[4:5]
	v_cmp_gt_u32_e32 vcc, s18, v41
	v_cmp_eq_u32_e64 s[2:3], 0, v43
	v_cmp_eq_u32_e64 s[4:5], 0, v37
	v_cndmask_b32_e64 v38, 0, v27, s[0:1]
	v_cmp_eq_u32_e64 s[0:1], 0, v42
	v_cndmask_b32_e64 v37, 0, -1, vcc
	v_cndmask_b32_e64 v42, 0, v28, s[2:3]
	v_cndmask_b32_e64 v43, 0, v29, s[4:5]
	;; [unrolled: 1-line block ×3, first 2 shown]
	v_lshlrev_b32_e32 v37, 24, v37
	v_or_b32_e32 v45, v42, v43
	v_lshlrev_b32_e32 v34, 24, v34
	v_or_b32_e32 v44, v39, v40
	v_or3_b32 v45, v45, v41, v37
	v_or3_b32 v44, v44, v38, v34
	s_waitcnt vmcnt(2)
	v_xor_b32_e32 v35, v45, v35
	s_waitcnt vmcnt(1)
	v_xor_b32_e32 v36, v44, v36
	v_sub_u32_e32 v37, v35, v37
	v_sub_u32_e32 v41, v35, v41
	v_sub_u32_e32 v42, v35, v42
	v_sub_u32_e32 v35, v35, v43
	v_sub_u32_e32 v34, v36, v34
	v_sub_u32_e32 v38, v36, v38
	v_sub_u32_e32 v39, v36, v39
	v_sub_u32_e32 v36, v36, v40
	v_and_b32_e32 v37, 0xff000000, v37
	v_and_b32_e32 v40, 0xff00, v42
	v_perm_b32 v35, v41, v35, s19
	v_and_b32_e32 v34, 0xff000000, v34
	v_and_b32_e32 v39, 0xff00, v39
	v_perm_b32 v36, v38, v36, s19
	v_or3_b32 v35, v35, v37, v40
	v_or3_b32 v34, v36, v34, v39
	s_waitcnt vmcnt(0)
	v_dot4_i32_i8 v30, v35, v32, v30
	v_dot4_i32_i8 v30, v34, v33, v30
	s_cbranch_scc1 .LBB271_4
; %bb.5:                                ;   in Loop: Header=BB271_3 Depth=1
	global_load_ushort v13, v[9:10], off
	v_add_co_u32_e32 v9, vcc, v9, v24
	v_addc_co_u32_e32 v10, vcc, 0, v10, vcc
	global_load_dword v14, v[11:12], off
	global_load_ubyte v15, v[9:10], off offset:106
	v_cvt_f32_i32_e32 v9, v30
	v_add_u32_e32 v20, 8, v20
	v_cmp_le_u32_e32 vcc, s16, v20
	s_or_b64 s[8:9], vcc, s[8:9]
	v_add_u32_e32 v26, 8, v26
	s_waitcnt vmcnt(2)
	v_cvt_f32_f16_e32 v10, v13
	s_waitcnt vmcnt(1)
	v_cvt_f32_f16_e32 v11, v14
	s_waitcnt vmcnt(0)
	v_bfe_u32 v12, v15, v25, 4
	v_cvt_f32_ubyte0_e32 v12, v12
	v_add_f32_e32 v12, 0.5, v12
	v_mul_f32_e32 v10, v12, v10
	v_mul_f32_e32 v10, v10, v11
	v_mul_f32_e32 v10, 0.5, v10
	v_fmac_f32_e32 v21, v10, v9
	s_andn2_b64 exec, exec, s[8:9]
	s_cbranch_execnz .LBB271_3
; %bb.6:
	s_or_b64 exec, exec, s[8:9]
.LBB271_7:
	s_or_b64 exec, exec, s[14:15]
	v_mbcnt_lo_u32_b32 v1, -1, 0
	v_mbcnt_hi_u32_b32 v2, -1, v1
	v_and_b32_e32 v1, 64, v2
	v_add_u32_e32 v3, 64, v1
	v_xor_b32_e32 v1, 32, v2
	v_cmp_lt_i32_e32 vcc, v1, v3
	v_cndmask_b32_e32 v1, v2, v1, vcc
	v_lshlrev_b32_e32 v1, 2, v1
	ds_bpermute_b32 v1, v1, v21
	v_xor_b32_e32 v4, 16, v2
	v_cmp_lt_i32_e32 vcc, v4, v3
	v_cndmask_b32_e32 v4, v2, v4, vcc
	v_lshlrev_b32_e32 v4, 2, v4
	s_waitcnt lgkmcnt(0)
	v_add_f32_e32 v1, v21, v1
	ds_bpermute_b32 v4, v4, v1
	v_xor_b32_e32 v5, 8, v2
	v_cmp_lt_i32_e32 vcc, v5, v3
	s_waitcnt lgkmcnt(0)
	v_add_f32_e32 v1, v1, v4
	v_cndmask_b32_e32 v4, v2, v5, vcc
	v_lshlrev_b32_e32 v4, 2, v4
	ds_bpermute_b32 v4, v4, v1
	v_xor_b32_e32 v5, 4, v2
	v_cmp_lt_i32_e32 vcc, v5, v3
	s_waitcnt lgkmcnt(0)
	v_add_f32_e32 v1, v1, v4
	v_cndmask_b32_e32 v4, v2, v5, vcc
	v_lshlrev_b32_e32 v4, 2, v4
	;; [unrolled: 7-line block ×3, first 2 shown]
	ds_bpermute_b32 v4, v4, v1
	v_xor_b32_e32 v5, 1, v2
	v_cmp_lt_i32_e32 vcc, v5, v3
	v_cndmask_b32_e32 v2, v2, v5, vcc
	v_lshlrev_b32_e32 v2, 2, v2
	s_waitcnt lgkmcnt(0)
	v_add_f32_e32 v1, v1, v4
	ds_bpermute_b32 v2, v2, v1
	v_cmp_eq_u32_e32 vcc, 0, v0
	s_and_b64 exec, exec, vcc
	s_cbranch_execz .LBB271_9
; %bb.8:
	s_waitcnt lgkmcnt(0)
	v_add_f32_e32 v0, v1, v2
	s_mul_i32 s0, s10, s12
	v_cvt_f16_f32_e32 v2, v0
	v_add_u32_e32 v0, s0, v19
	v_mov_b32_e32 v1, 0
	v_lshlrev_b64 v[0:1], 1, v[0:1]
	v_mov_b32_e32 v3, s7
	v_add_co_u32_e32 v0, vcc, s6, v0
	v_addc_co_u32_e32 v1, vcc, v3, v1, vcc
	global_store_short v[0:1], v2, off
.LBB271_9:
	s_endpgm
	.section	.rodata,"a",@progbits
	.p2align	6, 0x0
	.amdhsa_kernel _ZL9moe_vec_qIN3c104HalfELi256ELi8E11block_iq3_sLi1EXadL_ZL18vec_dot_iq3_s_q8_1PKvPK10block_q8_1RKiEEEvS4_S4_PT_PS8_iiii
		.amdhsa_group_segment_fixed_size 0
		.amdhsa_private_segment_fixed_size 0
		.amdhsa_kernarg_size 304
		.amdhsa_user_sgpr_count 6
		.amdhsa_user_sgpr_private_segment_buffer 1
		.amdhsa_user_sgpr_dispatch_ptr 0
		.amdhsa_user_sgpr_queue_ptr 0
		.amdhsa_user_sgpr_kernarg_segment_ptr 1
		.amdhsa_user_sgpr_dispatch_id 0
		.amdhsa_user_sgpr_flat_scratch_init 0
		.amdhsa_user_sgpr_private_segment_size 0
		.amdhsa_uses_dynamic_stack 0
		.amdhsa_system_sgpr_private_segment_wavefront_offset 0
		.amdhsa_system_sgpr_workgroup_id_x 1
		.amdhsa_system_sgpr_workgroup_id_y 0
		.amdhsa_system_sgpr_workgroup_id_z 1
		.amdhsa_system_sgpr_workgroup_info 0
		.amdhsa_system_vgpr_workitem_id 1
		.amdhsa_next_free_vgpr 46
		.amdhsa_next_free_sgpr 21
		.amdhsa_reserve_vcc 1
		.amdhsa_reserve_flat_scratch 0
		.amdhsa_float_round_mode_32 0
		.amdhsa_float_round_mode_16_64 0
		.amdhsa_float_denorm_mode_32 3
		.amdhsa_float_denorm_mode_16_64 3
		.amdhsa_dx10_clamp 1
		.amdhsa_ieee_mode 1
		.amdhsa_fp16_overflow 0
		.amdhsa_exception_fp_ieee_invalid_op 0
		.amdhsa_exception_fp_denorm_src 0
		.amdhsa_exception_fp_ieee_div_zero 0
		.amdhsa_exception_fp_ieee_overflow 0
		.amdhsa_exception_fp_ieee_underflow 0
		.amdhsa_exception_fp_ieee_inexact 0
		.amdhsa_exception_int_div_zero 0
	.end_amdhsa_kernel
	.section	.text._ZL9moe_vec_qIN3c104HalfELi256ELi8E11block_iq3_sLi1EXadL_ZL18vec_dot_iq3_s_q8_1PKvPK10block_q8_1RKiEEEvS4_S4_PT_PS8_iiii,"axG",@progbits,_ZL9moe_vec_qIN3c104HalfELi256ELi8E11block_iq3_sLi1EXadL_ZL18vec_dot_iq3_s_q8_1PKvPK10block_q8_1RKiEEEvS4_S4_PT_PS8_iiii,comdat
.Lfunc_end271:
	.size	_ZL9moe_vec_qIN3c104HalfELi256ELi8E11block_iq3_sLi1EXadL_ZL18vec_dot_iq3_s_q8_1PKvPK10block_q8_1RKiEEEvS4_S4_PT_PS8_iiii, .Lfunc_end271-_ZL9moe_vec_qIN3c104HalfELi256ELi8E11block_iq3_sLi1EXadL_ZL18vec_dot_iq3_s_q8_1PKvPK10block_q8_1RKiEEEvS4_S4_PT_PS8_iiii
                                        ; -- End function
	.set _ZL9moe_vec_qIN3c104HalfELi256ELi8E11block_iq3_sLi1EXadL_ZL18vec_dot_iq3_s_q8_1PKvPK10block_q8_1RKiEEEvS4_S4_PT_PS8_iiii.num_vgpr, 46
	.set _ZL9moe_vec_qIN3c104HalfELi256ELi8E11block_iq3_sLi1EXadL_ZL18vec_dot_iq3_s_q8_1PKvPK10block_q8_1RKiEEEvS4_S4_PT_PS8_iiii.num_agpr, 0
	.set _ZL9moe_vec_qIN3c104HalfELi256ELi8E11block_iq3_sLi1EXadL_ZL18vec_dot_iq3_s_q8_1PKvPK10block_q8_1RKiEEEvS4_S4_PT_PS8_iiii.numbered_sgpr, 21
	.set _ZL9moe_vec_qIN3c104HalfELi256ELi8E11block_iq3_sLi1EXadL_ZL18vec_dot_iq3_s_q8_1PKvPK10block_q8_1RKiEEEvS4_S4_PT_PS8_iiii.num_named_barrier, 0
	.set _ZL9moe_vec_qIN3c104HalfELi256ELi8E11block_iq3_sLi1EXadL_ZL18vec_dot_iq3_s_q8_1PKvPK10block_q8_1RKiEEEvS4_S4_PT_PS8_iiii.private_seg_size, 0
	.set _ZL9moe_vec_qIN3c104HalfELi256ELi8E11block_iq3_sLi1EXadL_ZL18vec_dot_iq3_s_q8_1PKvPK10block_q8_1RKiEEEvS4_S4_PT_PS8_iiii.uses_vcc, 1
	.set _ZL9moe_vec_qIN3c104HalfELi256ELi8E11block_iq3_sLi1EXadL_ZL18vec_dot_iq3_s_q8_1PKvPK10block_q8_1RKiEEEvS4_S4_PT_PS8_iiii.uses_flat_scratch, 0
	.set _ZL9moe_vec_qIN3c104HalfELi256ELi8E11block_iq3_sLi1EXadL_ZL18vec_dot_iq3_s_q8_1PKvPK10block_q8_1RKiEEEvS4_S4_PT_PS8_iiii.has_dyn_sized_stack, 0
	.set _ZL9moe_vec_qIN3c104HalfELi256ELi8E11block_iq3_sLi1EXadL_ZL18vec_dot_iq3_s_q8_1PKvPK10block_q8_1RKiEEEvS4_S4_PT_PS8_iiii.has_recursion, 0
	.set _ZL9moe_vec_qIN3c104HalfELi256ELi8E11block_iq3_sLi1EXadL_ZL18vec_dot_iq3_s_q8_1PKvPK10block_q8_1RKiEEEvS4_S4_PT_PS8_iiii.has_indirect_call, 0
	.section	.AMDGPU.csdata,"",@progbits
; Kernel info:
; codeLenInByte = 1460
; TotalNumSgprs: 25
; NumVgprs: 46
; ScratchSize: 0
; MemoryBound: 0
; FloatMode: 240
; IeeeMode: 1
; LDSByteSize: 0 bytes/workgroup (compile time only)
; SGPRBlocks: 3
; VGPRBlocks: 11
; NumSGPRsForWavesPerEU: 25
; NumVGPRsForWavesPerEU: 46
; Occupancy: 5
; WaveLimiterHint : 1
; COMPUTE_PGM_RSRC2:SCRATCH_EN: 0
; COMPUTE_PGM_RSRC2:USER_SGPR: 6
; COMPUTE_PGM_RSRC2:TRAP_HANDLER: 0
; COMPUTE_PGM_RSRC2:TGID_X_EN: 1
; COMPUTE_PGM_RSRC2:TGID_Y_EN: 0
; COMPUTE_PGM_RSRC2:TGID_Z_EN: 1
; COMPUTE_PGM_RSRC2:TIDIG_COMP_CNT: 1
	.section	.text._ZL9moe_vec_qIN3c104HalfELi256ELi8E11block_iq2_sLi1EXadL_ZL18vec_dot_iq2_s_q8_1PKvPK10block_q8_1RKiEEEvS4_S4_PT_PS8_iiii,"axG",@progbits,_ZL9moe_vec_qIN3c104HalfELi256ELi8E11block_iq2_sLi1EXadL_ZL18vec_dot_iq2_s_q8_1PKvPK10block_q8_1RKiEEEvS4_S4_PT_PS8_iiii,comdat
	.globl	_ZL9moe_vec_qIN3c104HalfELi256ELi8E11block_iq2_sLi1EXadL_ZL18vec_dot_iq2_s_q8_1PKvPK10block_q8_1RKiEEEvS4_S4_PT_PS8_iiii ; -- Begin function _ZL9moe_vec_qIN3c104HalfELi256ELi8E11block_iq2_sLi1EXadL_ZL18vec_dot_iq2_s_q8_1PKvPK10block_q8_1RKiEEEvS4_S4_PT_PS8_iiii
	.p2align	8
	.type	_ZL9moe_vec_qIN3c104HalfELi256ELi8E11block_iq2_sLi1EXadL_ZL18vec_dot_iq2_s_q8_1PKvPK10block_q8_1RKiEEEvS4_S4_PT_PS8_iiii,@function
_ZL9moe_vec_qIN3c104HalfELi256ELi8E11block_iq2_sLi1EXadL_ZL18vec_dot_iq2_s_q8_1PKvPK10block_q8_1RKiEEEvS4_S4_PT_PS8_iiii: ; @_ZL9moe_vec_qIN3c104HalfELi256ELi8E11block_iq2_sLi1EXadL_ZL18vec_dot_iq2_s_q8_1PKvPK10block_q8_1RKiEEEvS4_S4_PT_PS8_iiii
; %bb.0:
	s_mov_b32 s8, s7
	s_load_dword s7, s[4:5], 0x3c
	s_load_dwordx4 s[0:3], s[4:5], 0x20
	s_waitcnt lgkmcnt(0)
	s_lshr_b32 s7, s7, 16
	s_mul_i32 s6, s6, s7
	v_add_u32_e32 v11, s6, v1
	v_cmp_gt_u32_e32 vcc, s2, v11
	s_and_saveexec_b64 s[6:7], vcc
	s_cbranch_execz .LBB272_7
; %bb.1:
	s_load_dwordx2 s[6:7], s[4:5], 0x10
	s_ashr_i32 s9, s1, 31
	s_lshr_b32 s9, s9, 24
	s_add_i32 s1, s1, s9
	s_ashr_i32 s12, s1, 8
	v_lshrrev_b32_e32 v12, 3, v0
	v_cmp_gt_u32_e32 vcc, s12, v12
	v_mov_b32_e32 v13, 0
	s_and_saveexec_b64 s[10:11], vcc
	s_cbranch_execz .LBB272_5
; %bb.2:
	s_load_dwordx2 s[14:15], s[4:5], 0x18
	v_cvt_f32_u32_e32 v1, s0
	s_mov_b32 s9, 0
	s_lshl_b64 s[16:17], s[8:9], 2
	v_and_b32_e32 v15, 7, v0
	s_waitcnt lgkmcnt(0)
	s_add_u32 s14, s14, s16
	v_rcp_iflag_f32_e32 v1, v1
	s_addc_u32 s15, s15, s17
	s_load_dword s1, s[14:15], 0x0
	s_load_dwordx4 s[16:19], s[4:5], 0x0
	s_mul_i32 s4, s12, s2
	v_mul_f32_e32 v1, 0x4f7ffffe, v1
	v_cvt_u32_f32_e32 v1, v1
	s_waitcnt lgkmcnt(0)
	s_mul_i32 s1, s4, s1
	s_mul_hi_i32 s4, s1, 0x52
	s_mulk_i32 s1, 0x52
	s_add_u32 s14, s16, s1
	s_addc_u32 s15, s17, s4
	s_sub_i32 s1, 0, s0
	v_readfirstlane_b32 s4, v1
	s_mul_i32 s1, s1, s4
	s_mul_hi_u32 s1, s4, s1
	s_add_i32 s4, s4, s1
	s_mul_hi_u32 s1, s8, s4
	s_mul_i32 s4, s1, s0
	s_sub_i32 s4, s8, s4
	s_add_i32 s5, s1, 1
	s_sub_i32 s16, s4, s0
	s_cmp_ge_u32 s4, s0
	s_cselect_b32 s1, s5, s1
	s_cselect_b32 s4, s16, s4
	s_add_i32 s5, s1, 1
	s_cmp_ge_u32 s4, s0
	s_cselect_b32 s0, s5, s1
	s_mul_i32 s0, s0, s3
	s_mov_b32 s1, s9
	s_lshl_b64 s[0:1], s[0:1], 2
	s_add_u32 s0, s18, s0
	s_addc_u32 s1, s19, s1
	v_mul_lo_u32 v14, v11, s12
	v_mad_u64_u32 v[1:2], s[0:1], v15, 36, s[0:1]
	v_mov_b32_e32 v3, s14
	s_movk_i32 s13, 0x52
	v_mov_b32_e32 v13, 0
	v_lshlrev_b32_e32 v16, 2, v15
	v_lshlrev_b32_e32 v17, 3, v12
	s_mov_b64 s[4:5], 0
	v_mov_b32_e32 v4, s15
	s_movk_i32 s3, 0x300
	s_mov_b32 s9, 0x1010101
	s_mov_b32 s14, 0x1000000
	v_mov_b32_e32 v18, 0xff0000
	v_mov_b32_e32 v19, 0xff00
	;; [unrolled: 1-line block ×3, first 2 shown]
	s_mov_b32 s15, 0xc060c00
	v_mov_b32_e32 v21, 4
.LBB272_3:                              ; =>This Inner Loop Header: Depth=1
	v_add_u32_e32 v7, v14, v12
	v_mad_i64_i32 v[7:8], s[16:17], v7, s13, v[3:4]
	s_getpc_b64 s[0:1]
	s_add_u32 s0, s0, _ZL9iq2s_grid@rel32@lo+4
	s_addc_u32 s1, s1, _ZL9iq2s_grid@rel32@hi+12
	v_mad_i64_i32 v[5:6], s[16:17], v17, 36, v[1:2]
	v_add_co_u32_e32 v9, vcc, v7, v16
	v_addc_co_u32_e32 v10, vcc, 0, v8, vcc
	v_add_co_u32_e32 v24, vcc, v7, v15
	v_addc_co_u32_e32 v25, vcc, 0, v8, vcc
	global_load_ushort v23, v[7:8], off
	global_load_dword v26, v[9:10], off offset:2
	global_load_ubyte v27, v[24:25], off offset:66
	global_load_ubyte v22, v[24:25], off offset:74
	global_load_dword v28, v[9:10], off offset:34
	v_add_u32_e32 v12, 8, v12
	v_add_u32_e32 v17, 64, v17
	s_waitcnt vmcnt(4)
	v_cvt_f32_f16_e32 v23, v23
	s_waitcnt vmcnt(3)
	v_and_b32_e32 v7, 0xff, v26
	s_waitcnt vmcnt(2)
	v_lshlrev_b32_e32 v8, 8, v27
	v_bfe_u32 v9, v26, 8, 8
	v_lshlrev_b32_e32 v10, 6, v27
	s_waitcnt vmcnt(0)
	v_lshrrev_b16_e32 v25, 4, v28
	v_lshrrev_b32_e32 v30, 8, v28
	v_bfe_u32 v29, v28, 8, 4
	v_bfe_u32 v31, v26, 16, 8
	v_lshlrev_b32_e32 v32, 4, v27
	v_lshrrev_b32_e32 v26, 24, v26
	v_lshlrev_b32_e32 v27, 2, v27
	v_and_or_b32 v7, v8, s3, v7
	v_and_or_b32 v8, v10, s3, v9
	v_and_b32_e32 v9, 15, v25
	v_lshrrev_b16_e32 v10, 4, v30
	v_bfe_u32 v33, v28, 16, 4
	v_bfe_u32 v35, v28, 24, 4
	v_mul_lo_u32 v25, v29, s9
	v_and_or_b32 v29, v32, s3, v31
	v_and_or_b32 v26, v27, s3, v26
	v_and_b32_e32 v9, 0xffff, v9
	v_lshlrev_b32_e32 v7, 3, v7
	v_lshlrev_b32_e32 v8, 3, v8
	v_and_b32_e32 v10, 15, v10
	v_mul_lo_u32 v36, v33, s9
	v_mul_lo_u32 v27, v35, s9
	v_lshlrev_b32_e32 v29, 3, v29
	v_lshlrev_b32_e32 v26, 3, v26
	v_mul_lo_u32 v35, v9, s9
	v_and_b32_e32 v37, 0xffff, v10
	global_load_dwordx2 v[30:31], v7, s[0:1]
	global_load_dwordx2 v[32:33], v8, s[0:1]
	global_load_dwordx2 v[9:10], v29, s[0:1]
	s_nop 0
	global_load_dwordx2 v[7:8], v26, s[0:1]
	v_and_b32_e32 v24, 15, v28
	v_bfe_u32 v34, v28, 20, 4
	v_mul_lo_u32 v24, v24, s9
	v_mul_lo_u32 v34, v34, s9
	v_not_b32_e32 v26, v36
	v_not_b32_e32 v25, v25
	;; [unrolled: 1-line block ×4, first 2 shown]
	v_and_b32_e32 v34, 0x8040201, v24
	v_and_b32_e32 v36, 0x40000, v24
	v_cmp_gt_u32_e32 vcc, s14, v34
	v_and_b32_e32 v38, 0x200, v24
	v_cndmask_b32_e64 v34, 0, -1, vcc
	v_cmp_eq_u32_e32 vcc, 0, v36
	v_and_b32_e32 v24, 1, v24
	v_cndmask_b32_e32 v36, 0, v18, vcc
	v_cmp_eq_u32_e32 vcc, 0, v38
	v_and_b32_e32 v39, 0x8040201, v25
	v_cndmask_b32_e32 v38, 0, v19, vcc
	;; [unrolled: 3-line block ×3, first 2 shown]
	v_cmp_gt_u32_e32 vcc, s14, v39
	v_and_b32_e32 v41, 0x200, v25
	v_cndmask_b32_e64 v39, 0, -1, vcc
	v_cmp_eq_u32_e32 vcc, 0, v40
	v_and_b32_e32 v42, 1, v25
	v_cndmask_b32_e32 v24, 0, v18, vcc
	v_cmp_eq_u32_e32 vcc, 0, v41
	v_and_b32_e32 v49, 0x8040201, v26
	v_cndmask_b32_e32 v25, 0, v19, vcc
	v_cmp_eq_u32_e32 vcc, 0, v42
	v_and_b32_e32 v43, 0x40000, v26
	v_and_b32_e32 v44, 0x200, v26
	;; [unrolled: 1-line block ×4, first 2 shown]
	v_cndmask_b32_e32 v26, 0, v20, vcc
	v_cmp_gt_u32_e32 vcc, s14, v49
	v_cndmask_b32_e64 v40, 0, -1, vcc
	v_cmp_gt_u32_e32 vcc, s14, v46
	v_lshrrev_b16_sdwa v28, v21, v28 dst_sel:DWORD dst_unused:UNUSED_PAD src0_sel:DWORD src1_sel:BYTE_3
	v_cndmask_b32_e64 v41, 0, -1, vcc
	v_cmp_eq_u32_e32 vcc, 0, v43
	v_mul_lo_u32 v28, v28, s9
	v_cndmask_b32_e32 v42, 0, v18, vcc
	v_cmp_eq_u32_e32 vcc, 0, v44
	v_and_b32_e32 v47, 0x40000, v29
	v_cndmask_b32_e32 v43, 0, v19, vcc
	v_cmp_eq_u32_e32 vcc, 0, v45
	v_and_b32_e32 v48, 0x200, v29
	v_cndmask_b32_e32 v44, 0, v20, vcc
	v_cmp_eq_u32_e32 vcc, 0, v47
	v_not_b32_e32 v27, v27
	v_and_b32_e32 v29, 1, v29
	v_cndmask_b32_e32 v45, 0, v18, vcc
	v_cmp_eq_u32_e32 vcc, 0, v48
	v_not_b32_e32 v28, v28
	v_and_b32_e32 v50, 0x40000, v27
	v_and_b32_e32 v51, 0x200, v27
	v_and_b32_e32 v52, 1, v27
	v_and_b32_e32 v27, 0x8040201, v27
	v_cndmask_b32_e32 v46, 0, v19, vcc
	v_cmp_eq_u32_e32 vcc, 0, v29
	v_and_b32_e32 v53, 0x40000, v28
	v_and_b32_e32 v54, 0x200, v28
	;; [unrolled: 1-line block ×4, first 2 shown]
	v_cndmask_b32_e32 v47, 0, v20, vcc
	v_cmp_gt_u32_e32 vcc, s14, v27
	v_cndmask_b32_e64 v48, 0, -1, vcc
	v_cmp_gt_u32_e32 vcc, s14, v28
	v_cndmask_b32_e64 v49, 0, -1, vcc
	v_cmp_eq_u32_e32 vcc, 0, v50
	v_cndmask_b32_e32 v50, 0, v18, vcc
	v_cmp_eq_u32_e32 vcc, 0, v51
	v_cndmask_b32_e32 v51, 0, v19, vcc
	;; [unrolled: 2-line block ×3, first 2 shown]
	v_cmp_eq_u32_e32 vcc, 0, v53
	v_mul_lo_u32 v37, v37, s9
	v_not_b32_e32 v35, v35
	v_cndmask_b32_e32 v27, 0, v18, vcc
	v_cmp_eq_u32_e32 vcc, 0, v54
	v_cndmask_b32_e32 v28, 0, v19, vcc
	v_cmp_eq_u32_e32 vcc, 0, v55
	v_and_b32_e32 v53, 0x8040201, v35
	v_cndmask_b32_e32 v29, 0, v20, vcc
	v_and_b32_e32 v54, 0x40000, v35
	v_cmp_gt_u32_e32 vcc, s14, v53
	v_and_b32_e32 v55, 0x200, v35
	v_cndmask_b32_e64 v53, 0, -1, vcc
	v_cmp_eq_u32_e32 vcc, 0, v54
	v_and_b32_e32 v35, 1, v35
	v_not_b32_e32 v37, v37
	v_cndmask_b32_e32 v54, 0, v18, vcc
	v_cmp_eq_u32_e32 vcc, 0, v55
	v_cndmask_b32_e32 v55, 0, v19, vcc
	v_cmp_eq_u32_e32 vcc, 0, v35
	v_and_b32_e32 v59, 0x8040201, v37
	v_cndmask_b32_e32 v35, 0, v20, vcc
	v_and_b32_e32 v60, 0x40000, v37
	v_and_b32_e32 v61, 0x200, v37
	;; [unrolled: 1-line block ×3, first 2 shown]
	v_cmp_gt_u32_e64 s[0:1], s14, v59
	v_lshlrev_b32_e32 v53, 24, v53
	v_cmp_eq_u32_e32 vcc, 0, v37
	v_or_b32_e32 v37, v55, v35
	v_cndmask_b32_e64 v59, 0, -1, s[0:1]
	v_cmp_eq_u32_e64 s[0:1], 0, v60
	v_lshlrev_b32_e32 v34, 24, v34
	v_or_b32_e32 v57, v38, v56
	v_cndmask_b32_e64 v60, 0, v18, s[0:1]
	v_cmp_eq_u32_e64 s[0:1], 0, v61
	v_or3_b32 v37, v37, v54, v53
	v_lshlrev_b32_e32 v39, 24, v39
	v_or_b32_e32 v58, v25, v26
	v_or3_b32 v57, v57, v36, v34
	v_cndmask_b32_e64 v61, 0, v19, s[0:1]
	s_waitcnt vmcnt(3)
	v_xor_b32_e32 v31, v37, v31
	v_cndmask_b32_e32 v37, 0, v20, vcc
	v_or3_b32 v58, v58, v24, v39
	v_xor_b32_e32 v30, v57, v30
	v_lshlrev_b32_e32 v57, 24, v59
	v_or_b32_e32 v59, v61, v37
	v_lshlrev_b32_e32 v40, 24, v40
	v_or3_b32 v59, v59, v60, v57
	s_waitcnt vmcnt(2)
	v_xor_b32_e32 v58, v58, v32
	v_or_b32_e32 v32, v43, v44
	v_lshlrev_b32_e32 v41, 24, v41
	v_xor_b32_e32 v59, v59, v33
	v_or_b32_e32 v33, v46, v47
	v_or3_b32 v32, v32, v42, v40
	v_lshlrev_b32_e32 v48, 24, v48
	v_or3_b32 v33, v33, v45, v41
	s_waitcnt vmcnt(1)
	v_xor_b32_e32 v9, v32, v9
	v_or_b32_e32 v32, v51, v52
	v_lshlrev_b32_e32 v49, 24, v49
	v_xor_b32_e32 v10, v33, v10
	v_or_b32_e32 v33, v28, v29
	v_or3_b32 v32, v32, v50, v48
	v_or3_b32 v33, v33, v27, v49
	s_waitcnt vmcnt(0)
	v_xor_b32_e32 v32, v32, v7
	v_xor_b32_e32 v62, v33, v8
	v_sub_u32_e32 v40, v9, v40
	v_sub_u32_e32 v42, v9, v42
	;; [unrolled: 1-line block ×8, first 2 shown]
	global_load_dwordx4 v[7:10], v[5:6], off offset:16
	v_sub_u32_e32 v48, v32, v48
	v_sub_u32_e32 v50, v32, v50
	;; [unrolled: 1-line block ×12, first 2 shown]
	global_load_dwordx4 v[30:33], v[5:6], off
	global_load_dword v63, v[5:6], off offset:32
	v_sub_u32_e32 v6, v58, v24
	v_sub_u32_e32 v24, v58, v25
	;; [unrolled: 1-line block ×3, first 2 shown]
	v_perm_b32 v42, v42, v44, s15
	v_and_b32_e32 v40, 0xff000000, v40
	v_and_b32_e32 v43, 0xff00, v43
	v_perm_b32 v36, v36, v56, s15
	v_perm_b32 v6, v6, v25, s15
	v_and_b32_e32 v25, 0xff000000, v34
	v_and_b32_e32 v34, 0xff00, v38
	v_sub_u32_e32 v5, v58, v39
	v_perm_b32 v44, v45, v47, s15
	v_and_b32_e32 v41, 0xff000000, v41
	v_and_b32_e32 v45, 0xff00, v46
	v_perm_b32 v46, v50, v52, s15
	v_perm_b32 v35, v54, v35, s15
	v_and_b32_e32 v38, 0xff000000, v53
	v_and_b32_e32 v50, 0xff00, v55
	v_or3_b32 v40, v42, v40, v43
	v_or3_b32 v25, v36, v25, v34
	v_sub_u32_e32 v39, v59, v60
	v_sub_u32_e32 v37, v59, v37
	;; [unrolled: 1-line block ×6, first 2 shown]
	v_and_b32_e32 v47, 0xff000000, v48
	v_and_b32_e32 v48, 0xff00, v51
	;; [unrolled: 1-line block ×4, first 2 shown]
	v_or3_b32 v41, v44, v41, v45
	v_or3_b32 v34, v35, v38, v50
	v_perm_b32 v37, v39, v37, s15
	v_perm_b32 v27, v27, v29, s15
	v_and_b32_e32 v29, 0xff000000, v49
	v_and_b32_e32 v28, 0xff00, v28
	v_or3_b32 v42, v46, v47, v48
	v_or3_b32 v5, v6, v5, v24
	;; [unrolled: 1-line block ×3, first 2 shown]
	v_lshrrev_b16_e32 v58, 4, v22
	v_and_b32_e32 v22, 15, v22
	v_cvt_f32_ubyte0_e32 v58, v58
	v_cvt_f32_ubyte0_e32 v22, v22
	v_add_f32_e32 v58, 0.5, v58
	v_add_f32_e32 v22, 0.5, v22
	v_cmp_le_u32_e32 vcc, s12, v12
	s_or_b64 s[4:5], vcc, s[4:5]
	s_waitcnt vmcnt(2)
	v_dot4_i32_i8 v8, v40, v8, 0
	v_dot4_i32_i8 v8, v41, v9, v8
	;; [unrolled: 1-line block ×3, first 2 shown]
	s_waitcnt vmcnt(1)
	v_cvt_f32_f16_e32 v26, v30
	v_sub_u32_e32 v30, v59, v57
	v_sub_u32_e32 v57, v59, v61
	v_dot4_i32_i8 v25, v25, v31, 0
	v_and_b32_e32 v30, 0xff000000, v30
	v_and_b32_e32 v39, 0xff00, v57
	v_dot4_i32_i8 v9, v34, v32, v25
	v_or3_b32 v6, v37, v30, v39
	v_dot4_i32_i8 v5, v5, v33, v9
	v_dot4_i32_i8 v5, v6, v7, v5
	s_waitcnt vmcnt(0)
	v_dot4_i32_i8 v6, v24, v63, v8
	v_cvt_f32_i32_e32 v6, v6
	v_cvt_f32_i32_e32 v5, v5
	v_mul_f32_e32 v7, v23, v26
	v_mul_f32_e32 v7, 0x3e800000, v7
	;; [unrolled: 1-line block ×3, first 2 shown]
	v_fmac_f32_e32 v6, v22, v5
	v_fmac_f32_e32 v13, v7, v6
	s_andn2_b64 exec, exec, s[4:5]
	s_cbranch_execnz .LBB272_3
; %bb.4:
	s_or_b64 exec, exec, s[4:5]
.LBB272_5:
	s_or_b64 exec, exec, s[10:11]
	v_mbcnt_lo_u32_b32 v1, -1, 0
	v_mbcnt_hi_u32_b32 v2, -1, v1
	v_and_b32_e32 v1, 64, v2
	v_add_u32_e32 v3, 64, v1
	v_xor_b32_e32 v1, 32, v2
	v_cmp_lt_i32_e32 vcc, v1, v3
	v_cndmask_b32_e32 v1, v2, v1, vcc
	v_lshlrev_b32_e32 v1, 2, v1
	ds_bpermute_b32 v1, v1, v13
	v_xor_b32_e32 v4, 16, v2
	v_cmp_lt_i32_e32 vcc, v4, v3
	v_cndmask_b32_e32 v4, v2, v4, vcc
	v_lshlrev_b32_e32 v4, 2, v4
	s_waitcnt lgkmcnt(0)
	v_add_f32_e32 v1, v13, v1
	ds_bpermute_b32 v4, v4, v1
	v_xor_b32_e32 v5, 8, v2
	v_cmp_lt_i32_e32 vcc, v5, v3
	s_waitcnt lgkmcnt(0)
	v_add_f32_e32 v1, v1, v4
	v_cndmask_b32_e32 v4, v2, v5, vcc
	v_lshlrev_b32_e32 v4, 2, v4
	ds_bpermute_b32 v4, v4, v1
	v_xor_b32_e32 v5, 4, v2
	v_cmp_lt_i32_e32 vcc, v5, v3
	s_waitcnt lgkmcnt(0)
	v_add_f32_e32 v1, v1, v4
	v_cndmask_b32_e32 v4, v2, v5, vcc
	v_lshlrev_b32_e32 v4, 2, v4
	ds_bpermute_b32 v4, v4, v1
	v_xor_b32_e32 v5, 2, v2
	v_cmp_lt_i32_e32 vcc, v5, v3
	s_waitcnt lgkmcnt(0)
	v_add_f32_e32 v1, v1, v4
	v_cndmask_b32_e32 v4, v2, v5, vcc
	v_lshlrev_b32_e32 v4, 2, v4
	ds_bpermute_b32 v4, v4, v1
	v_xor_b32_e32 v5, 1, v2
	v_cmp_lt_i32_e32 vcc, v5, v3
	v_cndmask_b32_e32 v2, v2, v5, vcc
	v_lshlrev_b32_e32 v2, 2, v2
	s_waitcnt lgkmcnt(0)
	v_add_f32_e32 v1, v1, v4
	ds_bpermute_b32 v2, v2, v1
	v_cmp_eq_u32_e32 vcc, 0, v0
	s_and_b64 exec, exec, vcc
	s_cbranch_execz .LBB272_7
; %bb.6:
	s_waitcnt lgkmcnt(0)
	v_add_f32_e32 v0, v1, v2
	s_mul_i32 s0, s2, s8
	v_cvt_f16_f32_e32 v2, v0
	v_add_u32_e32 v0, s0, v11
	v_mov_b32_e32 v1, 0
	v_lshlrev_b64 v[0:1], 1, v[0:1]
	v_mov_b32_e32 v3, s7
	v_add_co_u32_e32 v0, vcc, s6, v0
	v_addc_co_u32_e32 v1, vcc, v3, v1, vcc
	global_store_short v[0:1], v2, off
.LBB272_7:
	s_endpgm
	.section	.rodata,"a",@progbits
	.p2align	6, 0x0
	.amdhsa_kernel _ZL9moe_vec_qIN3c104HalfELi256ELi8E11block_iq2_sLi1EXadL_ZL18vec_dot_iq2_s_q8_1PKvPK10block_q8_1RKiEEEvS4_S4_PT_PS8_iiii
		.amdhsa_group_segment_fixed_size 0
		.amdhsa_private_segment_fixed_size 0
		.amdhsa_kernarg_size 304
		.amdhsa_user_sgpr_count 6
		.amdhsa_user_sgpr_private_segment_buffer 1
		.amdhsa_user_sgpr_dispatch_ptr 0
		.amdhsa_user_sgpr_queue_ptr 0
		.amdhsa_user_sgpr_kernarg_segment_ptr 1
		.amdhsa_user_sgpr_dispatch_id 0
		.amdhsa_user_sgpr_flat_scratch_init 0
		.amdhsa_user_sgpr_private_segment_size 0
		.amdhsa_uses_dynamic_stack 0
		.amdhsa_system_sgpr_private_segment_wavefront_offset 0
		.amdhsa_system_sgpr_workgroup_id_x 1
		.amdhsa_system_sgpr_workgroup_id_y 0
		.amdhsa_system_sgpr_workgroup_id_z 1
		.amdhsa_system_sgpr_workgroup_info 0
		.amdhsa_system_vgpr_workitem_id 1
		.amdhsa_next_free_vgpr 64
		.amdhsa_next_free_sgpr 20
		.amdhsa_reserve_vcc 1
		.amdhsa_reserve_flat_scratch 0
		.amdhsa_float_round_mode_32 0
		.amdhsa_float_round_mode_16_64 0
		.amdhsa_float_denorm_mode_32 3
		.amdhsa_float_denorm_mode_16_64 3
		.amdhsa_dx10_clamp 1
		.amdhsa_ieee_mode 1
		.amdhsa_fp16_overflow 0
		.amdhsa_exception_fp_ieee_invalid_op 0
		.amdhsa_exception_fp_denorm_src 0
		.amdhsa_exception_fp_ieee_div_zero 0
		.amdhsa_exception_fp_ieee_overflow 0
		.amdhsa_exception_fp_ieee_underflow 0
		.amdhsa_exception_fp_ieee_inexact 0
		.amdhsa_exception_int_div_zero 0
	.end_amdhsa_kernel
	.section	.text._ZL9moe_vec_qIN3c104HalfELi256ELi8E11block_iq2_sLi1EXadL_ZL18vec_dot_iq2_s_q8_1PKvPK10block_q8_1RKiEEEvS4_S4_PT_PS8_iiii,"axG",@progbits,_ZL9moe_vec_qIN3c104HalfELi256ELi8E11block_iq2_sLi1EXadL_ZL18vec_dot_iq2_s_q8_1PKvPK10block_q8_1RKiEEEvS4_S4_PT_PS8_iiii,comdat
.Lfunc_end272:
	.size	_ZL9moe_vec_qIN3c104HalfELi256ELi8E11block_iq2_sLi1EXadL_ZL18vec_dot_iq2_s_q8_1PKvPK10block_q8_1RKiEEEvS4_S4_PT_PS8_iiii, .Lfunc_end272-_ZL9moe_vec_qIN3c104HalfELi256ELi8E11block_iq2_sLi1EXadL_ZL18vec_dot_iq2_s_q8_1PKvPK10block_q8_1RKiEEEvS4_S4_PT_PS8_iiii
                                        ; -- End function
	.set _ZL9moe_vec_qIN3c104HalfELi256ELi8E11block_iq2_sLi1EXadL_ZL18vec_dot_iq2_s_q8_1PKvPK10block_q8_1RKiEEEvS4_S4_PT_PS8_iiii.num_vgpr, 64
	.set _ZL9moe_vec_qIN3c104HalfELi256ELi8E11block_iq2_sLi1EXadL_ZL18vec_dot_iq2_s_q8_1PKvPK10block_q8_1RKiEEEvS4_S4_PT_PS8_iiii.num_agpr, 0
	.set _ZL9moe_vec_qIN3c104HalfELi256ELi8E11block_iq2_sLi1EXadL_ZL18vec_dot_iq2_s_q8_1PKvPK10block_q8_1RKiEEEvS4_S4_PT_PS8_iiii.numbered_sgpr, 20
	.set _ZL9moe_vec_qIN3c104HalfELi256ELi8E11block_iq2_sLi1EXadL_ZL18vec_dot_iq2_s_q8_1PKvPK10block_q8_1RKiEEEvS4_S4_PT_PS8_iiii.num_named_barrier, 0
	.set _ZL9moe_vec_qIN3c104HalfELi256ELi8E11block_iq2_sLi1EXadL_ZL18vec_dot_iq2_s_q8_1PKvPK10block_q8_1RKiEEEvS4_S4_PT_PS8_iiii.private_seg_size, 0
	.set _ZL9moe_vec_qIN3c104HalfELi256ELi8E11block_iq2_sLi1EXadL_ZL18vec_dot_iq2_s_q8_1PKvPK10block_q8_1RKiEEEvS4_S4_PT_PS8_iiii.uses_vcc, 1
	.set _ZL9moe_vec_qIN3c104HalfELi256ELi8E11block_iq2_sLi1EXadL_ZL18vec_dot_iq2_s_q8_1PKvPK10block_q8_1RKiEEEvS4_S4_PT_PS8_iiii.uses_flat_scratch, 0
	.set _ZL9moe_vec_qIN3c104HalfELi256ELi8E11block_iq2_sLi1EXadL_ZL18vec_dot_iq2_s_q8_1PKvPK10block_q8_1RKiEEEvS4_S4_PT_PS8_iiii.has_dyn_sized_stack, 0
	.set _ZL9moe_vec_qIN3c104HalfELi256ELi8E11block_iq2_sLi1EXadL_ZL18vec_dot_iq2_s_q8_1PKvPK10block_q8_1RKiEEEvS4_S4_PT_PS8_iiii.has_recursion, 0
	.set _ZL9moe_vec_qIN3c104HalfELi256ELi8E11block_iq2_sLi1EXadL_ZL18vec_dot_iq2_s_q8_1PKvPK10block_q8_1RKiEEEvS4_S4_PT_PS8_iiii.has_indirect_call, 0
	.section	.AMDGPU.csdata,"",@progbits
; Kernel info:
; codeLenInByte = 2356
; TotalNumSgprs: 24
; NumVgprs: 64
; ScratchSize: 0
; MemoryBound: 0
; FloatMode: 240
; IeeeMode: 1
; LDSByteSize: 0 bytes/workgroup (compile time only)
; SGPRBlocks: 2
; VGPRBlocks: 15
; NumSGPRsForWavesPerEU: 24
; NumVGPRsForWavesPerEU: 64
; Occupancy: 4
; WaveLimiterHint : 1
; COMPUTE_PGM_RSRC2:SCRATCH_EN: 0
; COMPUTE_PGM_RSRC2:USER_SGPR: 6
; COMPUTE_PGM_RSRC2:TRAP_HANDLER: 0
; COMPUTE_PGM_RSRC2:TGID_X_EN: 1
; COMPUTE_PGM_RSRC2:TGID_Y_EN: 0
; COMPUTE_PGM_RSRC2:TGID_Z_EN: 1
; COMPUTE_PGM_RSRC2:TIDIG_COMP_CNT: 1
	.section	.text._ZL9moe_vec_qIN3c104HalfELi256ELi8E12block_iq4_xsLi1EXadL_ZL19vec_dot_iq4_xs_q8_1PKvPK10block_q8_1RKiEEEvS4_S4_PT_PS8_iiii,"axG",@progbits,_ZL9moe_vec_qIN3c104HalfELi256ELi8E12block_iq4_xsLi1EXadL_ZL19vec_dot_iq4_xs_q8_1PKvPK10block_q8_1RKiEEEvS4_S4_PT_PS8_iiii,comdat
	.globl	_ZL9moe_vec_qIN3c104HalfELi256ELi8E12block_iq4_xsLi1EXadL_ZL19vec_dot_iq4_xs_q8_1PKvPK10block_q8_1RKiEEEvS4_S4_PT_PS8_iiii ; -- Begin function _ZL9moe_vec_qIN3c104HalfELi256ELi8E12block_iq4_xsLi1EXadL_ZL19vec_dot_iq4_xs_q8_1PKvPK10block_q8_1RKiEEEvS4_S4_PT_PS8_iiii
	.p2align	8
	.type	_ZL9moe_vec_qIN3c104HalfELi256ELi8E12block_iq4_xsLi1EXadL_ZL19vec_dot_iq4_xs_q8_1PKvPK10block_q8_1RKiEEEvS4_S4_PT_PS8_iiii,@function
_ZL9moe_vec_qIN3c104HalfELi256ELi8E12block_iq4_xsLi1EXadL_ZL19vec_dot_iq4_xs_q8_1PKvPK10block_q8_1RKiEEEvS4_S4_PT_PS8_iiii: ; @_ZL9moe_vec_qIN3c104HalfELi256ELi8E12block_iq4_xsLi1EXadL_ZL19vec_dot_iq4_xs_q8_1PKvPK10block_q8_1RKiEEEvS4_S4_PT_PS8_iiii
; %bb.0:
	s_mov_b32 s8, s7
	s_load_dword s7, s[4:5], 0x3c
	s_load_dwordx4 s[0:3], s[4:5], 0x20
	s_waitcnt lgkmcnt(0)
	s_lshr_b32 s7, s7, 16
	s_mul_i32 s6, s6, s7
	v_add_u32_e32 v9, s6, v1
	v_cmp_gt_u32_e32 vcc, s2, v9
	s_and_saveexec_b64 s[6:7], vcc
	s_cbranch_execz .LBB273_7
; %bb.1:
	s_load_dwordx2 s[6:7], s[4:5], 0x10
	s_ashr_i32 s9, s1, 31
	s_lshr_b32 s9, s9, 24
	s_add_i32 s1, s1, s9
	s_ashr_i32 s12, s1, 8
	v_lshrrev_b32_e32 v10, 3, v0
	v_cmp_gt_u32_e32 vcc, s12, v10
	v_mov_b32_e32 v11, 0
	s_and_saveexec_b64 s[10:11], vcc
	s_cbranch_execz .LBB273_5
; %bb.2:
	s_load_dwordx2 s[14:15], s[4:5], 0x18
	s_load_dwordx4 s[16:19], s[4:5], 0x0
	v_cvt_f32_u32_e32 v1, s0
	s_mov_b32 s9, 0
	s_lshl_b64 s[4:5], s[8:9], 2
	s_waitcnt lgkmcnt(0)
	s_add_u32 s4, s14, s4
	s_addc_u32 s5, s15, s5
	v_rcp_iflag_f32_e32 v1, v1
	s_load_dword s1, s[4:5], 0x0
	s_mul_i32 s5, s12, s2
	v_and_b32_e32 v3, 7, v0
	v_mul_f32_e32 v1, 0x4f7ffffe, v1
	v_cvt_u32_f32_e32 v1, v1
	s_waitcnt lgkmcnt(0)
	s_mul_i32 s1, s5, s1
	s_mul_hi_i32 s5, s1, 0x88
	s_mulk_i32 s1, 0x88
	s_add_u32 s14, s16, s1
	s_addc_u32 s15, s17, s5
	s_sub_i32 s1, 0, s0
	v_readfirstlane_b32 s5, v1
	s_mul_i32 s1, s1, s5
	s_mul_hi_u32 s1, s5, s1
	s_add_i32 s5, s5, s1
	s_mul_hi_u32 s1, s8, s5
	s_mul_i32 s5, s1, s0
	s_sub_i32 s5, s8, s5
	s_add_i32 s13, s1, 1
	s_sub_i32 s16, s5, s0
	s_cmp_ge_u32 s5, s0
	s_cselect_b32 s1, s13, s1
	s_cselect_b32 s5, s16, s5
	s_add_i32 s13, s1, 1
	s_cmp_ge_u32 s5, s0
	s_cselect_b32 s0, s13, s1
	s_mul_i32 s0, s0, s3
	s_mov_b32 s1, s9
	s_lshl_b64 s[0:1], s[0:1], 2
	s_add_u32 s0, s18, s0
	s_addc_u32 s1, s19, s1
	v_mad_u64_u32 v[1:2], s[0:1], v3, 36, s[0:1]
	v_lshlrev_b32_e32 v4, 2, v0
	v_lshlrev_b32_e32 v5, 2, v3
	v_and_b32_e32 v12, 4, v4
	v_lshlrev_b32_e32 v13, 1, v3
	v_mov_b32_e32 v3, s14
	s_movk_i32 s4, 0x88
	v_mov_b32_e32 v11, 0
	v_lshlrev_b32_e32 v14, 3, v10
	s_mov_b64 s[0:1], 0
	v_mov_b32_e32 v4, s15
	v_lshlrev_b32_e32 v15, 2, v5
.LBB273_3:                              ; =>This Inner Loop Header: Depth=1
	v_mul_lo_u32 v5, v9, s12
	v_bfe_u32 v16, v0, 1, 2
	v_add_u32_e32 v5, v5, v10
	v_mad_i64_i32 v[5:6], s[14:15], v5, s4, v[3:4]
	s_getpc_b64 s[14:15]
	s_add_u32 s14, s14, _ZL13kvalues_iq4nl@rel32@lo+4
	s_addc_u32 s15, s15, _ZL13kvalues_iq4nl@rel32@hi+12
	v_add_u32_e32 v10, 8, v10
	v_add_co_u32_e32 v7, vcc, v5, v15
	v_addc_co_u32_e32 v8, vcc, 0, v6, vcc
	v_add_co_u32_e32 v20, vcc, v5, v16
	v_addc_co_u32_e32 v21, vcc, 0, v6, vcc
	global_load_dwordx4 v[16:19], v[7:8], off offset:8
	global_load_ubyte v22, v[20:21], off offset:4
	global_load_dword v47, v[5:6], off
	v_cmp_le_u32_e32 vcc, s12, v10
	s_or_b64 s[0:1], vcc, s[0:1]
	s_waitcnt vmcnt(2)
	v_and_b32_e32 v7, 15, v16
	v_bfe_u32 v8, v16, 8, 4
	s_waitcnt vmcnt(0)
	v_lshrrev_b32_sdwa v6, v13, v47 dst_sel:DWORD dst_unused:UNUSED_PAD src0_sel:DWORD src1_sel:WORD_1
	v_bfe_u32 v20, v16, 16, 4
	v_bfe_u32 v21, v16, 12, 4
	;; [unrolled: 1-line block ×3, first 2 shown]
	v_lshrrev_b32_e32 v24, 28, v16
	v_bfe_u32 v5, v22, v12, 4
	v_lshlrev_b32_e32 v6, 4, v6
	v_bfe_u32 v25, v16, 24, 4
	v_bfe_u32 v16, v16, 4, 4
	v_and_or_b32 v22, v6, 48, v5
	global_load_ubyte v5, v7, s[14:15]
	global_load_ubyte v6, v8, s[14:15]
	s_nop 0
	global_load_ubyte v7, v16, s[14:15]
	global_load_ubyte v8, v21, s[14:15]
	s_nop 0
	global_load_ubyte v20, v20, s[14:15]
	s_nop 0
	;; [unrolled: 2-line block ×4, first 2 shown]
	global_load_ubyte v24, v25, s[14:15]
	v_and_b32_e32 v26, 15, v17
	v_bfe_u32 v27, v17, 8, 4
	v_bfe_u32 v28, v17, 16, 4
	v_bfe_u32 v29, v17, 12, 4
	v_bfe_u32 v30, v17, 20, 4
	v_lshrrev_b32_e32 v31, 28, v17
	v_bfe_u32 v32, v17, 24, 4
	v_bfe_u32 v17, v17, 4, 4
	v_and_b32_e32 v33, 15, v18
	v_bfe_u32 v34, v18, 8, 4
	v_bfe_u32 v35, v18, 16, 4
	v_bfe_u32 v36, v18, 12, 4
	v_bfe_u32 v37, v18, 20, 4
	v_lshrrev_b32_e32 v38, 28, v18
	v_bfe_u32 v39, v18, 24, 4
	v_bfe_u32 v18, v18, 4, 4
	;; [unrolled: 8-line block ×3, first 2 shown]
	v_subrev_u32_e32 v22, 32, v22
	v_cvt_f32_i32_e32 v22, v22
	s_waitcnt vmcnt(6)
	v_lshl_or_b32 v5, v6, 8, v5
	s_waitcnt vmcnt(4)
	v_lshl_or_b32 v25, v8, 8, v7
	global_load_ubyte v6, v26, s[14:15]
	global_load_ubyte v7, v27, s[14:15]
	;; [unrolled: 1-line block ×4, first 2 shown]
	s_nop 0
	global_load_ubyte v26, v28, s[14:15]
	global_load_ubyte v27, v30, s[14:15]
	s_nop 0
	global_load_ubyte v28, v31, s[14:15]
	global_load_ubyte v29, v32, s[14:15]
	s_waitcnt vmcnt(11)
	v_lshlrev_b32_e32 v20, 16, v20
	s_waitcnt vmcnt(8)
	v_lshlrev_b32_e32 v24, 24, v24
	v_or3_b32 v20, v5, v20, v24
	s_waitcnt vmcnt(6)
	v_lshl_or_b32 v30, v7, 8, v6
	s_waitcnt vmcnt(4)
	v_lshl_or_b32 v31, v8, 8, v16
	global_load_ubyte v6, v33, s[14:15]
	global_load_ubyte v7, v34, s[14:15]
	;; [unrolled: 1-line block ×3, first 2 shown]
	s_nop 0
	global_load_ubyte v18, v18, s[14:15]
	s_nop 0
	global_load_ubyte v32, v35, s[14:15]
	global_load_ubyte v33, v37, s[14:15]
	;; [unrolled: 1-line block ×3, first 2 shown]
	s_nop 0
	global_load_ubyte v35, v39, s[14:15]
	v_mad_i64_i32 v[16:17], s[16:17], v14, 36, v[1:2]
	s_waitcnt vmcnt(8)
	v_lshlrev_b32_e32 v29, 24, v29
	v_lshlrev_b32_e32 v26, 16, v26
	;; [unrolled: 1-line block ×4, first 2 shown]
	v_or3_b32 v26, v30, v26, v29
	v_or3_b32 v27, v31, v27, v28
	v_add_u32_e32 v14, 64, v14
	s_waitcnt vmcnt(6)
	v_lshl_or_b32 v36, v7, 8, v6
	s_waitcnt vmcnt(4)
	v_lshl_or_b32 v37, v8, 8, v18
	global_load_dwordx4 v[5:8], v[16:17], off
	global_load_ubyte v18, v40, s[14:15]
	global_load_ubyte v24, v41, s[14:15]
	;; [unrolled: 1-line block ×4, first 2 shown]
	s_nop 0
	global_load_ubyte v40, v42, s[14:15]
	global_load_ubyte v41, v44, s[14:15]
	s_nop 0
	global_load_ubyte v42, v45, s[14:15]
	global_load_ubyte v43, v46, s[14:15]
	v_lshlrev_b32_e32 v19, 16, v21
	global_load_dword v44, v[16:17], off offset:32
	s_waitcnt vmcnt(10)
	v_lshlrev_b32_e32 v35, 24, v35
	v_lshlrev_b32_e32 v32, 16, v32
	;; [unrolled: 1-line block ×4, first 2 shown]
	v_or3_b32 v28, v36, v32, v35
	v_or3_b32 v29, v37, v33, v34
	s_waitcnt vmcnt(9)
	v_dot4_i32_i8 v6, v20, v6, 0
	v_dot4_i32_i8 v6, v26, v7, v6
	s_waitcnt vmcnt(7)
	v_lshl_or_b32 v24, v24, 8, v18
	v_lshlrev_b32_e32 v18, 24, v23
	v_or3_b32 v21, v25, v19, v18
	global_load_dwordx4 v[16:19], v[16:17], off offset:16
	s_waitcnt vmcnt(6)
	v_lshl_or_b32 v23, v39, 8, v38
	s_waitcnt vmcnt(5)
	v_lshlrev_b32_e32 v39, 16, v40
	s_waitcnt vmcnt(2)
	v_lshlrev_b32_e32 v38, 24, v43
	v_lshlrev_b32_e32 v40, 24, v42
	;; [unrolled: 1-line block ×3, first 2 shown]
	v_or3_b32 v24, v24, v39, v38
	v_or3_b32 v23, v23, v41, v40
	v_dot4_i32_i8 v6, v28, v8, v6
	v_cvt_f32_f16_e32 v25, v47
	v_cvt_f32_f16_e32 v5, v5
	s_waitcnt vmcnt(0)
	v_dot4_i32_i8 v17, v21, v17, 0
	v_dot4_i32_i8 v7, v27, v18, v17
	;; [unrolled: 1-line block ×5, first 2 shown]
	v_add_u32_e32 v6, v7, v6
	v_cvt_f32_i32_e32 v6, v6
	v_mul_f32_e32 v7, v25, v22
	v_mul_f32_e32 v5, v7, v5
	v_fmac_f32_e32 v11, v5, v6
	s_andn2_b64 exec, exec, s[0:1]
	s_cbranch_execnz .LBB273_3
; %bb.4:
	s_or_b64 exec, exec, s[0:1]
.LBB273_5:
	s_or_b64 exec, exec, s[10:11]
	v_mbcnt_lo_u32_b32 v1, -1, 0
	v_mbcnt_hi_u32_b32 v2, -1, v1
	v_and_b32_e32 v1, 64, v2
	v_add_u32_e32 v3, 64, v1
	v_xor_b32_e32 v1, 32, v2
	v_cmp_lt_i32_e32 vcc, v1, v3
	v_cndmask_b32_e32 v1, v2, v1, vcc
	v_lshlrev_b32_e32 v1, 2, v1
	ds_bpermute_b32 v1, v1, v11
	v_xor_b32_e32 v4, 16, v2
	v_cmp_lt_i32_e32 vcc, v4, v3
	v_cndmask_b32_e32 v4, v2, v4, vcc
	v_lshlrev_b32_e32 v4, 2, v4
	s_waitcnt lgkmcnt(0)
	v_add_f32_e32 v1, v11, v1
	ds_bpermute_b32 v4, v4, v1
	v_xor_b32_e32 v5, 8, v2
	v_cmp_lt_i32_e32 vcc, v5, v3
	s_waitcnt lgkmcnt(0)
	v_add_f32_e32 v1, v1, v4
	v_cndmask_b32_e32 v4, v2, v5, vcc
	v_lshlrev_b32_e32 v4, 2, v4
	ds_bpermute_b32 v4, v4, v1
	v_xor_b32_e32 v5, 4, v2
	v_cmp_lt_i32_e32 vcc, v5, v3
	s_waitcnt lgkmcnt(0)
	v_add_f32_e32 v1, v1, v4
	v_cndmask_b32_e32 v4, v2, v5, vcc
	v_lshlrev_b32_e32 v4, 2, v4
	;; [unrolled: 7-line block ×3, first 2 shown]
	ds_bpermute_b32 v4, v4, v1
	v_xor_b32_e32 v5, 1, v2
	v_cmp_lt_i32_e32 vcc, v5, v3
	v_cndmask_b32_e32 v2, v2, v5, vcc
	v_lshlrev_b32_e32 v2, 2, v2
	s_waitcnt lgkmcnt(0)
	v_add_f32_e32 v1, v1, v4
	ds_bpermute_b32 v2, v2, v1
	v_cmp_eq_u32_e32 vcc, 0, v0
	s_and_b64 exec, exec, vcc
	s_cbranch_execz .LBB273_7
; %bb.6:
	s_waitcnt lgkmcnt(0)
	v_add_f32_e32 v0, v1, v2
	s_mul_i32 s0, s2, s8
	v_cvt_f16_f32_e32 v2, v0
	v_add_u32_e32 v0, s0, v9
	v_mov_b32_e32 v1, 0
	v_lshlrev_b64 v[0:1], 1, v[0:1]
	v_mov_b32_e32 v3, s7
	v_add_co_u32_e32 v0, vcc, s6, v0
	v_addc_co_u32_e32 v1, vcc, v3, v1, vcc
	global_store_short v[0:1], v2, off
.LBB273_7:
	s_endpgm
	.section	.rodata,"a",@progbits
	.p2align	6, 0x0
	.amdhsa_kernel _ZL9moe_vec_qIN3c104HalfELi256ELi8E12block_iq4_xsLi1EXadL_ZL19vec_dot_iq4_xs_q8_1PKvPK10block_q8_1RKiEEEvS4_S4_PT_PS8_iiii
		.amdhsa_group_segment_fixed_size 0
		.amdhsa_private_segment_fixed_size 0
		.amdhsa_kernarg_size 304
		.amdhsa_user_sgpr_count 6
		.amdhsa_user_sgpr_private_segment_buffer 1
		.amdhsa_user_sgpr_dispatch_ptr 0
		.amdhsa_user_sgpr_queue_ptr 0
		.amdhsa_user_sgpr_kernarg_segment_ptr 1
		.amdhsa_user_sgpr_dispatch_id 0
		.amdhsa_user_sgpr_flat_scratch_init 0
		.amdhsa_user_sgpr_private_segment_size 0
		.amdhsa_uses_dynamic_stack 0
		.amdhsa_system_sgpr_private_segment_wavefront_offset 0
		.amdhsa_system_sgpr_workgroup_id_x 1
		.amdhsa_system_sgpr_workgroup_id_y 0
		.amdhsa_system_sgpr_workgroup_id_z 1
		.amdhsa_system_sgpr_workgroup_info 0
		.amdhsa_system_vgpr_workitem_id 1
		.amdhsa_next_free_vgpr 48
		.amdhsa_next_free_sgpr 20
		.amdhsa_reserve_vcc 1
		.amdhsa_reserve_flat_scratch 0
		.amdhsa_float_round_mode_32 0
		.amdhsa_float_round_mode_16_64 0
		.amdhsa_float_denorm_mode_32 3
		.amdhsa_float_denorm_mode_16_64 3
		.amdhsa_dx10_clamp 1
		.amdhsa_ieee_mode 1
		.amdhsa_fp16_overflow 0
		.amdhsa_exception_fp_ieee_invalid_op 0
		.amdhsa_exception_fp_denorm_src 0
		.amdhsa_exception_fp_ieee_div_zero 0
		.amdhsa_exception_fp_ieee_overflow 0
		.amdhsa_exception_fp_ieee_underflow 0
		.amdhsa_exception_fp_ieee_inexact 0
		.amdhsa_exception_int_div_zero 0
	.end_amdhsa_kernel
	.section	.text._ZL9moe_vec_qIN3c104HalfELi256ELi8E12block_iq4_xsLi1EXadL_ZL19vec_dot_iq4_xs_q8_1PKvPK10block_q8_1RKiEEEvS4_S4_PT_PS8_iiii,"axG",@progbits,_ZL9moe_vec_qIN3c104HalfELi256ELi8E12block_iq4_xsLi1EXadL_ZL19vec_dot_iq4_xs_q8_1PKvPK10block_q8_1RKiEEEvS4_S4_PT_PS8_iiii,comdat
.Lfunc_end273:
	.size	_ZL9moe_vec_qIN3c104HalfELi256ELi8E12block_iq4_xsLi1EXadL_ZL19vec_dot_iq4_xs_q8_1PKvPK10block_q8_1RKiEEEvS4_S4_PT_PS8_iiii, .Lfunc_end273-_ZL9moe_vec_qIN3c104HalfELi256ELi8E12block_iq4_xsLi1EXadL_ZL19vec_dot_iq4_xs_q8_1PKvPK10block_q8_1RKiEEEvS4_S4_PT_PS8_iiii
                                        ; -- End function
	.set _ZL9moe_vec_qIN3c104HalfELi256ELi8E12block_iq4_xsLi1EXadL_ZL19vec_dot_iq4_xs_q8_1PKvPK10block_q8_1RKiEEEvS4_S4_PT_PS8_iiii.num_vgpr, 48
	.set _ZL9moe_vec_qIN3c104HalfELi256ELi8E12block_iq4_xsLi1EXadL_ZL19vec_dot_iq4_xs_q8_1PKvPK10block_q8_1RKiEEEvS4_S4_PT_PS8_iiii.num_agpr, 0
	.set _ZL9moe_vec_qIN3c104HalfELi256ELi8E12block_iq4_xsLi1EXadL_ZL19vec_dot_iq4_xs_q8_1PKvPK10block_q8_1RKiEEEvS4_S4_PT_PS8_iiii.numbered_sgpr, 20
	.set _ZL9moe_vec_qIN3c104HalfELi256ELi8E12block_iq4_xsLi1EXadL_ZL19vec_dot_iq4_xs_q8_1PKvPK10block_q8_1RKiEEEvS4_S4_PT_PS8_iiii.num_named_barrier, 0
	.set _ZL9moe_vec_qIN3c104HalfELi256ELi8E12block_iq4_xsLi1EXadL_ZL19vec_dot_iq4_xs_q8_1PKvPK10block_q8_1RKiEEEvS4_S4_PT_PS8_iiii.private_seg_size, 0
	.set _ZL9moe_vec_qIN3c104HalfELi256ELi8E12block_iq4_xsLi1EXadL_ZL19vec_dot_iq4_xs_q8_1PKvPK10block_q8_1RKiEEEvS4_S4_PT_PS8_iiii.uses_vcc, 1
	.set _ZL9moe_vec_qIN3c104HalfELi256ELi8E12block_iq4_xsLi1EXadL_ZL19vec_dot_iq4_xs_q8_1PKvPK10block_q8_1RKiEEEvS4_S4_PT_PS8_iiii.uses_flat_scratch, 0
	.set _ZL9moe_vec_qIN3c104HalfELi256ELi8E12block_iq4_xsLi1EXadL_ZL19vec_dot_iq4_xs_q8_1PKvPK10block_q8_1RKiEEEvS4_S4_PT_PS8_iiii.has_dyn_sized_stack, 0
	.set _ZL9moe_vec_qIN3c104HalfELi256ELi8E12block_iq4_xsLi1EXadL_ZL19vec_dot_iq4_xs_q8_1PKvPK10block_q8_1RKiEEEvS4_S4_PT_PS8_iiii.has_recursion, 0
	.set _ZL9moe_vec_qIN3c104HalfELi256ELi8E12block_iq4_xsLi1EXadL_ZL19vec_dot_iq4_xs_q8_1PKvPK10block_q8_1RKiEEEvS4_S4_PT_PS8_iiii.has_indirect_call, 0
	.section	.AMDGPU.csdata,"",@progbits
; Kernel info:
; codeLenInByte = 1676
; TotalNumSgprs: 24
; NumVgprs: 48
; ScratchSize: 0
; MemoryBound: 0
; FloatMode: 240
; IeeeMode: 1
; LDSByteSize: 0 bytes/workgroup (compile time only)
; SGPRBlocks: 2
; VGPRBlocks: 11
; NumSGPRsForWavesPerEU: 24
; NumVGPRsForWavesPerEU: 48
; Occupancy: 5
; WaveLimiterHint : 1
; COMPUTE_PGM_RSRC2:SCRATCH_EN: 0
; COMPUTE_PGM_RSRC2:USER_SGPR: 6
; COMPUTE_PGM_RSRC2:TRAP_HANDLER: 0
; COMPUTE_PGM_RSRC2:TGID_X_EN: 1
; COMPUTE_PGM_RSRC2:TGID_Y_EN: 0
; COMPUTE_PGM_RSRC2:TGID_Z_EN: 1
; COMPUTE_PGM_RSRC2:TIDIG_COMP_CNT: 1
	.section	.text._ZL9moe_vec_qIN3c104HalfELi256ELi8E11block_iq1_mLi1EXadL_ZL18vec_dot_iq1_m_q8_1PKvPK10block_q8_1RKiEEEvS4_S4_PT_PS8_iiii,"axG",@progbits,_ZL9moe_vec_qIN3c104HalfELi256ELi8E11block_iq1_mLi1EXadL_ZL18vec_dot_iq1_m_q8_1PKvPK10block_q8_1RKiEEEvS4_S4_PT_PS8_iiii,comdat
	.globl	_ZL9moe_vec_qIN3c104HalfELi256ELi8E11block_iq1_mLi1EXadL_ZL18vec_dot_iq1_m_q8_1PKvPK10block_q8_1RKiEEEvS4_S4_PT_PS8_iiii ; -- Begin function _ZL9moe_vec_qIN3c104HalfELi256ELi8E11block_iq1_mLi1EXadL_ZL18vec_dot_iq1_m_q8_1PKvPK10block_q8_1RKiEEEvS4_S4_PT_PS8_iiii
	.p2align	8
	.type	_ZL9moe_vec_qIN3c104HalfELi256ELi8E11block_iq1_mLi1EXadL_ZL18vec_dot_iq1_m_q8_1PKvPK10block_q8_1RKiEEEvS4_S4_PT_PS8_iiii,@function
_ZL9moe_vec_qIN3c104HalfELi256ELi8E11block_iq1_mLi1EXadL_ZL18vec_dot_iq1_m_q8_1PKvPK10block_q8_1RKiEEEvS4_S4_PT_PS8_iiii: ; @_ZL9moe_vec_qIN3c104HalfELi256ELi8E11block_iq1_mLi1EXadL_ZL18vec_dot_iq1_m_q8_1PKvPK10block_q8_1RKiEEEvS4_S4_PT_PS8_iiii
; %bb.0:
	s_mov_b32 s8, s7
	s_load_dword s7, s[4:5], 0x3c
	s_load_dwordx4 s[0:3], s[4:5], 0x20
	s_waitcnt lgkmcnt(0)
	s_lshr_b32 s7, s7, 16
	s_mul_i32 s6, s6, s7
	v_add_u32_e32 v13, s6, v1
	v_cmp_gt_u32_e32 vcc, s2, v13
	s_and_saveexec_b64 s[6:7], vcc
	s_cbranch_execz .LBB274_7
; %bb.1:
	s_load_dwordx2 s[6:7], s[4:5], 0x10
	s_ashr_i32 s9, s1, 31
	s_lshr_b32 s9, s9, 24
	s_add_i32 s1, s1, s9
	s_ashr_i32 s14, s1, 8
	v_lshrrev_b32_e32 v14, 3, v0
	v_cmp_gt_u32_e32 vcc, s14, v14
	v_mov_b32_e32 v15, 0
	s_and_saveexec_b64 s[10:11], vcc
	s_cbranch_execz .LBB274_5
; %bb.2:
	s_load_dwordx2 s[12:13], s[4:5], 0x18
	v_cvt_f32_u32_e32 v1, s0
	s_mov_b32 s9, 0
	s_lshl_b64 s[16:17], s[8:9], 2
	v_mul_lo_u32 v16, v13, s14
	v_rcp_iflag_f32_e32 v1, v1
	s_waitcnt lgkmcnt(0)
	s_add_u32 s12, s12, s16
	s_addc_u32 s13, s13, s17
	s_load_dword s1, s[12:13], 0x0
	s_load_dwordx4 s[16:19], s[4:5], 0x0
	v_mul_f32_e32 v1, 0x4f7ffffe, v1
	s_mul_i32 s4, s14, s2
	v_cvt_u32_f32_e32 v1, v1
	s_waitcnt lgkmcnt(0)
	s_mul_i32 s1, s4, s1
	s_mul_hi_i32 s5, s1, 56
	s_mul_i32 s1, s1, 56
	s_add_u32 s4, s16, s1
	s_addc_u32 s5, s17, s5
	s_sub_i32 s1, 0, s0
	v_readfirstlane_b32 s12, v1
	s_mul_i32 s1, s1, s12
	s_mul_hi_u32 s1, s12, s1
	s_add_i32 s12, s12, s1
	s_mul_hi_u32 s1, s8, s12
	s_mul_i32 s12, s1, s0
	s_sub_i32 s12, s8, s12
	s_add_i32 s13, s1, 1
	s_sub_i32 s15, s12, s0
	s_cmp_ge_u32 s12, s0
	s_cselect_b32 s1, s13, s1
	s_cselect_b32 s12, s15, s12
	s_add_i32 s13, s1, 1
	s_cmp_ge_u32 s12, s0
	s_cselect_b32 s0, s13, s1
	s_mul_i32 s0, s0, s3
	s_mov_b32 s1, s9
	s_lshl_b64 s[0:1], s[0:1], 2
	s_add_u32 s0, s18, s0
	s_addc_u32 s1, s19, s1
	v_and_b32_e32 v1, 7, v0
	v_mad_u64_u32 v[9:10], s[0:1], v1, 36, s[0:1]
	v_and_b32_e32 v3, 1, v0
	v_bfe_u32 v2, v0, 1, 2
	v_cmp_eq_u32_e32 vcc, 1, v3
	v_mov_b32_e32 v15, 0
	v_lshlrev_b32_e32 v17, 1, v1
	v_cndmask_b32_e64 v18, 0, 6, vcc
	v_lshlrev_b32_e32 v19, 3, v14
	s_mov_b64 s[0:1], 0
	v_lshlrev_b32_e32 v20, 2, v1
	s_mov_b32 s3, 0x1010101
	s_mov_b32 s9, 0x8000c
	s_movk_i32 s15, 0xf0
	v_lshlrev_b32_e32 v21, 1, v2
	s_movk_i32 s16, 0x700
	v_mov_b32_e32 v22, 4
	v_mov_b32_e32 v23, 8
.LBB274_3:                              ; =>This Inner Loop Header: Depth=1
	v_add_u32_e32 v1, v16, v14
	v_mad_i64_i32 v[11:12], s[12:13], v1, 56, s[4:5]
	v_mad_i64_i32 v[27:28], s[12:13], v19, 36, v[9:10]
	v_add_co_u32_e32 v1, vcc, v11, v20
	v_addc_co_u32_e32 v2, vcc, 0, v12, vcc
	v_add_co_u32_e32 v3, vcc, v11, v17
	v_addc_co_u32_e32 v4, vcc, 0, v12, vcc
	global_load_dword v26, v[1:2], off
	global_load_ushort v24, v[3:4], off offset:32
	s_nop 0
	global_load_dwordx4 v[1:4], v[27:28], off offset:16
	global_load_dword v25, v[27:28], off offset:32
	global_load_dwordx4 v[5:8], v[27:28], off
	v_add_co_u32_e32 v27, vcc, v11, v21
	v_addc_co_u32_e32 v28, vcc, 0, v12, vcc
	global_load_dwordx2 v[11:12], v[11:12], off offset:48
	s_nop 0
	global_load_ushort v27, v[27:28], off offset:48
	v_mov_b32_e32 v29, 0xbf600000
	s_getpc_b64 s[12:13]
	s_add_u32 s12, s12, _ZL13iq1s_grid_gpu@rel32@lo+4
	s_addc_u32 s13, s13, _ZL13iq1s_grid_gpu@rel32@hi+12
	v_mov_b32_e32 v30, 0xbf600000
	v_add_u32_e32 v14, 8, v14
	v_cmp_le_u32_e32 vcc, s14, v14
	v_add_u32_e32 v19, 64, v19
	s_or_b64 s[0:1], vcc, s[0:1]
	s_waitcnt vmcnt(6)
	v_and_b32_e32 v28, 0xff, v26
	s_waitcnt vmcnt(5)
	v_lshlrev_b32_e32 v31, 8, v24
	v_bfe_u32 v32, v26, 8, 8
	v_lshlrev_b32_e32 v33, 4, v24
	v_and_or_b32 v28, v31, s16, v28
	v_bfe_u32 v31, v26, 16, 8
	v_and_or_b32 v32, v33, s16, v32
	v_lshlrev_b32_sdwa v33, v23, v24 dst_sel:DWORD dst_unused:UNUSED_PAD src0_sel:DWORD src1_sel:BYTE_1
	v_and_or_b32 v31, v33, s16, v31
	v_and_b32_sdwa v33, v24, v23 dst_sel:DWORD dst_unused:UNUSED_PAD src0_sel:BYTE_1 src1_sel:DWORD
	v_cvt_f32_ubyte0_e32 v33, v33
	v_fmac_f32_e32 v29, 0xbd000000, v33
	v_lshrrev_b32_sdwa v33, v22, v24 dst_sel:DWORD dst_unused:UNUSED_PAD src0_sel:DWORD src1_sel:BYTE_1
	v_alignbit_b32 v26, v33, v26, 24
	v_lshlrev_b32_e32 v28, 3, v28
	v_and_b32_e32 v26, 0x7ff, v26
	global_load_dword v28, v28, s[12:13]
	v_lshlrev_b32_e32 v31, 3, v31
	v_lshlrev_b32_e32 v32, 3, v32
	;; [unrolled: 1-line block ×3, first 2 shown]
	global_load_dword v31, v31, s[12:13]
	s_nop 0
	global_load_dword v26, v26, s[12:13]
	s_nop 0
	global_load_dword v32, v32, s[12:13]
	v_and_b32_e32 v33, 8, v33
	v_cvt_f32_ubyte0_e32 v33, v33
	v_fmac_f32_e32 v30, 0xbd000000, v33
	s_waitcnt vmcnt(8)
	v_dot4_i32_i8 v33, v2, s3, 0
	v_dot4_i32_i8 v33, v3, s3, v33
	v_cvt_f32_i32_e32 v33, v33
	s_waitcnt vmcnt(5)
	v_pk_lshrrev_b16 v11, s9, v11
	s_waitcnt vmcnt(4)
	v_lshrrev_b32_e32 v27, v18, v27
	v_pk_lshrrev_b16 v12, 4, v12
	v_fma_f32 v29, v29, v33, 0
	v_dot4_i32_i8 v33, v4, s3, 0
	v_dot4_i32_i8 v33, v25, s3, v33
	v_cvt_f32_i32_e32 v33, v33
	v_and_b32_e32 v12, 0xf0000f00, v12
	v_cvt_f32_f16_e32 v5, v5
	v_fmac_f32_e32 v29, v30, v33
	v_and_b32_e32 v33, 8, v24
	v_bfe_u32 v24, v24, 4, 4
	v_mov_b32_e32 v30, 0xbf600000
	v_cvt_f32_ubyte0_e32 v33, v33
	v_and_b32_e32 v24, 8, v24
	v_fmac_f32_e32 v30, 0xbd000000, v33
	v_mov_b32_e32 v33, 0xbf600000
	v_cvt_f32_ubyte0_e32 v24, v24
	v_fmac_f32_e32 v33, 0xbd000000, v24
	v_dot4_i32_i8 v24, v6, s3, 0
	v_dot4_i32_i8 v24, v7, s3, v24
	v_cvt_f32_i32_e32 v24, v24
	v_fma_f32 v24, v30, v24, 0
	v_dot4_i32_i8 v30, v8, s3, 0
	v_dot4_i32_i8 v30, v1, s3, v30
	v_cvt_f32_i32_e32 v30, v30
	v_fmac_f32_e32 v24, v33, v30
	v_and_b32_sdwa v30, v11, s15 dst_sel:DWORD dst_unused:UNUSED_PAD src0_sel:WORD_1 src1_sel:DWORD
	v_or_b32_e32 v11, v30, v11
	v_lshlrev_b32_e32 v30, 1, v27
	v_and_b32_e32 v30, 14, v30
	v_or_b32_e32 v11, v11, v12
	v_or_b32_e32 v30, 1, v30
	v_or_b32_sdwa v11, v11, v12 dst_sel:DWORD dst_unused:UNUSED_PAD src0_sel:DWORD src1_sel:WORD_1
	v_cvt_f32_ubyte0_e32 v12, v30
	v_lshrrev_b32_e32 v27, 2, v27
	v_and_b32_e32 v27, 14, v27
	v_cvt_f32_f16_e32 v11, v11
	v_or_b32_e32 v27, 1, v27
	v_cvt_f32_ubyte0_e32 v27, v27
	s_waitcnt vmcnt(3)
	v_and_b32_e32 v30, 0xf0f0f0f, v28
	v_lshrrev_b32_e32 v28, 4, v28
	v_and_b32_e32 v28, 0xf0f0f0f, v28
	v_dot4_i32_i8 v6, v30, v6, 0
	v_dot4_i32_i8 v6, v28, v7, v6
	s_waitcnt vmcnt(0)
	v_and_b32_e32 v7, 0xf0f0f0f, v32
	v_dot4_i32_i8 v6, v7, v8, v6
	v_and_b32_e32 v7, 0xf0f0f0f, v31
	v_lshrrev_b32_e32 v8, 4, v31
	v_and_b32_e32 v8, 0xf0f0f0f, v8
	v_dot4_i32_i8 v2, v7, v2, 0
	v_and_b32_e32 v7, 0xf0f0f0f, v26
	v_lshrrev_b32_e32 v26, 4, v26
	v_dot4_i32_i8 v2, v8, v3, v2
	v_lshrrev_b32_e32 v28, 4, v32
	v_and_b32_e32 v8, 0xf0f0f0f, v26
	v_dot4_i32_i8 v2, v7, v4, v2
	v_and_b32_e32 v3, 0xf0f0f0f, v28
	v_dot4_i32_i8 v2, v8, v25, v2
	v_dot4_i32_i8 v1, v3, v1, v6
	v_cvt_f32_i32_e32 v2, v2
	v_cvt_f32_i32_e32 v1, v1
	v_mul_f32_e32 v3, v5, v11
	v_add_f32_e32 v2, v29, v2
	v_add_f32_e32 v1, v24, v1
	v_mul_f32_e32 v2, v2, v27
	v_fmac_f32_e32 v2, v1, v12
	v_fmac_f32_e32 v15, v3, v2
	s_andn2_b64 exec, exec, s[0:1]
	s_cbranch_execnz .LBB274_3
; %bb.4:
	s_or_b64 exec, exec, s[0:1]
.LBB274_5:
	s_or_b64 exec, exec, s[10:11]
	v_mbcnt_lo_u32_b32 v1, -1, 0
	v_mbcnt_hi_u32_b32 v2, -1, v1
	v_and_b32_e32 v1, 64, v2
	v_add_u32_e32 v3, 64, v1
	v_xor_b32_e32 v1, 32, v2
	v_cmp_lt_i32_e32 vcc, v1, v3
	v_cndmask_b32_e32 v1, v2, v1, vcc
	v_lshlrev_b32_e32 v1, 2, v1
	ds_bpermute_b32 v1, v1, v15
	v_xor_b32_e32 v4, 16, v2
	v_cmp_lt_i32_e32 vcc, v4, v3
	v_cndmask_b32_e32 v4, v2, v4, vcc
	v_lshlrev_b32_e32 v4, 2, v4
	s_waitcnt lgkmcnt(0)
	v_add_f32_e32 v1, v15, v1
	ds_bpermute_b32 v4, v4, v1
	v_xor_b32_e32 v5, 8, v2
	v_cmp_lt_i32_e32 vcc, v5, v3
	s_waitcnt lgkmcnt(0)
	v_add_f32_e32 v1, v1, v4
	v_cndmask_b32_e32 v4, v2, v5, vcc
	v_lshlrev_b32_e32 v4, 2, v4
	ds_bpermute_b32 v4, v4, v1
	v_xor_b32_e32 v5, 4, v2
	v_cmp_lt_i32_e32 vcc, v5, v3
	s_waitcnt lgkmcnt(0)
	v_add_f32_e32 v1, v1, v4
	v_cndmask_b32_e32 v4, v2, v5, vcc
	v_lshlrev_b32_e32 v4, 2, v4
	;; [unrolled: 7-line block ×3, first 2 shown]
	ds_bpermute_b32 v4, v4, v1
	v_xor_b32_e32 v5, 1, v2
	v_cmp_lt_i32_e32 vcc, v5, v3
	v_cndmask_b32_e32 v2, v2, v5, vcc
	v_lshlrev_b32_e32 v2, 2, v2
	s_waitcnt lgkmcnt(0)
	v_add_f32_e32 v1, v1, v4
	ds_bpermute_b32 v2, v2, v1
	v_cmp_eq_u32_e32 vcc, 0, v0
	s_and_b64 exec, exec, vcc
	s_cbranch_execz .LBB274_7
; %bb.6:
	s_waitcnt lgkmcnt(0)
	v_add_f32_e32 v0, v1, v2
	s_mul_i32 s0, s2, s8
	v_cvt_f16_f32_e32 v2, v0
	v_add_u32_e32 v0, s0, v13
	v_mov_b32_e32 v1, 0
	v_lshlrev_b64 v[0:1], 1, v[0:1]
	v_mov_b32_e32 v3, s7
	v_add_co_u32_e32 v0, vcc, s6, v0
	v_addc_co_u32_e32 v1, vcc, v3, v1, vcc
	global_store_short v[0:1], v2, off
.LBB274_7:
	s_endpgm
	.section	.rodata,"a",@progbits
	.p2align	6, 0x0
	.amdhsa_kernel _ZL9moe_vec_qIN3c104HalfELi256ELi8E11block_iq1_mLi1EXadL_ZL18vec_dot_iq1_m_q8_1PKvPK10block_q8_1RKiEEEvS4_S4_PT_PS8_iiii
		.amdhsa_group_segment_fixed_size 0
		.amdhsa_private_segment_fixed_size 0
		.amdhsa_kernarg_size 304
		.amdhsa_user_sgpr_count 6
		.amdhsa_user_sgpr_private_segment_buffer 1
		.amdhsa_user_sgpr_dispatch_ptr 0
		.amdhsa_user_sgpr_queue_ptr 0
		.amdhsa_user_sgpr_kernarg_segment_ptr 1
		.amdhsa_user_sgpr_dispatch_id 0
		.amdhsa_user_sgpr_flat_scratch_init 0
		.amdhsa_user_sgpr_private_segment_size 0
		.amdhsa_uses_dynamic_stack 0
		.amdhsa_system_sgpr_private_segment_wavefront_offset 0
		.amdhsa_system_sgpr_workgroup_id_x 1
		.amdhsa_system_sgpr_workgroup_id_y 0
		.amdhsa_system_sgpr_workgroup_id_z 1
		.amdhsa_system_sgpr_workgroup_info 0
		.amdhsa_system_vgpr_workitem_id 1
		.amdhsa_next_free_vgpr 34
		.amdhsa_next_free_sgpr 20
		.amdhsa_reserve_vcc 1
		.amdhsa_reserve_flat_scratch 0
		.amdhsa_float_round_mode_32 0
		.amdhsa_float_round_mode_16_64 0
		.amdhsa_float_denorm_mode_32 3
		.amdhsa_float_denorm_mode_16_64 3
		.amdhsa_dx10_clamp 1
		.amdhsa_ieee_mode 1
		.amdhsa_fp16_overflow 0
		.amdhsa_exception_fp_ieee_invalid_op 0
		.amdhsa_exception_fp_denorm_src 0
		.amdhsa_exception_fp_ieee_div_zero 0
		.amdhsa_exception_fp_ieee_overflow 0
		.amdhsa_exception_fp_ieee_underflow 0
		.amdhsa_exception_fp_ieee_inexact 0
		.amdhsa_exception_int_div_zero 0
	.end_amdhsa_kernel
	.section	.text._ZL9moe_vec_qIN3c104HalfELi256ELi8E11block_iq1_mLi1EXadL_ZL18vec_dot_iq1_m_q8_1PKvPK10block_q8_1RKiEEEvS4_S4_PT_PS8_iiii,"axG",@progbits,_ZL9moe_vec_qIN3c104HalfELi256ELi8E11block_iq1_mLi1EXadL_ZL18vec_dot_iq1_m_q8_1PKvPK10block_q8_1RKiEEEvS4_S4_PT_PS8_iiii,comdat
.Lfunc_end274:
	.size	_ZL9moe_vec_qIN3c104HalfELi256ELi8E11block_iq1_mLi1EXadL_ZL18vec_dot_iq1_m_q8_1PKvPK10block_q8_1RKiEEEvS4_S4_PT_PS8_iiii, .Lfunc_end274-_ZL9moe_vec_qIN3c104HalfELi256ELi8E11block_iq1_mLi1EXadL_ZL18vec_dot_iq1_m_q8_1PKvPK10block_q8_1RKiEEEvS4_S4_PT_PS8_iiii
                                        ; -- End function
	.set _ZL9moe_vec_qIN3c104HalfELi256ELi8E11block_iq1_mLi1EXadL_ZL18vec_dot_iq1_m_q8_1PKvPK10block_q8_1RKiEEEvS4_S4_PT_PS8_iiii.num_vgpr, 34
	.set _ZL9moe_vec_qIN3c104HalfELi256ELi8E11block_iq1_mLi1EXadL_ZL18vec_dot_iq1_m_q8_1PKvPK10block_q8_1RKiEEEvS4_S4_PT_PS8_iiii.num_agpr, 0
	.set _ZL9moe_vec_qIN3c104HalfELi256ELi8E11block_iq1_mLi1EXadL_ZL18vec_dot_iq1_m_q8_1PKvPK10block_q8_1RKiEEEvS4_S4_PT_PS8_iiii.numbered_sgpr, 20
	.set _ZL9moe_vec_qIN3c104HalfELi256ELi8E11block_iq1_mLi1EXadL_ZL18vec_dot_iq1_m_q8_1PKvPK10block_q8_1RKiEEEvS4_S4_PT_PS8_iiii.num_named_barrier, 0
	.set _ZL9moe_vec_qIN3c104HalfELi256ELi8E11block_iq1_mLi1EXadL_ZL18vec_dot_iq1_m_q8_1PKvPK10block_q8_1RKiEEEvS4_S4_PT_PS8_iiii.private_seg_size, 0
	.set _ZL9moe_vec_qIN3c104HalfELi256ELi8E11block_iq1_mLi1EXadL_ZL18vec_dot_iq1_m_q8_1PKvPK10block_q8_1RKiEEEvS4_S4_PT_PS8_iiii.uses_vcc, 1
	.set _ZL9moe_vec_qIN3c104HalfELi256ELi8E11block_iq1_mLi1EXadL_ZL18vec_dot_iq1_m_q8_1PKvPK10block_q8_1RKiEEEvS4_S4_PT_PS8_iiii.uses_flat_scratch, 0
	.set _ZL9moe_vec_qIN3c104HalfELi256ELi8E11block_iq1_mLi1EXadL_ZL18vec_dot_iq1_m_q8_1PKvPK10block_q8_1RKiEEEvS4_S4_PT_PS8_iiii.has_dyn_sized_stack, 0
	.set _ZL9moe_vec_qIN3c104HalfELi256ELi8E11block_iq1_mLi1EXadL_ZL18vec_dot_iq1_m_q8_1PKvPK10block_q8_1RKiEEEvS4_S4_PT_PS8_iiii.has_recursion, 0
	.set _ZL9moe_vec_qIN3c104HalfELi256ELi8E11block_iq1_mLi1EXadL_ZL18vec_dot_iq1_m_q8_1PKvPK10block_q8_1RKiEEEvS4_S4_PT_PS8_iiii.has_indirect_call, 0
	.section	.AMDGPU.csdata,"",@progbits
; Kernel info:
; codeLenInByte = 1456
; TotalNumSgprs: 24
; NumVgprs: 34
; ScratchSize: 0
; MemoryBound: 0
; FloatMode: 240
; IeeeMode: 1
; LDSByteSize: 0 bytes/workgroup (compile time only)
; SGPRBlocks: 2
; VGPRBlocks: 8
; NumSGPRsForWavesPerEU: 24
; NumVGPRsForWavesPerEU: 34
; Occupancy: 7
; WaveLimiterHint : 1
; COMPUTE_PGM_RSRC2:SCRATCH_EN: 0
; COMPUTE_PGM_RSRC2:USER_SGPR: 6
; COMPUTE_PGM_RSRC2:TRAP_HANDLER: 0
; COMPUTE_PGM_RSRC2:TGID_X_EN: 1
; COMPUTE_PGM_RSRC2:TGID_Y_EN: 0
; COMPUTE_PGM_RSRC2:TGID_Z_EN: 1
; COMPUTE_PGM_RSRC2:TIDIG_COMP_CNT: 1
	.section	.text._ZL9moe_vec_qIN3c108BFloat16ELi32ELi4E10block_q4_0Li2EXadL_ZL17vec_dot_q4_0_q8_1PKvPK10block_q8_1RKiEEEvS4_S4_PT_PS8_iiii,"axG",@progbits,_ZL9moe_vec_qIN3c108BFloat16ELi32ELi4E10block_q4_0Li2EXadL_ZL17vec_dot_q4_0_q8_1PKvPK10block_q8_1RKiEEEvS4_S4_PT_PS8_iiii,comdat
	.globl	_ZL9moe_vec_qIN3c108BFloat16ELi32ELi4E10block_q4_0Li2EXadL_ZL17vec_dot_q4_0_q8_1PKvPK10block_q8_1RKiEEEvS4_S4_PT_PS8_iiii ; -- Begin function _ZL9moe_vec_qIN3c108BFloat16ELi32ELi4E10block_q4_0Li2EXadL_ZL17vec_dot_q4_0_q8_1PKvPK10block_q8_1RKiEEEvS4_S4_PT_PS8_iiii
	.p2align	8
	.type	_ZL9moe_vec_qIN3c108BFloat16ELi32ELi4E10block_q4_0Li2EXadL_ZL17vec_dot_q4_0_q8_1PKvPK10block_q8_1RKiEEEvS4_S4_PT_PS8_iiii,@function
_ZL9moe_vec_qIN3c108BFloat16ELi32ELi4E10block_q4_0Li2EXadL_ZL17vec_dot_q4_0_q8_1PKvPK10block_q8_1RKiEEEvS4_S4_PT_PS8_iiii: ; @_ZL9moe_vec_qIN3c108BFloat16ELi32ELi4E10block_q4_0Li2EXadL_ZL17vec_dot_q4_0_q8_1PKvPK10block_q8_1RKiEEEvS4_S4_PT_PS8_iiii
; %bb.0:
	s_mov_b32 s8, s7
	s_load_dword s7, s[4:5], 0x3c
	s_load_dwordx4 s[0:3], s[4:5], 0x20
	s_waitcnt lgkmcnt(0)
	s_lshr_b32 s7, s7, 16
	s_mul_i32 s6, s6, s7
	v_add_u32_e32 v1, s6, v1
	v_cmp_gt_u32_e32 vcc, s2, v1
	s_and_saveexec_b64 s[6:7], vcc
	s_cbranch_execz .LBB275_7
; %bb.1:
	v_cvt_f32_u32_e32 v2, s0
	s_load_dwordx2 s[6:7], s[4:5], 0x10
	s_ashr_i32 s9, s1, 31
	s_lshr_b32 s9, s9, 27
	v_rcp_iflag_f32_e32 v3, v2
	s_add_i32 s1, s1, s9
	v_lshrrev_b32_e32 v2, 1, v0
	s_ashr_i32 s14, s1, 5
	v_mul_f32_e32 v3, 0x4f7ffffe, v3
	v_cvt_u32_f32_e32 v3, v3
	v_cmp_gt_u32_e32 vcc, s14, v2
	v_readfirstlane_b32 s1, v3
	v_mov_b32_e32 v3, 0
	s_and_saveexec_b64 s[10:11], vcc
	s_cbranch_execz .LBB275_5
; %bb.2:
	s_sub_i32 s12, 0, s0
	s_mul_i32 s15, s12, s1
	s_load_dwordx4 s[16:19], s[4:5], 0x0
	s_load_dwordx2 s[12:13], s[4:5], 0x18
	s_mov_b32 s9, 0
	s_mul_hi_u32 s4, s1, s15
	s_add_i32 s1, s1, s4
	s_lshl_b64 s[4:5], s[8:9], 2
	s_waitcnt lgkmcnt(0)
	s_add_u32 s4, s12, s4
	s_mul_hi_u32 s1, s8, s1
	s_addc_u32 s5, s13, s5
	s_load_dword s4, s[4:5], 0x0
	s_mul_i32 s5, s1, s0
	s_sub_i32 s5, s8, s5
	s_add_i32 s12, s1, 1
	s_sub_i32 s13, s5, s0
	s_cmp_ge_u32 s5, s0
	s_cselect_b32 s1, s12, s1
	s_cselect_b32 s5, s13, s5
	s_add_i32 s12, s1, 1
	s_cmp_ge_u32 s5, s0
	s_mul_i32 s0, s14, s2
	s_waitcnt lgkmcnt(0)
	s_mul_i32 s0, s0, s4
	s_cselect_b32 s5, s12, s1
	s_mul_hi_i32 s1, s0, 18
	s_mul_i32 s0, s0, 18
	s_add_u32 s0, s16, s0
	s_mul_i32 s4, s5, s3
	s_mov_b32 s5, s9
	v_mul_lo_u32 v4, v1, s14
	s_addc_u32 s1, s17, s1
	s_lshl_b64 s[4:5], s[4:5], 2
	s_add_u32 s4, s18, s4
	v_lshlrev_b32_e32 v3, 3, v0
	s_addc_u32 s5, s19, s5
	v_and_b32_e32 v5, 8, v3
	v_mov_b32_e32 v3, 0
	s_mov_b64 s[12:13], 0
.LBB275_3:                              ; =>This Inner Loop Header: Depth=1
	v_mad_i64_i32 v[6:7], s[16:17], v2, 36, s[4:5]
	v_add_u32_e32 v8, v4, v2
	v_mad_i64_i32 v[8:9], s[16:17], v8, 18, s[0:1]
	v_add_co_u32_e32 v10, vcc, v6, v5
	v_addc_co_u32_e32 v11, vcc, 0, v7, vcc
	v_add_co_u32_e32 v12, vcc, v8, v5
	v_addc_co_u32_e32 v13, vcc, 0, v9, vcc
	global_load_dwordx2 v[14:15], v[10:11], off offset:4
	global_load_dwordx2 v[16:17], v[10:11], off offset:20
	;; [unrolled: 1-line block ×3, first 2 shown]
	global_load_dword v20, v[6:7], off
	global_load_ushort v21, v[8:9], off
	v_add_u32_e32 v2, 32, v2
	v_cmp_le_u32_e32 vcc, s14, v2
	s_or_b64 s[12:13], vcc, s[12:13]
	s_waitcnt vmcnt(2)
	v_and_b32_e32 v7, 0xf0f0f0f, v18
	v_lshrrev_b32_e32 v8, 4, v18
	v_and_b32_e32 v8, 0xf0f0f0f, v8
	v_dot4_i32_i8 v7, v7, v14, 0
	v_and_b32_e32 v9, 0xf0f0f0f, v19
	v_lshrrev_b32_e32 v10, 4, v19
	v_dot4_i32_i8 v7, v8, v16, v7
	v_and_b32_e32 v10, 0xf0f0f0f, v10
	v_dot4_i32_i8 v7, v9, v15, v7
	s_waitcnt vmcnt(1)
	v_cvt_f32_f16_sdwa v6, v20 dst_sel:DWORD dst_unused:UNUSED_PAD src0_sel:WORD_1
	v_dot4_i32_i8 v7, v10, v17, v7
	v_cvt_f32_i32_e32 v7, v7
	v_mul_f32_e32 v6, -4.0, v6
	v_fma_mix_f32 v6, v7, v20, v6 op_sel_hi:[0,1,0]
	s_waitcnt vmcnt(0)
	v_fma_mix_f32 v3, v6, v21, v3 op_sel_hi:[0,1,0]
	s_andn2_b64 exec, exec, s[12:13]
	s_cbranch_execnz .LBB275_3
; %bb.4:
	s_or_b64 exec, exec, s[12:13]
.LBB275_5:
	s_or_b64 exec, exec, s[10:11]
	v_mbcnt_lo_u32_b32 v2, -1, 0
	v_mbcnt_hi_u32_b32 v4, -1, v2
	v_and_b32_e32 v2, 64, v4
	v_add_u32_e32 v5, 64, v2
	v_xor_b32_e32 v2, 32, v4
	v_cmp_lt_i32_e32 vcc, v2, v5
	v_cndmask_b32_e32 v2, v4, v2, vcc
	v_lshlrev_b32_e32 v2, 2, v2
	ds_bpermute_b32 v2, v2, v3
	v_xor_b32_e32 v6, 16, v4
	v_cmp_lt_i32_e32 vcc, v6, v5
	s_waitcnt lgkmcnt(0)
	v_add_f32_e32 v2, v3, v2
	v_cndmask_b32_e32 v3, v4, v6, vcc
	v_lshlrev_b32_e32 v3, 2, v3
	ds_bpermute_b32 v3, v3, v2
	v_xor_b32_e32 v6, 8, v4
	v_cmp_lt_i32_e32 vcc, v6, v5
	s_waitcnt lgkmcnt(0)
	v_add_f32_e32 v2, v2, v3
	;; [unrolled: 7-line block ×5, first 2 shown]
	v_cndmask_b32_e32 v3, v4, v6, vcc
	v_lshlrev_b32_e32 v3, 2, v3
	ds_bpermute_b32 v3, v3, v2
	v_cmp_eq_u32_e32 vcc, 0, v0
	s_and_b64 exec, exec, vcc
	s_cbranch_execz .LBB275_7
; %bb.6:
	s_waitcnt lgkmcnt(0)
	v_add_f32_e32 v0, v2, v3
	v_bfe_u32 v2, v0, 16, 1
	s_movk_i32 s0, 0x7fff
	v_add3_u32 v2, v0, v2, s0
	v_cmp_o_f32_e32 vcc, v0, v0
	v_mov_b32_e32 v0, 0x7fc0
	s_mul_i32 s0, s2, s8
	v_cndmask_b32_sdwa v2, v0, v2, vcc dst_sel:DWORD dst_unused:UNUSED_PAD src0_sel:DWORD src1_sel:WORD_1
	v_add_u32_e32 v0, s0, v1
	v_mov_b32_e32 v1, 0
	v_lshlrev_b64 v[0:1], 1, v[0:1]
	v_mov_b32_e32 v3, s7
	v_add_co_u32_e32 v0, vcc, s6, v0
	v_addc_co_u32_e32 v1, vcc, v3, v1, vcc
	global_store_short v[0:1], v2, off
.LBB275_7:
	s_endpgm
	.section	.rodata,"a",@progbits
	.p2align	6, 0x0
	.amdhsa_kernel _ZL9moe_vec_qIN3c108BFloat16ELi32ELi4E10block_q4_0Li2EXadL_ZL17vec_dot_q4_0_q8_1PKvPK10block_q8_1RKiEEEvS4_S4_PT_PS8_iiii
		.amdhsa_group_segment_fixed_size 0
		.amdhsa_private_segment_fixed_size 0
		.amdhsa_kernarg_size 304
		.amdhsa_user_sgpr_count 6
		.amdhsa_user_sgpr_private_segment_buffer 1
		.amdhsa_user_sgpr_dispatch_ptr 0
		.amdhsa_user_sgpr_queue_ptr 0
		.amdhsa_user_sgpr_kernarg_segment_ptr 1
		.amdhsa_user_sgpr_dispatch_id 0
		.amdhsa_user_sgpr_flat_scratch_init 0
		.amdhsa_user_sgpr_private_segment_size 0
		.amdhsa_uses_dynamic_stack 0
		.amdhsa_system_sgpr_private_segment_wavefront_offset 0
		.amdhsa_system_sgpr_workgroup_id_x 1
		.amdhsa_system_sgpr_workgroup_id_y 0
		.amdhsa_system_sgpr_workgroup_id_z 1
		.amdhsa_system_sgpr_workgroup_info 0
		.amdhsa_system_vgpr_workitem_id 1
		.amdhsa_next_free_vgpr 22
		.amdhsa_next_free_sgpr 20
		.amdhsa_reserve_vcc 1
		.amdhsa_reserve_flat_scratch 0
		.amdhsa_float_round_mode_32 0
		.amdhsa_float_round_mode_16_64 0
		.amdhsa_float_denorm_mode_32 3
		.amdhsa_float_denorm_mode_16_64 3
		.amdhsa_dx10_clamp 1
		.amdhsa_ieee_mode 1
		.amdhsa_fp16_overflow 0
		.amdhsa_exception_fp_ieee_invalid_op 0
		.amdhsa_exception_fp_denorm_src 0
		.amdhsa_exception_fp_ieee_div_zero 0
		.amdhsa_exception_fp_ieee_overflow 0
		.amdhsa_exception_fp_ieee_underflow 0
		.amdhsa_exception_fp_ieee_inexact 0
		.amdhsa_exception_int_div_zero 0
	.end_amdhsa_kernel
	.section	.text._ZL9moe_vec_qIN3c108BFloat16ELi32ELi4E10block_q4_0Li2EXadL_ZL17vec_dot_q4_0_q8_1PKvPK10block_q8_1RKiEEEvS4_S4_PT_PS8_iiii,"axG",@progbits,_ZL9moe_vec_qIN3c108BFloat16ELi32ELi4E10block_q4_0Li2EXadL_ZL17vec_dot_q4_0_q8_1PKvPK10block_q8_1RKiEEEvS4_S4_PT_PS8_iiii,comdat
.Lfunc_end275:
	.size	_ZL9moe_vec_qIN3c108BFloat16ELi32ELi4E10block_q4_0Li2EXadL_ZL17vec_dot_q4_0_q8_1PKvPK10block_q8_1RKiEEEvS4_S4_PT_PS8_iiii, .Lfunc_end275-_ZL9moe_vec_qIN3c108BFloat16ELi32ELi4E10block_q4_0Li2EXadL_ZL17vec_dot_q4_0_q8_1PKvPK10block_q8_1RKiEEEvS4_S4_PT_PS8_iiii
                                        ; -- End function
	.set _ZL9moe_vec_qIN3c108BFloat16ELi32ELi4E10block_q4_0Li2EXadL_ZL17vec_dot_q4_0_q8_1PKvPK10block_q8_1RKiEEEvS4_S4_PT_PS8_iiii.num_vgpr, 22
	.set _ZL9moe_vec_qIN3c108BFloat16ELi32ELi4E10block_q4_0Li2EXadL_ZL17vec_dot_q4_0_q8_1PKvPK10block_q8_1RKiEEEvS4_S4_PT_PS8_iiii.num_agpr, 0
	.set _ZL9moe_vec_qIN3c108BFloat16ELi32ELi4E10block_q4_0Li2EXadL_ZL17vec_dot_q4_0_q8_1PKvPK10block_q8_1RKiEEEvS4_S4_PT_PS8_iiii.numbered_sgpr, 20
	.set _ZL9moe_vec_qIN3c108BFloat16ELi32ELi4E10block_q4_0Li2EXadL_ZL17vec_dot_q4_0_q8_1PKvPK10block_q8_1RKiEEEvS4_S4_PT_PS8_iiii.num_named_barrier, 0
	.set _ZL9moe_vec_qIN3c108BFloat16ELi32ELi4E10block_q4_0Li2EXadL_ZL17vec_dot_q4_0_q8_1PKvPK10block_q8_1RKiEEEvS4_S4_PT_PS8_iiii.private_seg_size, 0
	.set _ZL9moe_vec_qIN3c108BFloat16ELi32ELi4E10block_q4_0Li2EXadL_ZL17vec_dot_q4_0_q8_1PKvPK10block_q8_1RKiEEEvS4_S4_PT_PS8_iiii.uses_vcc, 1
	.set _ZL9moe_vec_qIN3c108BFloat16ELi32ELi4E10block_q4_0Li2EXadL_ZL17vec_dot_q4_0_q8_1PKvPK10block_q8_1RKiEEEvS4_S4_PT_PS8_iiii.uses_flat_scratch, 0
	.set _ZL9moe_vec_qIN3c108BFloat16ELi32ELi4E10block_q4_0Li2EXadL_ZL17vec_dot_q4_0_q8_1PKvPK10block_q8_1RKiEEEvS4_S4_PT_PS8_iiii.has_dyn_sized_stack, 0
	.set _ZL9moe_vec_qIN3c108BFloat16ELi32ELi4E10block_q4_0Li2EXadL_ZL17vec_dot_q4_0_q8_1PKvPK10block_q8_1RKiEEEvS4_S4_PT_PS8_iiii.has_recursion, 0
	.set _ZL9moe_vec_qIN3c108BFloat16ELi32ELi4E10block_q4_0Li2EXadL_ZL17vec_dot_q4_0_q8_1PKvPK10block_q8_1RKiEEEvS4_S4_PT_PS8_iiii.has_indirect_call, 0
	.section	.AMDGPU.csdata,"",@progbits
; Kernel info:
; codeLenInByte = 824
; TotalNumSgprs: 24
; NumVgprs: 22
; ScratchSize: 0
; MemoryBound: 0
; FloatMode: 240
; IeeeMode: 1
; LDSByteSize: 0 bytes/workgroup (compile time only)
; SGPRBlocks: 2
; VGPRBlocks: 5
; NumSGPRsForWavesPerEU: 24
; NumVGPRsForWavesPerEU: 22
; Occupancy: 10
; WaveLimiterHint : 1
; COMPUTE_PGM_RSRC2:SCRATCH_EN: 0
; COMPUTE_PGM_RSRC2:USER_SGPR: 6
; COMPUTE_PGM_RSRC2:TRAP_HANDLER: 0
; COMPUTE_PGM_RSRC2:TGID_X_EN: 1
; COMPUTE_PGM_RSRC2:TGID_Y_EN: 0
; COMPUTE_PGM_RSRC2:TGID_Z_EN: 1
; COMPUTE_PGM_RSRC2:TIDIG_COMP_CNT: 1
	.section	.text._ZL9moe_vec_qIN3c108BFloat16ELi32ELi4E10block_q4_1Li2EXadL_ZL17vec_dot_q4_1_q8_1PKvPK10block_q8_1RKiEEEvS4_S4_PT_PS8_iiii,"axG",@progbits,_ZL9moe_vec_qIN3c108BFloat16ELi32ELi4E10block_q4_1Li2EXadL_ZL17vec_dot_q4_1_q8_1PKvPK10block_q8_1RKiEEEvS4_S4_PT_PS8_iiii,comdat
	.globl	_ZL9moe_vec_qIN3c108BFloat16ELi32ELi4E10block_q4_1Li2EXadL_ZL17vec_dot_q4_1_q8_1PKvPK10block_q8_1RKiEEEvS4_S4_PT_PS8_iiii ; -- Begin function _ZL9moe_vec_qIN3c108BFloat16ELi32ELi4E10block_q4_1Li2EXadL_ZL17vec_dot_q4_1_q8_1PKvPK10block_q8_1RKiEEEvS4_S4_PT_PS8_iiii
	.p2align	8
	.type	_ZL9moe_vec_qIN3c108BFloat16ELi32ELi4E10block_q4_1Li2EXadL_ZL17vec_dot_q4_1_q8_1PKvPK10block_q8_1RKiEEEvS4_S4_PT_PS8_iiii,@function
_ZL9moe_vec_qIN3c108BFloat16ELi32ELi4E10block_q4_1Li2EXadL_ZL17vec_dot_q4_1_q8_1PKvPK10block_q8_1RKiEEEvS4_S4_PT_PS8_iiii: ; @_ZL9moe_vec_qIN3c108BFloat16ELi32ELi4E10block_q4_1Li2EXadL_ZL17vec_dot_q4_1_q8_1PKvPK10block_q8_1RKiEEEvS4_S4_PT_PS8_iiii
; %bb.0:
	s_mov_b32 s8, s7
	s_load_dword s7, s[4:5], 0x3c
	s_load_dwordx4 s[0:3], s[4:5], 0x20
	s_waitcnt lgkmcnt(0)
	s_lshr_b32 s7, s7, 16
	s_mul_i32 s6, s6, s7
	v_add_u32_e32 v1, s6, v1
	v_cmp_gt_u32_e32 vcc, s2, v1
	s_and_saveexec_b64 s[6:7], vcc
	s_cbranch_execz .LBB276_7
; %bb.1:
	v_cvt_f32_u32_e32 v2, s0
	s_load_dwordx2 s[6:7], s[4:5], 0x10
	s_ashr_i32 s9, s1, 31
	s_lshr_b32 s9, s9, 27
	v_rcp_iflag_f32_e32 v3, v2
	s_add_i32 s1, s1, s9
	v_lshrrev_b32_e32 v2, 1, v0
	s_ashr_i32 s14, s1, 5
	v_mul_f32_e32 v3, 0x4f7ffffe, v3
	v_cvt_u32_f32_e32 v3, v3
	v_cmp_gt_u32_e32 vcc, s14, v2
	v_readfirstlane_b32 s1, v3
	v_mov_b32_e32 v3, 0
	s_and_saveexec_b64 s[10:11], vcc
	s_cbranch_execz .LBB276_5
; %bb.2:
	s_sub_i32 s12, 0, s0
	s_mul_i32 s15, s12, s1
	s_load_dwordx4 s[16:19], s[4:5], 0x0
	s_load_dwordx2 s[12:13], s[4:5], 0x18
	s_mov_b32 s9, 0
	s_mul_hi_u32 s4, s1, s15
	s_add_i32 s1, s1, s4
	s_lshl_b64 s[4:5], s[8:9], 2
	s_waitcnt lgkmcnt(0)
	s_add_u32 s4, s12, s4
	s_mul_hi_u32 s1, s8, s1
	s_addc_u32 s5, s13, s5
	s_load_dword s4, s[4:5], 0x0
	s_mul_i32 s5, s1, s0
	s_sub_i32 s5, s8, s5
	s_add_i32 s12, s1, 1
	s_sub_i32 s13, s5, s0
	s_cmp_ge_u32 s5, s0
	s_cselect_b32 s1, s12, s1
	s_cselect_b32 s5, s13, s5
	s_add_i32 s12, s1, 1
	s_cmp_ge_u32 s5, s0
	s_mul_i32 s0, s14, s2
	s_waitcnt lgkmcnt(0)
	s_mul_i32 s0, s0, s4
	s_cselect_b32 s5, s12, s1
	s_mul_hi_i32 s1, s0, 20
	s_mul_i32 s0, s0, 20
	s_add_u32 s0, s16, s0
	s_mul_i32 s4, s5, s3
	s_mov_b32 s5, s9
	v_mul_lo_u32 v4, v1, s14
	s_addc_u32 s1, s17, s1
	s_lshl_b64 s[4:5], s[4:5], 2
	s_add_u32 s4, s18, s4
	v_lshlrev_b32_e32 v3, 3, v0
	s_addc_u32 s5, s19, s5
	v_and_b32_e32 v5, 8, v3
	v_mov_b32_e32 v3, 0
	s_mov_b64 s[12:13], 0
.LBB276_3:                              ; =>This Inner Loop Header: Depth=1
	v_mad_i64_i32 v[6:7], s[16:17], v2, 36, s[4:5]
	v_add_u32_e32 v8, v4, v2
	v_mad_i64_i32 v[8:9], s[16:17], v8, 20, s[0:1]
	v_add_co_u32_e32 v10, vcc, v6, v5
	v_addc_co_u32_e32 v11, vcc, 0, v7, vcc
	global_load_dword v18, v[6:7], off
	v_add_co_u32_e32 v6, vcc, v8, v5
	v_addc_co_u32_e32 v7, vcc, 0, v9, vcc
	global_load_dwordx2 v[12:13], v[10:11], off offset:4
	global_load_dwordx2 v[14:15], v[10:11], off offset:20
	global_load_dwordx2 v[16:17], v[6:7], off offset:4
	global_load_dword v19, v[8:9], off
	v_add_u32_e32 v2, 32, v2
	v_cmp_le_u32_e32 vcc, s14, v2
	s_or_b64 s[12:13], vcc, s[12:13]
	s_waitcnt vmcnt(1)
	v_and_b32_e32 v7, 0xf0f0f0f, v16
	v_lshrrev_b32_e32 v8, 4, v16
	v_and_b32_e32 v8, 0xf0f0f0f, v8
	v_dot4_i32_i8 v7, v7, v12, 0
	v_and_b32_e32 v9, 0xf0f0f0f, v17
	v_lshrrev_b32_e32 v10, 4, v17
	v_dot4_i32_i8 v7, v8, v14, v7
	s_waitcnt vmcnt(0)
	v_pk_mul_f16 v6, v19, v18
	v_and_b32_e32 v10, 0xf0f0f0f, v10
	v_dot4_i32_i8 v7, v9, v13, v7
	v_cvt_f32_f16_sdwa v11, v6 dst_sel:DWORD dst_unused:UNUSED_PAD src0_sel:WORD_1
	v_dot4_i32_i8 v7, v10, v15, v7
	v_cvt_f32_i32_e32 v7, v7
	v_mul_f32_e32 v8, 0.5, v11
	v_fma_mix_f32 v6, v7, v6, v8 op_sel_hi:[0,1,0]
	v_add_f32_e32 v3, v3, v6
	s_andn2_b64 exec, exec, s[12:13]
	s_cbranch_execnz .LBB276_3
; %bb.4:
	s_or_b64 exec, exec, s[12:13]
.LBB276_5:
	s_or_b64 exec, exec, s[10:11]
	v_mbcnt_lo_u32_b32 v2, -1, 0
	v_mbcnt_hi_u32_b32 v4, -1, v2
	v_and_b32_e32 v2, 64, v4
	v_add_u32_e32 v5, 64, v2
	v_xor_b32_e32 v2, 32, v4
	v_cmp_lt_i32_e32 vcc, v2, v5
	v_cndmask_b32_e32 v2, v4, v2, vcc
	v_lshlrev_b32_e32 v2, 2, v2
	ds_bpermute_b32 v2, v2, v3
	v_xor_b32_e32 v6, 16, v4
	v_cmp_lt_i32_e32 vcc, v6, v5
	s_waitcnt lgkmcnt(0)
	v_add_f32_e32 v2, v3, v2
	v_cndmask_b32_e32 v3, v4, v6, vcc
	v_lshlrev_b32_e32 v3, 2, v3
	ds_bpermute_b32 v3, v3, v2
	v_xor_b32_e32 v6, 8, v4
	v_cmp_lt_i32_e32 vcc, v6, v5
	s_waitcnt lgkmcnt(0)
	v_add_f32_e32 v2, v2, v3
	;; [unrolled: 7-line block ×5, first 2 shown]
	v_cndmask_b32_e32 v3, v4, v6, vcc
	v_lshlrev_b32_e32 v3, 2, v3
	ds_bpermute_b32 v3, v3, v2
	v_cmp_eq_u32_e32 vcc, 0, v0
	s_and_b64 exec, exec, vcc
	s_cbranch_execz .LBB276_7
; %bb.6:
	s_waitcnt lgkmcnt(0)
	v_add_f32_e32 v0, v2, v3
	v_bfe_u32 v2, v0, 16, 1
	s_movk_i32 s0, 0x7fff
	v_add3_u32 v2, v0, v2, s0
	v_cmp_o_f32_e32 vcc, v0, v0
	v_mov_b32_e32 v0, 0x7fc0
	s_mul_i32 s0, s2, s8
	v_cndmask_b32_sdwa v2, v0, v2, vcc dst_sel:DWORD dst_unused:UNUSED_PAD src0_sel:DWORD src1_sel:WORD_1
	v_add_u32_e32 v0, s0, v1
	v_mov_b32_e32 v1, 0
	v_lshlrev_b64 v[0:1], 1, v[0:1]
	v_mov_b32_e32 v3, s7
	v_add_co_u32_e32 v0, vcc, s6, v0
	v_addc_co_u32_e32 v1, vcc, v3, v1, vcc
	global_store_short v[0:1], v2, off
.LBB276_7:
	s_endpgm
	.section	.rodata,"a",@progbits
	.p2align	6, 0x0
	.amdhsa_kernel _ZL9moe_vec_qIN3c108BFloat16ELi32ELi4E10block_q4_1Li2EXadL_ZL17vec_dot_q4_1_q8_1PKvPK10block_q8_1RKiEEEvS4_S4_PT_PS8_iiii
		.amdhsa_group_segment_fixed_size 0
		.amdhsa_private_segment_fixed_size 0
		.amdhsa_kernarg_size 304
		.amdhsa_user_sgpr_count 6
		.amdhsa_user_sgpr_private_segment_buffer 1
		.amdhsa_user_sgpr_dispatch_ptr 0
		.amdhsa_user_sgpr_queue_ptr 0
		.amdhsa_user_sgpr_kernarg_segment_ptr 1
		.amdhsa_user_sgpr_dispatch_id 0
		.amdhsa_user_sgpr_flat_scratch_init 0
		.amdhsa_user_sgpr_private_segment_size 0
		.amdhsa_uses_dynamic_stack 0
		.amdhsa_system_sgpr_private_segment_wavefront_offset 0
		.amdhsa_system_sgpr_workgroup_id_x 1
		.amdhsa_system_sgpr_workgroup_id_y 0
		.amdhsa_system_sgpr_workgroup_id_z 1
		.amdhsa_system_sgpr_workgroup_info 0
		.amdhsa_system_vgpr_workitem_id 1
		.amdhsa_next_free_vgpr 20
		.amdhsa_next_free_sgpr 20
		.amdhsa_reserve_vcc 1
		.amdhsa_reserve_flat_scratch 0
		.amdhsa_float_round_mode_32 0
		.amdhsa_float_round_mode_16_64 0
		.amdhsa_float_denorm_mode_32 3
		.amdhsa_float_denorm_mode_16_64 3
		.amdhsa_dx10_clamp 1
		.amdhsa_ieee_mode 1
		.amdhsa_fp16_overflow 0
		.amdhsa_exception_fp_ieee_invalid_op 0
		.amdhsa_exception_fp_denorm_src 0
		.amdhsa_exception_fp_ieee_div_zero 0
		.amdhsa_exception_fp_ieee_overflow 0
		.amdhsa_exception_fp_ieee_underflow 0
		.amdhsa_exception_fp_ieee_inexact 0
		.amdhsa_exception_int_div_zero 0
	.end_amdhsa_kernel
	.section	.text._ZL9moe_vec_qIN3c108BFloat16ELi32ELi4E10block_q4_1Li2EXadL_ZL17vec_dot_q4_1_q8_1PKvPK10block_q8_1RKiEEEvS4_S4_PT_PS8_iiii,"axG",@progbits,_ZL9moe_vec_qIN3c108BFloat16ELi32ELi4E10block_q4_1Li2EXadL_ZL17vec_dot_q4_1_q8_1PKvPK10block_q8_1RKiEEEvS4_S4_PT_PS8_iiii,comdat
.Lfunc_end276:
	.size	_ZL9moe_vec_qIN3c108BFloat16ELi32ELi4E10block_q4_1Li2EXadL_ZL17vec_dot_q4_1_q8_1PKvPK10block_q8_1RKiEEEvS4_S4_PT_PS8_iiii, .Lfunc_end276-_ZL9moe_vec_qIN3c108BFloat16ELi32ELi4E10block_q4_1Li2EXadL_ZL17vec_dot_q4_1_q8_1PKvPK10block_q8_1RKiEEEvS4_S4_PT_PS8_iiii
                                        ; -- End function
	.set _ZL9moe_vec_qIN3c108BFloat16ELi32ELi4E10block_q4_1Li2EXadL_ZL17vec_dot_q4_1_q8_1PKvPK10block_q8_1RKiEEEvS4_S4_PT_PS8_iiii.num_vgpr, 20
	.set _ZL9moe_vec_qIN3c108BFloat16ELi32ELi4E10block_q4_1Li2EXadL_ZL17vec_dot_q4_1_q8_1PKvPK10block_q8_1RKiEEEvS4_S4_PT_PS8_iiii.num_agpr, 0
	.set _ZL9moe_vec_qIN3c108BFloat16ELi32ELi4E10block_q4_1Li2EXadL_ZL17vec_dot_q4_1_q8_1PKvPK10block_q8_1RKiEEEvS4_S4_PT_PS8_iiii.numbered_sgpr, 20
	.set _ZL9moe_vec_qIN3c108BFloat16ELi32ELi4E10block_q4_1Li2EXadL_ZL17vec_dot_q4_1_q8_1PKvPK10block_q8_1RKiEEEvS4_S4_PT_PS8_iiii.num_named_barrier, 0
	.set _ZL9moe_vec_qIN3c108BFloat16ELi32ELi4E10block_q4_1Li2EXadL_ZL17vec_dot_q4_1_q8_1PKvPK10block_q8_1RKiEEEvS4_S4_PT_PS8_iiii.private_seg_size, 0
	.set _ZL9moe_vec_qIN3c108BFloat16ELi32ELi4E10block_q4_1Li2EXadL_ZL17vec_dot_q4_1_q8_1PKvPK10block_q8_1RKiEEEvS4_S4_PT_PS8_iiii.uses_vcc, 1
	.set _ZL9moe_vec_qIN3c108BFloat16ELi32ELi4E10block_q4_1Li2EXadL_ZL17vec_dot_q4_1_q8_1PKvPK10block_q8_1RKiEEEvS4_S4_PT_PS8_iiii.uses_flat_scratch, 0
	.set _ZL9moe_vec_qIN3c108BFloat16ELi32ELi4E10block_q4_1Li2EXadL_ZL17vec_dot_q4_1_q8_1PKvPK10block_q8_1RKiEEEvS4_S4_PT_PS8_iiii.has_dyn_sized_stack, 0
	.set _ZL9moe_vec_qIN3c108BFloat16ELi32ELi4E10block_q4_1Li2EXadL_ZL17vec_dot_q4_1_q8_1PKvPK10block_q8_1RKiEEEvS4_S4_PT_PS8_iiii.has_recursion, 0
	.set _ZL9moe_vec_qIN3c108BFloat16ELi32ELi4E10block_q4_1Li2EXadL_ZL17vec_dot_q4_1_q8_1PKvPK10block_q8_1RKiEEEvS4_S4_PT_PS8_iiii.has_indirect_call, 0
	.section	.AMDGPU.csdata,"",@progbits
; Kernel info:
; codeLenInByte = 824
; TotalNumSgprs: 24
; NumVgprs: 20
; ScratchSize: 0
; MemoryBound: 0
; FloatMode: 240
; IeeeMode: 1
; LDSByteSize: 0 bytes/workgroup (compile time only)
; SGPRBlocks: 2
; VGPRBlocks: 4
; NumSGPRsForWavesPerEU: 24
; NumVGPRsForWavesPerEU: 20
; Occupancy: 10
; WaveLimiterHint : 1
; COMPUTE_PGM_RSRC2:SCRATCH_EN: 0
; COMPUTE_PGM_RSRC2:USER_SGPR: 6
; COMPUTE_PGM_RSRC2:TRAP_HANDLER: 0
; COMPUTE_PGM_RSRC2:TGID_X_EN: 1
; COMPUTE_PGM_RSRC2:TGID_Y_EN: 0
; COMPUTE_PGM_RSRC2:TGID_Z_EN: 1
; COMPUTE_PGM_RSRC2:TIDIG_COMP_CNT: 1
	.section	.text._ZL9moe_vec_qIN3c108BFloat16ELi32ELi4E10block_q5_0Li2EXadL_ZL17vec_dot_q5_0_q8_1PKvPK10block_q8_1RKiEEEvS4_S4_PT_PS8_iiii,"axG",@progbits,_ZL9moe_vec_qIN3c108BFloat16ELi32ELi4E10block_q5_0Li2EXadL_ZL17vec_dot_q5_0_q8_1PKvPK10block_q8_1RKiEEEvS4_S4_PT_PS8_iiii,comdat
	.globl	_ZL9moe_vec_qIN3c108BFloat16ELi32ELi4E10block_q5_0Li2EXadL_ZL17vec_dot_q5_0_q8_1PKvPK10block_q8_1RKiEEEvS4_S4_PT_PS8_iiii ; -- Begin function _ZL9moe_vec_qIN3c108BFloat16ELi32ELi4E10block_q5_0Li2EXadL_ZL17vec_dot_q5_0_q8_1PKvPK10block_q8_1RKiEEEvS4_S4_PT_PS8_iiii
	.p2align	8
	.type	_ZL9moe_vec_qIN3c108BFloat16ELi32ELi4E10block_q5_0Li2EXadL_ZL17vec_dot_q5_0_q8_1PKvPK10block_q8_1RKiEEEvS4_S4_PT_PS8_iiii,@function
_ZL9moe_vec_qIN3c108BFloat16ELi32ELi4E10block_q5_0Li2EXadL_ZL17vec_dot_q5_0_q8_1PKvPK10block_q8_1RKiEEEvS4_S4_PT_PS8_iiii: ; @_ZL9moe_vec_qIN3c108BFloat16ELi32ELi4E10block_q5_0Li2EXadL_ZL17vec_dot_q5_0_q8_1PKvPK10block_q8_1RKiEEEvS4_S4_PT_PS8_iiii
; %bb.0:
	s_mov_b32 s8, s7
	s_load_dword s7, s[4:5], 0x3c
	s_load_dwordx4 s[0:3], s[4:5], 0x20
	s_waitcnt lgkmcnt(0)
	s_lshr_b32 s7, s7, 16
	s_mul_i32 s6, s6, s7
	v_add_u32_e32 v1, s6, v1
	v_cmp_gt_u32_e32 vcc, s2, v1
	s_and_saveexec_b64 s[6:7], vcc
	s_cbranch_execz .LBB277_7
; %bb.1:
	v_cvt_f32_u32_e32 v2, s0
	s_load_dwordx2 s[6:7], s[4:5], 0x10
	s_ashr_i32 s9, s1, 31
	s_lshr_b32 s9, s9, 27
	v_rcp_iflag_f32_e32 v3, v2
	s_add_i32 s1, s1, s9
	v_lshrrev_b32_e32 v2, 1, v0
	s_ashr_i32 s14, s1, 5
	v_mul_f32_e32 v3, 0x4f7ffffe, v3
	v_cvt_u32_f32_e32 v3, v3
	v_cmp_gt_u32_e32 vcc, s14, v2
	v_readfirstlane_b32 s1, v3
	v_mov_b32_e32 v3, 0
	s_and_saveexec_b64 s[10:11], vcc
	s_cbranch_execz .LBB277_5
; %bb.2:
	s_sub_i32 s12, 0, s0
	s_mul_i32 s15, s12, s1
	s_load_dwordx4 s[16:19], s[4:5], 0x0
	s_load_dwordx2 s[12:13], s[4:5], 0x18
	s_mov_b32 s9, 0
	s_mul_hi_u32 s4, s1, s15
	s_add_i32 s1, s1, s4
	s_lshl_b64 s[4:5], s[8:9], 2
	s_waitcnt lgkmcnt(0)
	s_add_u32 s4, s12, s4
	s_mul_hi_u32 s1, s8, s1
	s_addc_u32 s5, s13, s5
	s_load_dword s4, s[4:5], 0x0
	s_mul_i32 s5, s1, s0
	s_sub_i32 s5, s8, s5
	s_add_i32 s12, s1, 1
	s_sub_i32 s13, s5, s0
	s_cmp_ge_u32 s5, s0
	s_cselect_b32 s1, s12, s1
	s_cselect_b32 s5, s13, s5
	s_add_i32 s12, s1, 1
	s_cmp_ge_u32 s5, s0
	s_mul_i32 s0, s14, s2
	s_waitcnt lgkmcnt(0)
	s_mul_i32 s0, s0, s4
	s_cselect_b32 s5, s12, s1
	s_mul_hi_i32 s1, s0, 22
	s_mul_i32 s0, s0, 22
	s_add_u32 s0, s16, s0
	s_mul_i32 s4, s5, s3
	s_mov_b32 s5, s9
	v_mul_lo_u32 v4, v1, s14
	s_addc_u32 s1, s17, s1
	s_lshl_b64 s[4:5], s[4:5], 2
	v_lshlrev_b32_e32 v3, 3, v0
	s_add_u32 s4, s18, s4
	v_and_b32_e32 v5, 8, v3
	s_addc_u32 s5, s19, s5
	v_mov_b32_e32 v3, 0
	v_or_b32_e32 v6, 4, v5
	s_mov_b64 s[12:13], 0
.LBB277_3:                              ; =>This Inner Loop Header: Depth=1
	v_mad_i64_i32 v[7:8], s[16:17], v2, 36, s[4:5]
	v_add_u32_e32 v9, v4, v2
	v_mad_i64_i32 v[9:10], s[16:17], v9, 22, s[0:1]
	v_add_co_u32_e32 v11, vcc, v7, v5
	v_addc_co_u32_e32 v12, vcc, 0, v8, vcc
	v_add_co_u32_e32 v13, vcc, v9, v5
	v_addc_co_u32_e32 v14, vcc, 0, v10, vcc
	global_load_dword v17, v[9:10], off offset:2
	global_load_ushort v18, v[9:10], off
	global_load_dwordx2 v[15:16], v[13:14], off offset:6
	v_add_u32_e32 v2, 32, v2
	v_cmp_le_u32_e32 vcc, s14, v2
	s_or_b64 s[12:13], vcc, s[12:13]
	s_waitcnt vmcnt(2)
	v_ashrrev_i32_e32 v19, v5, v17
	v_lshlrev_b32_e32 v10, 4, v19
	v_lshlrev_b32_e32 v13, 11, v19
	v_lshrrev_b32_e32 v14, 12, v19
	v_lshrrev_b32_e32 v20, 5, v19
	v_lshlrev_b32_e32 v21, 2, v19
	v_ashrrev_i32_e32 v17, v6, v17
	s_waitcnt vmcnt(0)
	v_and_b32_e32 v9, 0xf0f0f0f, v15
	v_and_b32_e32 v10, 16, v10
	;; [unrolled: 1-line block ×6, first 2 shown]
	v_or3_b32 v9, v10, v9, v13
	v_lshlrev_b32_e32 v10, 4, v17
	v_lshlrev_b32_e32 v13, 11, v17
	v_or3_b32 v20, v20, v14, v21
	v_lshlrev_b32_e32 v14, 18, v17
	v_and_b32_e32 v10, 16, v10
	v_and_b32_e32 v13, 0x1000, v13
	;; [unrolled: 1-line block ×3, first 2 shown]
	v_lshrrev_b32_e32 v21, 12, v17
	v_or3_b32 v22, v13, v10, v14
	v_lshrrev_b32_e32 v10, 5, v17
	v_lshlrev_b32_e32 v13, 2, v17
	v_and_b32_e32 v14, 16, v21
	v_and_b32_e32 v10, 0x1000, v10
	;; [unrolled: 1-line block ×3, first 2 shown]
	v_or3_b32 v21, v10, v14, v13
	v_lshlrev_b32_e32 v10, 18, v19
	v_lshlrev_b32_e32 v13, 25, v19
	v_and_b32_e32 v10, 0x100000, v10
	v_and_b32_e32 v13, 0x10000000, v13
	v_or3_b32 v23, v9, v10, v13
	global_load_dwordx2 v[9:10], v[11:12], off offset:4
	global_load_dwordx2 v[13:14], v[11:12], off offset:20
	global_load_dword v24, v[7:8], off
	v_lshrrev_b32_e32 v7, 4, v15
	v_lshlrev_b32_e32 v8, 9, v19
	v_and_b32_e32 v7, 0xf0f0f0f, v7
	v_and_b32_e32 v8, 0x10000000, v8
	v_lshlrev_b32_e32 v15, 25, v17
	v_or3_b32 v7, v20, v8, v7
	v_and_b32_e32 v11, 0xf0f0f0f, v16
	v_lshrrev_b32_e32 v12, 4, v16
	v_lshlrev_b32_e32 v16, 9, v17
	v_and_b32_e32 v15, 0x10000000, v15
	v_and_b32_e32 v12, 0xf0f0f0f, v12
	;; [unrolled: 1-line block ×3, first 2 shown]
	v_or3_b32 v11, v22, v15, v11
	v_or3_b32 v12, v21, v16, v12
	s_waitcnt vmcnt(2)
	v_dot4_i32_i8 v9, v23, v9, 0
	s_waitcnt vmcnt(1)
	v_dot4_i32_i8 v7, v7, v13, v9
	v_dot4_i32_i8 v7, v11, v10, v7
	s_waitcnt vmcnt(0)
	v_cvt_f32_f16_sdwa v8, v24 dst_sel:DWORD dst_unused:UNUSED_PAD src0_sel:WORD_1
	v_dot4_i32_i8 v7, v12, v14, v7
	v_cvt_f32_i32_e32 v7, v7
	v_mul_f32_e32 v8, 0xc1000000, v8
	v_fma_mix_f32 v7, v24, v7, v8 op_sel_hi:[1,0,0]
	v_fma_mix_f32 v3, v7, v18, v3 op_sel_hi:[0,1,0]
	s_andn2_b64 exec, exec, s[12:13]
	s_cbranch_execnz .LBB277_3
; %bb.4:
	s_or_b64 exec, exec, s[12:13]
.LBB277_5:
	s_or_b64 exec, exec, s[10:11]
	v_mbcnt_lo_u32_b32 v2, -1, 0
	v_mbcnt_hi_u32_b32 v4, -1, v2
	v_and_b32_e32 v2, 64, v4
	v_add_u32_e32 v5, 64, v2
	v_xor_b32_e32 v2, 32, v4
	v_cmp_lt_i32_e32 vcc, v2, v5
	v_cndmask_b32_e32 v2, v4, v2, vcc
	v_lshlrev_b32_e32 v2, 2, v2
	ds_bpermute_b32 v2, v2, v3
	v_xor_b32_e32 v6, 16, v4
	v_cmp_lt_i32_e32 vcc, v6, v5
	s_waitcnt lgkmcnt(0)
	v_add_f32_e32 v2, v3, v2
	v_cndmask_b32_e32 v3, v4, v6, vcc
	v_lshlrev_b32_e32 v3, 2, v3
	ds_bpermute_b32 v3, v3, v2
	v_xor_b32_e32 v6, 8, v4
	v_cmp_lt_i32_e32 vcc, v6, v5
	s_waitcnt lgkmcnt(0)
	v_add_f32_e32 v2, v2, v3
	;; [unrolled: 7-line block ×5, first 2 shown]
	v_cndmask_b32_e32 v3, v4, v6, vcc
	v_lshlrev_b32_e32 v3, 2, v3
	ds_bpermute_b32 v3, v3, v2
	v_cmp_eq_u32_e32 vcc, 0, v0
	s_and_b64 exec, exec, vcc
	s_cbranch_execz .LBB277_7
; %bb.6:
	s_waitcnt lgkmcnt(0)
	v_add_f32_e32 v0, v2, v3
	v_bfe_u32 v2, v0, 16, 1
	s_movk_i32 s0, 0x7fff
	v_add3_u32 v2, v0, v2, s0
	v_cmp_o_f32_e32 vcc, v0, v0
	v_mov_b32_e32 v0, 0x7fc0
	s_mul_i32 s0, s2, s8
	v_cndmask_b32_sdwa v2, v0, v2, vcc dst_sel:DWORD dst_unused:UNUSED_PAD src0_sel:DWORD src1_sel:WORD_1
	v_add_u32_e32 v0, s0, v1
	v_mov_b32_e32 v1, 0
	v_lshlrev_b64 v[0:1], 1, v[0:1]
	v_mov_b32_e32 v3, s7
	v_add_co_u32_e32 v0, vcc, s6, v0
	v_addc_co_u32_e32 v1, vcc, v3, v1, vcc
	global_store_short v[0:1], v2, off
.LBB277_7:
	s_endpgm
	.section	.rodata,"a",@progbits
	.p2align	6, 0x0
	.amdhsa_kernel _ZL9moe_vec_qIN3c108BFloat16ELi32ELi4E10block_q5_0Li2EXadL_ZL17vec_dot_q5_0_q8_1PKvPK10block_q8_1RKiEEEvS4_S4_PT_PS8_iiii
		.amdhsa_group_segment_fixed_size 0
		.amdhsa_private_segment_fixed_size 0
		.amdhsa_kernarg_size 304
		.amdhsa_user_sgpr_count 6
		.amdhsa_user_sgpr_private_segment_buffer 1
		.amdhsa_user_sgpr_dispatch_ptr 0
		.amdhsa_user_sgpr_queue_ptr 0
		.amdhsa_user_sgpr_kernarg_segment_ptr 1
		.amdhsa_user_sgpr_dispatch_id 0
		.amdhsa_user_sgpr_flat_scratch_init 0
		.amdhsa_user_sgpr_private_segment_size 0
		.amdhsa_uses_dynamic_stack 0
		.amdhsa_system_sgpr_private_segment_wavefront_offset 0
		.amdhsa_system_sgpr_workgroup_id_x 1
		.amdhsa_system_sgpr_workgroup_id_y 0
		.amdhsa_system_sgpr_workgroup_id_z 1
		.amdhsa_system_sgpr_workgroup_info 0
		.amdhsa_system_vgpr_workitem_id 1
		.amdhsa_next_free_vgpr 25
		.amdhsa_next_free_sgpr 20
		.amdhsa_reserve_vcc 1
		.amdhsa_reserve_flat_scratch 0
		.amdhsa_float_round_mode_32 0
		.amdhsa_float_round_mode_16_64 0
		.amdhsa_float_denorm_mode_32 3
		.amdhsa_float_denorm_mode_16_64 3
		.amdhsa_dx10_clamp 1
		.amdhsa_ieee_mode 1
		.amdhsa_fp16_overflow 0
		.amdhsa_exception_fp_ieee_invalid_op 0
		.amdhsa_exception_fp_denorm_src 0
		.amdhsa_exception_fp_ieee_div_zero 0
		.amdhsa_exception_fp_ieee_overflow 0
		.amdhsa_exception_fp_ieee_underflow 0
		.amdhsa_exception_fp_ieee_inexact 0
		.amdhsa_exception_int_div_zero 0
	.end_amdhsa_kernel
	.section	.text._ZL9moe_vec_qIN3c108BFloat16ELi32ELi4E10block_q5_0Li2EXadL_ZL17vec_dot_q5_0_q8_1PKvPK10block_q8_1RKiEEEvS4_S4_PT_PS8_iiii,"axG",@progbits,_ZL9moe_vec_qIN3c108BFloat16ELi32ELi4E10block_q5_0Li2EXadL_ZL17vec_dot_q5_0_q8_1PKvPK10block_q8_1RKiEEEvS4_S4_PT_PS8_iiii,comdat
.Lfunc_end277:
	.size	_ZL9moe_vec_qIN3c108BFloat16ELi32ELi4E10block_q5_0Li2EXadL_ZL17vec_dot_q5_0_q8_1PKvPK10block_q8_1RKiEEEvS4_S4_PT_PS8_iiii, .Lfunc_end277-_ZL9moe_vec_qIN3c108BFloat16ELi32ELi4E10block_q5_0Li2EXadL_ZL17vec_dot_q5_0_q8_1PKvPK10block_q8_1RKiEEEvS4_S4_PT_PS8_iiii
                                        ; -- End function
	.set _ZL9moe_vec_qIN3c108BFloat16ELi32ELi4E10block_q5_0Li2EXadL_ZL17vec_dot_q5_0_q8_1PKvPK10block_q8_1RKiEEEvS4_S4_PT_PS8_iiii.num_vgpr, 25
	.set _ZL9moe_vec_qIN3c108BFloat16ELi32ELi4E10block_q5_0Li2EXadL_ZL17vec_dot_q5_0_q8_1PKvPK10block_q8_1RKiEEEvS4_S4_PT_PS8_iiii.num_agpr, 0
	.set _ZL9moe_vec_qIN3c108BFloat16ELi32ELi4E10block_q5_0Li2EXadL_ZL17vec_dot_q5_0_q8_1PKvPK10block_q8_1RKiEEEvS4_S4_PT_PS8_iiii.numbered_sgpr, 20
	.set _ZL9moe_vec_qIN3c108BFloat16ELi32ELi4E10block_q5_0Li2EXadL_ZL17vec_dot_q5_0_q8_1PKvPK10block_q8_1RKiEEEvS4_S4_PT_PS8_iiii.num_named_barrier, 0
	.set _ZL9moe_vec_qIN3c108BFloat16ELi32ELi4E10block_q5_0Li2EXadL_ZL17vec_dot_q5_0_q8_1PKvPK10block_q8_1RKiEEEvS4_S4_PT_PS8_iiii.private_seg_size, 0
	.set _ZL9moe_vec_qIN3c108BFloat16ELi32ELi4E10block_q5_0Li2EXadL_ZL17vec_dot_q5_0_q8_1PKvPK10block_q8_1RKiEEEvS4_S4_PT_PS8_iiii.uses_vcc, 1
	.set _ZL9moe_vec_qIN3c108BFloat16ELi32ELi4E10block_q5_0Li2EXadL_ZL17vec_dot_q5_0_q8_1PKvPK10block_q8_1RKiEEEvS4_S4_PT_PS8_iiii.uses_flat_scratch, 0
	.set _ZL9moe_vec_qIN3c108BFloat16ELi32ELi4E10block_q5_0Li2EXadL_ZL17vec_dot_q5_0_q8_1PKvPK10block_q8_1RKiEEEvS4_S4_PT_PS8_iiii.has_dyn_sized_stack, 0
	.set _ZL9moe_vec_qIN3c108BFloat16ELi32ELi4E10block_q5_0Li2EXadL_ZL17vec_dot_q5_0_q8_1PKvPK10block_q8_1RKiEEEvS4_S4_PT_PS8_iiii.has_recursion, 0
	.set _ZL9moe_vec_qIN3c108BFloat16ELi32ELi4E10block_q5_0Li2EXadL_ZL17vec_dot_q5_0_q8_1PKvPK10block_q8_1RKiEEEvS4_S4_PT_PS8_iiii.has_indirect_call, 0
	.section	.AMDGPU.csdata,"",@progbits
; Kernel info:
; codeLenInByte = 1096
; TotalNumSgprs: 24
; NumVgprs: 25
; ScratchSize: 0
; MemoryBound: 0
; FloatMode: 240
; IeeeMode: 1
; LDSByteSize: 0 bytes/workgroup (compile time only)
; SGPRBlocks: 2
; VGPRBlocks: 6
; NumSGPRsForWavesPerEU: 24
; NumVGPRsForWavesPerEU: 25
; Occupancy: 9
; WaveLimiterHint : 1
; COMPUTE_PGM_RSRC2:SCRATCH_EN: 0
; COMPUTE_PGM_RSRC2:USER_SGPR: 6
; COMPUTE_PGM_RSRC2:TRAP_HANDLER: 0
; COMPUTE_PGM_RSRC2:TGID_X_EN: 1
; COMPUTE_PGM_RSRC2:TGID_Y_EN: 0
; COMPUTE_PGM_RSRC2:TGID_Z_EN: 1
; COMPUTE_PGM_RSRC2:TIDIG_COMP_CNT: 1
	.section	.text._ZL9moe_vec_qIN3c108BFloat16ELi32ELi4E10block_q5_1Li2EXadL_ZL17vec_dot_q5_1_q8_1PKvPK10block_q8_1RKiEEEvS4_S4_PT_PS8_iiii,"axG",@progbits,_ZL9moe_vec_qIN3c108BFloat16ELi32ELi4E10block_q5_1Li2EXadL_ZL17vec_dot_q5_1_q8_1PKvPK10block_q8_1RKiEEEvS4_S4_PT_PS8_iiii,comdat
	.globl	_ZL9moe_vec_qIN3c108BFloat16ELi32ELi4E10block_q5_1Li2EXadL_ZL17vec_dot_q5_1_q8_1PKvPK10block_q8_1RKiEEEvS4_S4_PT_PS8_iiii ; -- Begin function _ZL9moe_vec_qIN3c108BFloat16ELi32ELi4E10block_q5_1Li2EXadL_ZL17vec_dot_q5_1_q8_1PKvPK10block_q8_1RKiEEEvS4_S4_PT_PS8_iiii
	.p2align	8
	.type	_ZL9moe_vec_qIN3c108BFloat16ELi32ELi4E10block_q5_1Li2EXadL_ZL17vec_dot_q5_1_q8_1PKvPK10block_q8_1RKiEEEvS4_S4_PT_PS8_iiii,@function
_ZL9moe_vec_qIN3c108BFloat16ELi32ELi4E10block_q5_1Li2EXadL_ZL17vec_dot_q5_1_q8_1PKvPK10block_q8_1RKiEEEvS4_S4_PT_PS8_iiii: ; @_ZL9moe_vec_qIN3c108BFloat16ELi32ELi4E10block_q5_1Li2EXadL_ZL17vec_dot_q5_1_q8_1PKvPK10block_q8_1RKiEEEvS4_S4_PT_PS8_iiii
; %bb.0:
	s_mov_b32 s8, s7
	s_load_dword s7, s[4:5], 0x3c
	s_load_dwordx4 s[0:3], s[4:5], 0x20
	s_waitcnt lgkmcnt(0)
	s_lshr_b32 s7, s7, 16
	s_mul_i32 s6, s6, s7
	v_add_u32_e32 v1, s6, v1
	v_cmp_gt_u32_e32 vcc, s2, v1
	s_and_saveexec_b64 s[6:7], vcc
	s_cbranch_execz .LBB278_7
; %bb.1:
	v_cvt_f32_u32_e32 v2, s0
	s_load_dwordx2 s[6:7], s[4:5], 0x10
	s_ashr_i32 s9, s1, 31
	s_lshr_b32 s9, s9, 27
	v_rcp_iflag_f32_e32 v3, v2
	s_add_i32 s1, s1, s9
	v_lshrrev_b32_e32 v2, 1, v0
	s_ashr_i32 s14, s1, 5
	v_mul_f32_e32 v3, 0x4f7ffffe, v3
	v_cvt_u32_f32_e32 v3, v3
	v_cmp_gt_u32_e32 vcc, s14, v2
	v_readfirstlane_b32 s1, v3
	v_mov_b32_e32 v3, 0
	s_and_saveexec_b64 s[10:11], vcc
	s_cbranch_execz .LBB278_5
; %bb.2:
	s_sub_i32 s12, 0, s0
	s_mul_i32 s15, s12, s1
	s_load_dwordx4 s[16:19], s[4:5], 0x0
	s_load_dwordx2 s[12:13], s[4:5], 0x18
	s_mov_b32 s9, 0
	s_mul_hi_u32 s4, s1, s15
	s_add_i32 s1, s1, s4
	s_lshl_b64 s[4:5], s[8:9], 2
	s_waitcnt lgkmcnt(0)
	s_add_u32 s4, s12, s4
	s_mul_hi_u32 s1, s8, s1
	s_addc_u32 s5, s13, s5
	s_load_dword s4, s[4:5], 0x0
	s_mul_i32 s5, s1, s0
	s_sub_i32 s5, s8, s5
	s_add_i32 s12, s1, 1
	s_sub_i32 s13, s5, s0
	s_cmp_ge_u32 s5, s0
	s_cselect_b32 s1, s12, s1
	s_cselect_b32 s5, s13, s5
	s_add_i32 s12, s1, 1
	s_cmp_ge_u32 s5, s0
	s_mul_i32 s0, s14, s2
	s_waitcnt lgkmcnt(0)
	s_mul_i32 s0, s0, s4
	s_cselect_b32 s5, s12, s1
	s_mul_hi_i32 s1, s0, 24
	s_mul_i32 s0, s0, 24
	s_add_u32 s0, s16, s0
	s_mul_i32 s4, s5, s3
	s_mov_b32 s5, s9
	v_mul_lo_u32 v4, v1, s14
	s_addc_u32 s1, s17, s1
	s_lshl_b64 s[4:5], s[4:5], 2
	v_lshlrev_b32_e32 v3, 3, v0
	s_add_u32 s4, s18, s4
	v_and_b32_e32 v5, 8, v3
	s_addc_u32 s5, s19, s5
	v_mov_b32_e32 v3, 0
	v_or_b32_e32 v6, 4, v5
	s_mov_b64 s[12:13], 0
.LBB278_3:                              ; =>This Inner Loop Header: Depth=1
	v_mad_i64_i32 v[7:8], s[16:17], v2, 36, s[4:5]
	v_add_u32_e32 v9, v4, v2
	v_mad_i64_i32 v[9:10], s[16:17], v9, 24, s[0:1]
	v_add_co_u32_e32 v11, vcc, v7, v5
	v_addc_co_u32_e32 v12, vcc, 0, v8, vcc
	global_load_dwordx2 v[13:14], v[9:10], off
	v_add_co_u32_e32 v9, vcc, v9, v5
	v_addc_co_u32_e32 v10, vcc, 0, v10, vcc
	global_load_dwordx2 v[15:16], v[11:12], off offset:4
	global_load_dwordx2 v[17:18], v[11:12], off offset:20
	;; [unrolled: 1-line block ×3, first 2 shown]
	global_load_dword v21, v[7:8], off
	v_add_u32_e32 v2, 32, v2
	v_cmp_le_u32_e32 vcc, s14, v2
	s_or_b64 s[12:13], vcc, s[12:13]
	s_waitcnt vmcnt(4)
	v_ashrrev_i32_e32 v7, v5, v14
	v_ashrrev_i32_e32 v8, v6, v14
	v_lshlrev_b32_e32 v11, 4, v7
	v_lshlrev_b32_e32 v12, 11, v7
	v_lshrrev_b32_e32 v14, 5, v7
	s_waitcnt vmcnt(0)
	v_pk_mul_f16 v9, v13, v21
	v_lshrrev_b32_e32 v13, 12, v7
	v_lshlrev_b32_e32 v21, 2, v7
	v_and_b32_e32 v10, 0xf0f0f0f, v19
	v_and_b32_e32 v11, 16, v11
	v_and_b32_e32 v12, 0x1000, v12
	v_and_b32_e32 v13, 16, v13
	v_and_b32_e32 v14, 0x1000, v14
	v_and_b32_e32 v21, 0x100000, v21
	v_or3_b32 v10, v11, v10, v12
	v_lshlrev_b32_e32 v11, 4, v8
	v_lshlrev_b32_e32 v12, 11, v8
	v_or3_b32 v13, v14, v13, v21
	v_lshlrev_b32_e32 v14, 18, v8
	v_and_b32_e32 v11, 16, v11
	v_and_b32_e32 v12, 0x1000, v12
	;; [unrolled: 1-line block ×3, first 2 shown]
	v_lshrrev_b32_e32 v21, 12, v8
	v_or3_b32 v11, v12, v11, v14
	v_lshrrev_b32_e32 v12, 5, v8
	v_lshlrev_b32_e32 v14, 2, v8
	v_and_b32_e32 v21, 16, v21
	v_and_b32_e32 v12, 0x1000, v12
	;; [unrolled: 1-line block ×3, first 2 shown]
	v_or3_b32 v12, v12, v21, v14
	v_lshlrev_b32_e32 v14, 18, v7
	v_lshlrev_b32_e32 v21, 25, v7
	v_and_b32_e32 v14, 0x100000, v14
	v_and_b32_e32 v21, 0x10000000, v21
	v_or3_b32 v10, v10, v14, v21
	v_lshrrev_b32_e32 v14, 4, v19
	v_lshlrev_b32_e32 v7, 9, v7
	v_lshlrev_b32_e32 v21, 25, v8
	v_and_b32_e32 v14, 0xf0f0f0f, v14
	v_and_b32_e32 v7, 0x10000000, v7
	;; [unrolled: 1-line block ×3, first 2 shown]
	v_lshrrev_b32_e32 v20, 4, v20
	v_lshlrev_b32_e32 v8, 9, v8
	v_or3_b32 v7, v13, v7, v14
	v_and_b32_e32 v14, 0x10000000, v21
	v_dot4_i32_i8 v10, v10, v15, 0
	v_and_b32_e32 v20, 0xf0f0f0f, v20
	v_and_b32_e32 v8, 0x10000000, v8
	v_or3_b32 v11, v11, v14, v19
	v_dot4_i32_i8 v7, v7, v17, v10
	v_or3_b32 v8, v12, v8, v20
	v_dot4_i32_i8 v7, v11, v16, v7
	v_cvt_f32_f16_sdwa v13, v9 dst_sel:DWORD dst_unused:UNUSED_PAD src0_sel:WORD_1
	v_dot4_i32_i8 v7, v8, v18, v7
	v_cvt_f32_i32_e32 v7, v7
	v_mul_f32_e32 v8, 0.5, v13
	v_fma_mix_f32 v7, v7, v9, v8 op_sel_hi:[0,1,0]
	v_add_f32_e32 v3, v3, v7
	s_andn2_b64 exec, exec, s[12:13]
	s_cbranch_execnz .LBB278_3
; %bb.4:
	s_or_b64 exec, exec, s[12:13]
.LBB278_5:
	s_or_b64 exec, exec, s[10:11]
	v_mbcnt_lo_u32_b32 v2, -1, 0
	v_mbcnt_hi_u32_b32 v4, -1, v2
	v_and_b32_e32 v2, 64, v4
	v_add_u32_e32 v5, 64, v2
	v_xor_b32_e32 v2, 32, v4
	v_cmp_lt_i32_e32 vcc, v2, v5
	v_cndmask_b32_e32 v2, v4, v2, vcc
	v_lshlrev_b32_e32 v2, 2, v2
	ds_bpermute_b32 v2, v2, v3
	v_xor_b32_e32 v6, 16, v4
	v_cmp_lt_i32_e32 vcc, v6, v5
	s_waitcnt lgkmcnt(0)
	v_add_f32_e32 v2, v3, v2
	v_cndmask_b32_e32 v3, v4, v6, vcc
	v_lshlrev_b32_e32 v3, 2, v3
	ds_bpermute_b32 v3, v3, v2
	v_xor_b32_e32 v6, 8, v4
	v_cmp_lt_i32_e32 vcc, v6, v5
	s_waitcnt lgkmcnt(0)
	v_add_f32_e32 v2, v2, v3
	;; [unrolled: 7-line block ×5, first 2 shown]
	v_cndmask_b32_e32 v3, v4, v6, vcc
	v_lshlrev_b32_e32 v3, 2, v3
	ds_bpermute_b32 v3, v3, v2
	v_cmp_eq_u32_e32 vcc, 0, v0
	s_and_b64 exec, exec, vcc
	s_cbranch_execz .LBB278_7
; %bb.6:
	s_waitcnt lgkmcnt(0)
	v_add_f32_e32 v0, v2, v3
	v_bfe_u32 v2, v0, 16, 1
	s_movk_i32 s0, 0x7fff
	v_add3_u32 v2, v0, v2, s0
	v_cmp_o_f32_e32 vcc, v0, v0
	v_mov_b32_e32 v0, 0x7fc0
	s_mul_i32 s0, s2, s8
	v_cndmask_b32_sdwa v2, v0, v2, vcc dst_sel:DWORD dst_unused:UNUSED_PAD src0_sel:DWORD src1_sel:WORD_1
	v_add_u32_e32 v0, s0, v1
	v_mov_b32_e32 v1, 0
	v_lshlrev_b64 v[0:1], 1, v[0:1]
	v_mov_b32_e32 v3, s7
	v_add_co_u32_e32 v0, vcc, s6, v0
	v_addc_co_u32_e32 v1, vcc, v3, v1, vcc
	global_store_short v[0:1], v2, off
.LBB278_7:
	s_endpgm
	.section	.rodata,"a",@progbits
	.p2align	6, 0x0
	.amdhsa_kernel _ZL9moe_vec_qIN3c108BFloat16ELi32ELi4E10block_q5_1Li2EXadL_ZL17vec_dot_q5_1_q8_1PKvPK10block_q8_1RKiEEEvS4_S4_PT_PS8_iiii
		.amdhsa_group_segment_fixed_size 0
		.amdhsa_private_segment_fixed_size 0
		.amdhsa_kernarg_size 304
		.amdhsa_user_sgpr_count 6
		.amdhsa_user_sgpr_private_segment_buffer 1
		.amdhsa_user_sgpr_dispatch_ptr 0
		.amdhsa_user_sgpr_queue_ptr 0
		.amdhsa_user_sgpr_kernarg_segment_ptr 1
		.amdhsa_user_sgpr_dispatch_id 0
		.amdhsa_user_sgpr_flat_scratch_init 0
		.amdhsa_user_sgpr_private_segment_size 0
		.amdhsa_uses_dynamic_stack 0
		.amdhsa_system_sgpr_private_segment_wavefront_offset 0
		.amdhsa_system_sgpr_workgroup_id_x 1
		.amdhsa_system_sgpr_workgroup_id_y 0
		.amdhsa_system_sgpr_workgroup_id_z 1
		.amdhsa_system_sgpr_workgroup_info 0
		.amdhsa_system_vgpr_workitem_id 1
		.amdhsa_next_free_vgpr 22
		.amdhsa_next_free_sgpr 20
		.amdhsa_reserve_vcc 1
		.amdhsa_reserve_flat_scratch 0
		.amdhsa_float_round_mode_32 0
		.amdhsa_float_round_mode_16_64 0
		.amdhsa_float_denorm_mode_32 3
		.amdhsa_float_denorm_mode_16_64 3
		.amdhsa_dx10_clamp 1
		.amdhsa_ieee_mode 1
		.amdhsa_fp16_overflow 0
		.amdhsa_exception_fp_ieee_invalid_op 0
		.amdhsa_exception_fp_denorm_src 0
		.amdhsa_exception_fp_ieee_div_zero 0
		.amdhsa_exception_fp_ieee_overflow 0
		.amdhsa_exception_fp_ieee_underflow 0
		.amdhsa_exception_fp_ieee_inexact 0
		.amdhsa_exception_int_div_zero 0
	.end_amdhsa_kernel
	.section	.text._ZL9moe_vec_qIN3c108BFloat16ELi32ELi4E10block_q5_1Li2EXadL_ZL17vec_dot_q5_1_q8_1PKvPK10block_q8_1RKiEEEvS4_S4_PT_PS8_iiii,"axG",@progbits,_ZL9moe_vec_qIN3c108BFloat16ELi32ELi4E10block_q5_1Li2EXadL_ZL17vec_dot_q5_1_q8_1PKvPK10block_q8_1RKiEEEvS4_S4_PT_PS8_iiii,comdat
.Lfunc_end278:
	.size	_ZL9moe_vec_qIN3c108BFloat16ELi32ELi4E10block_q5_1Li2EXadL_ZL17vec_dot_q5_1_q8_1PKvPK10block_q8_1RKiEEEvS4_S4_PT_PS8_iiii, .Lfunc_end278-_ZL9moe_vec_qIN3c108BFloat16ELi32ELi4E10block_q5_1Li2EXadL_ZL17vec_dot_q5_1_q8_1PKvPK10block_q8_1RKiEEEvS4_S4_PT_PS8_iiii
                                        ; -- End function
	.set _ZL9moe_vec_qIN3c108BFloat16ELi32ELi4E10block_q5_1Li2EXadL_ZL17vec_dot_q5_1_q8_1PKvPK10block_q8_1RKiEEEvS4_S4_PT_PS8_iiii.num_vgpr, 22
	.set _ZL9moe_vec_qIN3c108BFloat16ELi32ELi4E10block_q5_1Li2EXadL_ZL17vec_dot_q5_1_q8_1PKvPK10block_q8_1RKiEEEvS4_S4_PT_PS8_iiii.num_agpr, 0
	.set _ZL9moe_vec_qIN3c108BFloat16ELi32ELi4E10block_q5_1Li2EXadL_ZL17vec_dot_q5_1_q8_1PKvPK10block_q8_1RKiEEEvS4_S4_PT_PS8_iiii.numbered_sgpr, 20
	.set _ZL9moe_vec_qIN3c108BFloat16ELi32ELi4E10block_q5_1Li2EXadL_ZL17vec_dot_q5_1_q8_1PKvPK10block_q8_1RKiEEEvS4_S4_PT_PS8_iiii.num_named_barrier, 0
	.set _ZL9moe_vec_qIN3c108BFloat16ELi32ELi4E10block_q5_1Li2EXadL_ZL17vec_dot_q5_1_q8_1PKvPK10block_q8_1RKiEEEvS4_S4_PT_PS8_iiii.private_seg_size, 0
	.set _ZL9moe_vec_qIN3c108BFloat16ELi32ELi4E10block_q5_1Li2EXadL_ZL17vec_dot_q5_1_q8_1PKvPK10block_q8_1RKiEEEvS4_S4_PT_PS8_iiii.uses_vcc, 1
	.set _ZL9moe_vec_qIN3c108BFloat16ELi32ELi4E10block_q5_1Li2EXadL_ZL17vec_dot_q5_1_q8_1PKvPK10block_q8_1RKiEEEvS4_S4_PT_PS8_iiii.uses_flat_scratch, 0
	.set _ZL9moe_vec_qIN3c108BFloat16ELi32ELi4E10block_q5_1Li2EXadL_ZL17vec_dot_q5_1_q8_1PKvPK10block_q8_1RKiEEEvS4_S4_PT_PS8_iiii.has_dyn_sized_stack, 0
	.set _ZL9moe_vec_qIN3c108BFloat16ELi32ELi4E10block_q5_1Li2EXadL_ZL17vec_dot_q5_1_q8_1PKvPK10block_q8_1RKiEEEvS4_S4_PT_PS8_iiii.has_recursion, 0
	.set _ZL9moe_vec_qIN3c108BFloat16ELi32ELi4E10block_q5_1Li2EXadL_ZL17vec_dot_q5_1_q8_1PKvPK10block_q8_1RKiEEEvS4_S4_PT_PS8_iiii.has_indirect_call, 0
	.section	.AMDGPU.csdata,"",@progbits
; Kernel info:
; codeLenInByte = 1076
; TotalNumSgprs: 24
; NumVgprs: 22
; ScratchSize: 0
; MemoryBound: 0
; FloatMode: 240
; IeeeMode: 1
; LDSByteSize: 0 bytes/workgroup (compile time only)
; SGPRBlocks: 2
; VGPRBlocks: 5
; NumSGPRsForWavesPerEU: 24
; NumVGPRsForWavesPerEU: 22
; Occupancy: 10
; WaveLimiterHint : 1
; COMPUTE_PGM_RSRC2:SCRATCH_EN: 0
; COMPUTE_PGM_RSRC2:USER_SGPR: 6
; COMPUTE_PGM_RSRC2:TRAP_HANDLER: 0
; COMPUTE_PGM_RSRC2:TGID_X_EN: 1
; COMPUTE_PGM_RSRC2:TGID_Y_EN: 0
; COMPUTE_PGM_RSRC2:TGID_Z_EN: 1
; COMPUTE_PGM_RSRC2:TIDIG_COMP_CNT: 1
	.section	.text._ZL9moe_vec_qIN3c108BFloat16ELi32ELi8E10block_q8_0Li2EXadL_ZL17vec_dot_q8_0_q8_1PKvPK10block_q8_1RKiEEEvS4_S4_PT_PS8_iiii,"axG",@progbits,_ZL9moe_vec_qIN3c108BFloat16ELi32ELi8E10block_q8_0Li2EXadL_ZL17vec_dot_q8_0_q8_1PKvPK10block_q8_1RKiEEEvS4_S4_PT_PS8_iiii,comdat
	.globl	_ZL9moe_vec_qIN3c108BFloat16ELi32ELi8E10block_q8_0Li2EXadL_ZL17vec_dot_q8_0_q8_1PKvPK10block_q8_1RKiEEEvS4_S4_PT_PS8_iiii ; -- Begin function _ZL9moe_vec_qIN3c108BFloat16ELi32ELi8E10block_q8_0Li2EXadL_ZL17vec_dot_q8_0_q8_1PKvPK10block_q8_1RKiEEEvS4_S4_PT_PS8_iiii
	.p2align	8
	.type	_ZL9moe_vec_qIN3c108BFloat16ELi32ELi8E10block_q8_0Li2EXadL_ZL17vec_dot_q8_0_q8_1PKvPK10block_q8_1RKiEEEvS4_S4_PT_PS8_iiii,@function
_ZL9moe_vec_qIN3c108BFloat16ELi32ELi8E10block_q8_0Li2EXadL_ZL17vec_dot_q8_0_q8_1PKvPK10block_q8_1RKiEEEvS4_S4_PT_PS8_iiii: ; @_ZL9moe_vec_qIN3c108BFloat16ELi32ELi8E10block_q8_0Li2EXadL_ZL17vec_dot_q8_0_q8_1PKvPK10block_q8_1RKiEEEvS4_S4_PT_PS8_iiii
; %bb.0:
	s_mov_b32 s8, s7
	s_load_dword s7, s[4:5], 0x3c
	s_load_dwordx4 s[0:3], s[4:5], 0x20
	s_waitcnt lgkmcnt(0)
	s_lshr_b32 s7, s7, 16
	s_mul_i32 s6, s6, s7
	v_add_u32_e32 v1, s6, v1
	v_cmp_gt_u32_e32 vcc, s2, v1
	s_and_saveexec_b64 s[6:7], vcc
	s_cbranch_execz .LBB279_7
; %bb.1:
	v_cvt_f32_u32_e32 v2, s0
	s_load_dwordx2 s[6:7], s[4:5], 0x10
	s_ashr_i32 s9, s1, 31
	s_lshr_b32 s9, s9, 27
	v_rcp_iflag_f32_e32 v3, v2
	s_add_i32 s1, s1, s9
	v_lshrrev_b32_e32 v2, 2, v0
	s_ashr_i32 s14, s1, 5
	v_mul_f32_e32 v3, 0x4f7ffffe, v3
	v_cvt_u32_f32_e32 v3, v3
	v_cmp_gt_u32_e32 vcc, s14, v2
	v_readfirstlane_b32 s1, v3
	v_mov_b32_e32 v3, 0
	s_and_saveexec_b64 s[10:11], vcc
	s_cbranch_execz .LBB279_5
; %bb.2:
	s_sub_i32 s12, 0, s0
	s_mul_i32 s15, s12, s1
	s_load_dwordx4 s[16:19], s[4:5], 0x0
	s_load_dwordx2 s[12:13], s[4:5], 0x18
	s_mov_b32 s9, 0
	s_mul_hi_u32 s4, s1, s15
	s_add_i32 s1, s1, s4
	s_lshl_b64 s[4:5], s[8:9], 2
	s_waitcnt lgkmcnt(0)
	s_add_u32 s4, s12, s4
	s_mul_hi_u32 s1, s8, s1
	s_addc_u32 s5, s13, s5
	s_load_dword s4, s[4:5], 0x0
	s_mul_i32 s5, s1, s0
	s_sub_i32 s5, s8, s5
	s_add_i32 s12, s1, 1
	s_sub_i32 s13, s5, s0
	s_cmp_ge_u32 s5, s0
	s_cselect_b32 s1, s12, s1
	s_cselect_b32 s5, s13, s5
	s_add_i32 s12, s1, 1
	s_cmp_ge_u32 s5, s0
	s_mul_i32 s0, s14, s2
	s_waitcnt lgkmcnt(0)
	s_mul_i32 s0, s0, s4
	s_cselect_b32 s5, s12, s1
	s_mul_hi_i32 s1, s0, 34
	s_mul_i32 s0, s0, 34
	s_add_u32 s0, s16, s0
	s_mul_i32 s4, s5, s3
	s_mov_b32 s5, s9
	v_mul_lo_u32 v4, v1, s14
	s_addc_u32 s1, s17, s1
	s_lshl_b64 s[4:5], s[4:5], 2
	s_add_u32 s4, s18, s4
	v_lshlrev_b32_e32 v3, 3, v0
	s_addc_u32 s5, s19, s5
	v_and_b32_e32 v5, 24, v3
	v_mov_b32_e32 v3, 0
	s_mov_b64 s[12:13], 0
.LBB279_3:                              ; =>This Inner Loop Header: Depth=1
	v_mad_i64_i32 v[6:7], s[16:17], v2, 36, s[4:5]
	v_add_u32_e32 v8, v4, v2
	v_mad_i64_i32 v[8:9], s[16:17], v8, 34, s[0:1]
	v_add_co_u32_e32 v10, vcc, v6, v5
	v_addc_co_u32_e32 v11, vcc, 0, v7, vcc
	global_load_dword v16, v[6:7], off
	v_add_co_u32_e32 v6, vcc, v8, v5
	v_addc_co_u32_e32 v7, vcc, 0, v9, vcc
	global_load_dwordx2 v[12:13], v[10:11], off offset:4
	global_load_dwordx2 v[14:15], v[6:7], off offset:2
	global_load_ushort v17, v[8:9], off
	v_add_u32_e32 v2, 16, v2
	v_cmp_le_u32_e32 vcc, s14, v2
	s_or_b64 s[12:13], vcc, s[12:13]
	s_waitcnt vmcnt(3)
	v_cvt_f32_f16_e32 v6, v16
	s_waitcnt vmcnt(1)
	v_dot4_i32_i8 v8, v14, v12, 0
	s_waitcnt vmcnt(0)
	v_cvt_f32_f16_e32 v7, v17
	v_dot4_i32_i8 v8, v15, v13, v8
	v_cvt_f32_i32_e32 v8, v8
	v_mul_f32_e32 v6, v7, v6
	v_fmac_f32_e32 v3, v6, v8
	s_andn2_b64 exec, exec, s[12:13]
	s_cbranch_execnz .LBB279_3
; %bb.4:
	s_or_b64 exec, exec, s[12:13]
.LBB279_5:
	s_or_b64 exec, exec, s[10:11]
	v_mbcnt_lo_u32_b32 v2, -1, 0
	v_mbcnt_hi_u32_b32 v4, -1, v2
	v_and_b32_e32 v2, 64, v4
	v_add_u32_e32 v5, 64, v2
	v_xor_b32_e32 v2, 32, v4
	v_cmp_lt_i32_e32 vcc, v2, v5
	v_cndmask_b32_e32 v2, v4, v2, vcc
	v_lshlrev_b32_e32 v2, 2, v2
	ds_bpermute_b32 v2, v2, v3
	v_xor_b32_e32 v6, 16, v4
	v_cmp_lt_i32_e32 vcc, v6, v5
	s_waitcnt lgkmcnt(0)
	v_add_f32_e32 v2, v3, v2
	v_cndmask_b32_e32 v3, v4, v6, vcc
	v_lshlrev_b32_e32 v3, 2, v3
	ds_bpermute_b32 v3, v3, v2
	v_xor_b32_e32 v6, 8, v4
	v_cmp_lt_i32_e32 vcc, v6, v5
	s_waitcnt lgkmcnt(0)
	v_add_f32_e32 v2, v2, v3
	;; [unrolled: 7-line block ×5, first 2 shown]
	v_cndmask_b32_e32 v3, v4, v6, vcc
	v_lshlrev_b32_e32 v3, 2, v3
	ds_bpermute_b32 v3, v3, v2
	v_cmp_eq_u32_e32 vcc, 0, v0
	s_and_b64 exec, exec, vcc
	s_cbranch_execz .LBB279_7
; %bb.6:
	s_waitcnt lgkmcnt(0)
	v_add_f32_e32 v0, v2, v3
	v_bfe_u32 v2, v0, 16, 1
	s_movk_i32 s0, 0x7fff
	v_add3_u32 v2, v0, v2, s0
	v_cmp_o_f32_e32 vcc, v0, v0
	v_mov_b32_e32 v0, 0x7fc0
	s_mul_i32 s0, s2, s8
	v_cndmask_b32_sdwa v2, v0, v2, vcc dst_sel:DWORD dst_unused:UNUSED_PAD src0_sel:DWORD src1_sel:WORD_1
	v_add_u32_e32 v0, s0, v1
	v_mov_b32_e32 v1, 0
	v_lshlrev_b64 v[0:1], 1, v[0:1]
	v_mov_b32_e32 v3, s7
	v_add_co_u32_e32 v0, vcc, s6, v0
	v_addc_co_u32_e32 v1, vcc, v3, v1, vcc
	global_store_short v[0:1], v2, off
.LBB279_7:
	s_endpgm
	.section	.rodata,"a",@progbits
	.p2align	6, 0x0
	.amdhsa_kernel _ZL9moe_vec_qIN3c108BFloat16ELi32ELi8E10block_q8_0Li2EXadL_ZL17vec_dot_q8_0_q8_1PKvPK10block_q8_1RKiEEEvS4_S4_PT_PS8_iiii
		.amdhsa_group_segment_fixed_size 0
		.amdhsa_private_segment_fixed_size 0
		.amdhsa_kernarg_size 304
		.amdhsa_user_sgpr_count 6
		.amdhsa_user_sgpr_private_segment_buffer 1
		.amdhsa_user_sgpr_dispatch_ptr 0
		.amdhsa_user_sgpr_queue_ptr 0
		.amdhsa_user_sgpr_kernarg_segment_ptr 1
		.amdhsa_user_sgpr_dispatch_id 0
		.amdhsa_user_sgpr_flat_scratch_init 0
		.amdhsa_user_sgpr_private_segment_size 0
		.amdhsa_uses_dynamic_stack 0
		.amdhsa_system_sgpr_private_segment_wavefront_offset 0
		.amdhsa_system_sgpr_workgroup_id_x 1
		.amdhsa_system_sgpr_workgroup_id_y 0
		.amdhsa_system_sgpr_workgroup_id_z 1
		.amdhsa_system_sgpr_workgroup_info 0
		.amdhsa_system_vgpr_workitem_id 1
		.amdhsa_next_free_vgpr 18
		.amdhsa_next_free_sgpr 20
		.amdhsa_reserve_vcc 1
		.amdhsa_reserve_flat_scratch 0
		.amdhsa_float_round_mode_32 0
		.amdhsa_float_round_mode_16_64 0
		.amdhsa_float_denorm_mode_32 3
		.amdhsa_float_denorm_mode_16_64 3
		.amdhsa_dx10_clamp 1
		.amdhsa_ieee_mode 1
		.amdhsa_fp16_overflow 0
		.amdhsa_exception_fp_ieee_invalid_op 0
		.amdhsa_exception_fp_denorm_src 0
		.amdhsa_exception_fp_ieee_div_zero 0
		.amdhsa_exception_fp_ieee_overflow 0
		.amdhsa_exception_fp_ieee_underflow 0
		.amdhsa_exception_fp_ieee_inexact 0
		.amdhsa_exception_int_div_zero 0
	.end_amdhsa_kernel
	.section	.text._ZL9moe_vec_qIN3c108BFloat16ELi32ELi8E10block_q8_0Li2EXadL_ZL17vec_dot_q8_0_q8_1PKvPK10block_q8_1RKiEEEvS4_S4_PT_PS8_iiii,"axG",@progbits,_ZL9moe_vec_qIN3c108BFloat16ELi32ELi8E10block_q8_0Li2EXadL_ZL17vec_dot_q8_0_q8_1PKvPK10block_q8_1RKiEEEvS4_S4_PT_PS8_iiii,comdat
.Lfunc_end279:
	.size	_ZL9moe_vec_qIN3c108BFloat16ELi32ELi8E10block_q8_0Li2EXadL_ZL17vec_dot_q8_0_q8_1PKvPK10block_q8_1RKiEEEvS4_S4_PT_PS8_iiii, .Lfunc_end279-_ZL9moe_vec_qIN3c108BFloat16ELi32ELi8E10block_q8_0Li2EXadL_ZL17vec_dot_q8_0_q8_1PKvPK10block_q8_1RKiEEEvS4_S4_PT_PS8_iiii
                                        ; -- End function
	.set _ZL9moe_vec_qIN3c108BFloat16ELi32ELi8E10block_q8_0Li2EXadL_ZL17vec_dot_q8_0_q8_1PKvPK10block_q8_1RKiEEEvS4_S4_PT_PS8_iiii.num_vgpr, 18
	.set _ZL9moe_vec_qIN3c108BFloat16ELi32ELi8E10block_q8_0Li2EXadL_ZL17vec_dot_q8_0_q8_1PKvPK10block_q8_1RKiEEEvS4_S4_PT_PS8_iiii.num_agpr, 0
	.set _ZL9moe_vec_qIN3c108BFloat16ELi32ELi8E10block_q8_0Li2EXadL_ZL17vec_dot_q8_0_q8_1PKvPK10block_q8_1RKiEEEvS4_S4_PT_PS8_iiii.numbered_sgpr, 20
	.set _ZL9moe_vec_qIN3c108BFloat16ELi32ELi8E10block_q8_0Li2EXadL_ZL17vec_dot_q8_0_q8_1PKvPK10block_q8_1RKiEEEvS4_S4_PT_PS8_iiii.num_named_barrier, 0
	.set _ZL9moe_vec_qIN3c108BFloat16ELi32ELi8E10block_q8_0Li2EXadL_ZL17vec_dot_q8_0_q8_1PKvPK10block_q8_1RKiEEEvS4_S4_PT_PS8_iiii.private_seg_size, 0
	.set _ZL9moe_vec_qIN3c108BFloat16ELi32ELi8E10block_q8_0Li2EXadL_ZL17vec_dot_q8_0_q8_1PKvPK10block_q8_1RKiEEEvS4_S4_PT_PS8_iiii.uses_vcc, 1
	.set _ZL9moe_vec_qIN3c108BFloat16ELi32ELi8E10block_q8_0Li2EXadL_ZL17vec_dot_q8_0_q8_1PKvPK10block_q8_1RKiEEEvS4_S4_PT_PS8_iiii.uses_flat_scratch, 0
	.set _ZL9moe_vec_qIN3c108BFloat16ELi32ELi8E10block_q8_0Li2EXadL_ZL17vec_dot_q8_0_q8_1PKvPK10block_q8_1RKiEEEvS4_S4_PT_PS8_iiii.has_dyn_sized_stack, 0
	.set _ZL9moe_vec_qIN3c108BFloat16ELi32ELi8E10block_q8_0Li2EXadL_ZL17vec_dot_q8_0_q8_1PKvPK10block_q8_1RKiEEEvS4_S4_PT_PS8_iiii.has_recursion, 0
	.set _ZL9moe_vec_qIN3c108BFloat16ELi32ELi8E10block_q8_0Li2EXadL_ZL17vec_dot_q8_0_q8_1PKvPK10block_q8_1RKiEEEvS4_S4_PT_PS8_iiii.has_indirect_call, 0
	.section	.AMDGPU.csdata,"",@progbits
; Kernel info:
; codeLenInByte = 748
; TotalNumSgprs: 24
; NumVgprs: 18
; ScratchSize: 0
; MemoryBound: 0
; FloatMode: 240
; IeeeMode: 1
; LDSByteSize: 0 bytes/workgroup (compile time only)
; SGPRBlocks: 2
; VGPRBlocks: 4
; NumSGPRsForWavesPerEU: 24
; NumVGPRsForWavesPerEU: 18
; Occupancy: 10
; WaveLimiterHint : 1
; COMPUTE_PGM_RSRC2:SCRATCH_EN: 0
; COMPUTE_PGM_RSRC2:USER_SGPR: 6
; COMPUTE_PGM_RSRC2:TRAP_HANDLER: 0
; COMPUTE_PGM_RSRC2:TGID_X_EN: 1
; COMPUTE_PGM_RSRC2:TGID_Y_EN: 0
; COMPUTE_PGM_RSRC2:TGID_Z_EN: 1
; COMPUTE_PGM_RSRC2:TIDIG_COMP_CNT: 1
	.section	.text._ZL9moe_vec_qIN3c108BFloat16ELi256ELi16E10block_q2_KLi1EXadL_ZL17vec_dot_q2_K_q8_1PKvPK10block_q8_1RKiEEEvS4_S4_PT_PS8_iiii,"axG",@progbits,_ZL9moe_vec_qIN3c108BFloat16ELi256ELi16E10block_q2_KLi1EXadL_ZL17vec_dot_q2_K_q8_1PKvPK10block_q8_1RKiEEEvS4_S4_PT_PS8_iiii,comdat
	.globl	_ZL9moe_vec_qIN3c108BFloat16ELi256ELi16E10block_q2_KLi1EXadL_ZL17vec_dot_q2_K_q8_1PKvPK10block_q8_1RKiEEEvS4_S4_PT_PS8_iiii ; -- Begin function _ZL9moe_vec_qIN3c108BFloat16ELi256ELi16E10block_q2_KLi1EXadL_ZL17vec_dot_q2_K_q8_1PKvPK10block_q8_1RKiEEEvS4_S4_PT_PS8_iiii
	.p2align	8
	.type	_ZL9moe_vec_qIN3c108BFloat16ELi256ELi16E10block_q2_KLi1EXadL_ZL17vec_dot_q2_K_q8_1PKvPK10block_q8_1RKiEEEvS4_S4_PT_PS8_iiii,@function
_ZL9moe_vec_qIN3c108BFloat16ELi256ELi16E10block_q2_KLi1EXadL_ZL17vec_dot_q2_K_q8_1PKvPK10block_q8_1RKiEEEvS4_S4_PT_PS8_iiii: ; @_ZL9moe_vec_qIN3c108BFloat16ELi256ELi16E10block_q2_KLi1EXadL_ZL17vec_dot_q2_K_q8_1PKvPK10block_q8_1RKiEEEvS4_S4_PT_PS8_iiii
; %bb.0:
	s_mov_b32 s8, s7
	s_load_dword s7, s[4:5], 0x3c
	s_load_dwordx4 s[0:3], s[4:5], 0x20
	s_waitcnt lgkmcnt(0)
	s_lshr_b32 s7, s7, 16
	s_mul_i32 s6, s6, s7
	v_add_u32_e32 v9, s6, v1
	v_cmp_gt_u32_e32 vcc, s2, v9
	s_and_saveexec_b64 s[6:7], vcc
	s_cbranch_execz .LBB280_7
; %bb.1:
	s_load_dwordx2 s[6:7], s[4:5], 0x10
	s_ashr_i32 s9, s1, 31
	s_lshr_b32 s9, s9, 24
	s_add_i32 s1, s1, s9
	s_ashr_i32 s12, s1, 8
	v_lshrrev_b32_e32 v10, 4, v0
	v_cmp_gt_u32_e32 vcc, s12, v10
	v_mov_b32_e32 v2, 0
	s_and_saveexec_b64 s[10:11], vcc
	s_cbranch_execz .LBB280_5
; %bb.2:
	s_load_dwordx2 s[14:15], s[4:5], 0x18
	s_load_dwordx4 s[16:19], s[4:5], 0x0
	v_cvt_f32_u32_e32 v1, s0
	s_mov_b32 s9, 0
	s_lshl_b64 s[4:5], s[8:9], 2
	s_waitcnt lgkmcnt(0)
	s_add_u32 s4, s14, s4
	s_addc_u32 s5, s15, s5
	v_rcp_iflag_f32_e32 v1, v1
	s_load_dword s1, s[4:5], 0x0
	s_mul_i32 s5, s12, s2
	v_and_b32_e32 v7, 15, v0
	v_mul_f32_e32 v1, 0x4f7ffffe, v1
	v_cvt_u32_f32_e32 v1, v1
	s_waitcnt lgkmcnt(0)
	s_mul_i32 s1, s5, s1
	s_mul_hi_i32 s5, s1, 0x54
	s_mulk_i32 s1, 0x54
	s_add_u32 s14, s16, s1
	s_addc_u32 s15, s17, s5
	s_sub_i32 s1, 0, s0
	v_readfirstlane_b32 s5, v1
	s_mul_i32 s1, s1, s5
	s_mul_hi_u32 s1, s5, s1
	s_add_i32 s5, s5, s1
	s_mul_hi_u32 s1, s8, s5
	s_mul_i32 s5, s1, s0
	s_sub_i32 s5, s8, s5
	s_add_i32 s13, s1, 1
	s_sub_i32 s16, s5, s0
	s_cmp_ge_u32 s5, s0
	s_cselect_b32 s1, s13, s1
	s_cselect_b32 s5, s16, s5
	s_add_i32 s13, s1, 1
	s_cmp_ge_u32 s5, s0
	s_cselect_b32 s0, s13, s1
	s_mul_i32 s0, s0, s3
	s_mov_b32 s1, s9
	s_lshl_b64 s[0:1], s[0:1], 2
	s_add_u32 s0, s18, s0
	v_lshrrev_b32_e32 v1, 1, v0
	s_addc_u32 s1, s19, s1
	v_and_b32_e32 v5, 4, v1
	v_subrev_co_u32_e32 v1, vcc, 8, v7
	v_cndmask_b32_e32 v1, v1, v7, vcc
	v_mad_u64_u32 v[5:6], s[0:1], v5, 36, s[0:1]
	v_lshlrev_b32_e32 v11, 2, v7
	v_mov_b32_e32 v2, 0
	v_sub_u32_e32 v7, v7, v1
	v_cmp_lt_u32_e32 vcc, 3, v1
	v_lshlrev_b64 v[3:4], 2, v[1:2]
	v_addc_co_u32_e32 v1, vcc, 0, v7, vcc
	v_mov_b32_e32 v7, s14
	s_movk_i32 s4, 0x54
	v_lshlrev_b32_e32 v12, 3, v10
	s_mov_b64 s[0:1], 0
	v_mov_b32_e32 v8, s15
	s_mov_b32 s3, 0x1010101
.LBB280_3:                              ; =>This Inner Loop Header: Depth=1
	v_mul_lo_u32 v13, v9, s12
	v_mad_i64_i32 v[22:23], s[14:15], v12, 36, v[5:6]
	v_ashrrev_i32_e32 v20, 31, v1
	v_add_u32_e32 v16, v13, v10
	v_add_co_u32_e32 v14, vcc, v22, v3
	v_addc_co_u32_e32 v15, vcc, v23, v4, vcc
	v_mad_i64_i32 v[24:25], s[14:15], v16, s4, v[7:8]
	global_load_dword v13, v[22:23], off
	global_load_dword v28, v[14:15], off offset:4
	global_load_dword v29, v[14:15], off offset:40
	;; [unrolled: 1-line block ×4, first 2 shown]
	v_add_co_u32_e32 v17, vcc, v24, v11
	v_addc_co_u32_e32 v18, vcc, 0, v25, vcc
	v_add_co_u32_e32 v26, vcc, v24, v1
	v_addc_co_u32_e32 v27, vcc, v25, v20, vcc
	global_load_dword v30, v[17:18], off offset:16
	global_load_ubyte v31, v[26:27], off
	global_load_ubyte v32, v[26:27], off offset:2
	global_load_ubyte v20, v[26:27], off offset:4
	;; [unrolled: 1-line block ×3, first 2 shown]
	global_load_dword v15, v[22:23], off offset:36
                                        ; kill: killed $vgpr26 killed $vgpr27
                                        ; kill: killed $vgpr17 killed $vgpr18
	global_load_dword v14, v[24:25], off offset:80
	global_load_dword v18, v[22:23], off offset:72
	;; [unrolled: 1-line block ×3, first 2 shown]
	v_add_u32_e32 v10, 4, v10
	v_cmp_le_u32_e32 vcc, s12, v10
	v_add_u32_e32 v12, 32, v12
	s_or_b64 s[0:1], vcc, s[0:1]
	s_waitcnt vmcnt(8)
	v_and_b32_e32 v22, 0x3030303, v30
	v_dot4_i32_i8 v22, v22, v28, 0
	s_waitcnt vmcnt(7)
	v_and_b32_e32 v23, 15, v31
	v_mul_lo_u32 v22, v23, v22
	v_lshrrev_b32_e32 v23, 2, v30
	v_and_b32_e32 v23, 0x3030303, v23
	v_dot4_i32_i8 v23, v23, v29, 0
	s_waitcnt vmcnt(6)
	v_and_b32_e32 v24, 15, v32
	v_mul_lo_u32 v23, v24, v23
	v_lshrrev_b32_e32 v24, 4, v30
	;; [unrolled: 6-line block ×4, first 2 shown]
	v_mul_lo_u32 v26, v26, s3
	v_lshrrev_b32_e32 v27, 4, v32
	v_lshrrev_b32_e32 v21, 4, v21
	v_mul_lo_u32 v27, v27, s3
	v_lshrrev_b32_e32 v20, 4, v20
	v_mul_lo_u32 v21, v21, s3
	v_mul_lo_u32 v20, v20, s3
	v_dot4_i32_i8 v26, v26, v28, 0
	v_dot4_i32_i8 v27, v27, v29, 0
	;; [unrolled: 1-line block ×3, first 2 shown]
	v_cvt_f32_i32_e32 v21, v22
	v_cvt_f32_i32_e32 v22, v26
	v_dot4_i32_i8 v19, v20, v19, 0
	v_cvt_f32_i32_e32 v26, v27
	v_cvt_f32_i32_e32 v19, v19
	;; [unrolled: 1-line block ×5, first 2 shown]
	s_waitcnt vmcnt(2)
	v_cvt_f32_f16_sdwa v20, v14 dst_sel:DWORD dst_unused:UNUSED_PAD src0_sel:WORD_1
	v_cvt_f32_i32_e32 v25, v25
	v_fma_mix_f32 v21, v13, v21, 0 op_sel_hi:[1,0,0]
	v_fma_mix_f32 v13, v13, v22, 0 op_sel_hi:[1,0,0]
	;; [unrolled: 1-line block ×4, first 2 shown]
	s_waitcnt vmcnt(1)
	v_fma_mix_f32 v13, v18, v19, v13 op_sel_hi:[1,0,0]
	v_fma_mix_f32 v15, v18, v24, v21 op_sel_hi:[1,0,0]
	s_waitcnt vmcnt(0)
	v_fma_mix_f32 v13, v17, v16, v13 op_sel_hi:[1,0,0]
	v_fma_mix_f32 v15, v17, v25, v15 op_sel_hi:[1,0,0]
	v_mul_f32_e32 v13, v13, v20
	v_fma_mix_f32 v13, v15, v14, -v13 op_sel_hi:[0,1,0]
	v_add_f32_e32 v2, v2, v13
	s_andn2_b64 exec, exec, s[0:1]
	s_cbranch_execnz .LBB280_3
; %bb.4:
	s_or_b64 exec, exec, s[0:1]
.LBB280_5:
	s_or_b64 exec, exec, s[10:11]
	v_mbcnt_lo_u32_b32 v1, -1, 0
	v_mbcnt_hi_u32_b32 v3, -1, v1
	v_and_b32_e32 v1, 64, v3
	v_add_u32_e32 v4, 64, v1
	v_xor_b32_e32 v1, 32, v3
	v_cmp_lt_i32_e32 vcc, v1, v4
	v_cndmask_b32_e32 v1, v3, v1, vcc
	v_lshlrev_b32_e32 v1, 2, v1
	ds_bpermute_b32 v1, v1, v2
	v_xor_b32_e32 v5, 16, v3
	v_cmp_lt_i32_e32 vcc, v5, v4
	s_waitcnt lgkmcnt(0)
	v_add_f32_e32 v1, v2, v1
	v_cndmask_b32_e32 v2, v3, v5, vcc
	v_lshlrev_b32_e32 v2, 2, v2
	ds_bpermute_b32 v2, v2, v1
	v_xor_b32_e32 v5, 8, v3
	v_cmp_lt_i32_e32 vcc, v5, v4
	s_waitcnt lgkmcnt(0)
	v_add_f32_e32 v1, v1, v2
	;; [unrolled: 7-line block ×5, first 2 shown]
	v_cndmask_b32_e32 v2, v3, v5, vcc
	v_lshlrev_b32_e32 v2, 2, v2
	ds_bpermute_b32 v2, v2, v1
	v_cmp_eq_u32_e32 vcc, 0, v0
	s_and_b64 exec, exec, vcc
	s_cbranch_execz .LBB280_7
; %bb.6:
	s_waitcnt lgkmcnt(0)
	v_add_f32_e32 v0, v1, v2
	v_bfe_u32 v1, v0, 16, 1
	s_movk_i32 s0, 0x7fff
	v_add3_u32 v1, v0, v1, s0
	v_cmp_o_f32_e32 vcc, v0, v0
	v_mov_b32_e32 v0, 0x7fc0
	s_mul_i32 s0, s2, s8
	v_cndmask_b32_sdwa v2, v0, v1, vcc dst_sel:DWORD dst_unused:UNUSED_PAD src0_sel:DWORD src1_sel:WORD_1
	v_add_u32_e32 v0, s0, v9
	v_mov_b32_e32 v1, 0
	v_lshlrev_b64 v[0:1], 1, v[0:1]
	v_mov_b32_e32 v3, s7
	v_add_co_u32_e32 v0, vcc, s6, v0
	v_addc_co_u32_e32 v1, vcc, v3, v1, vcc
	global_store_short v[0:1], v2, off
.LBB280_7:
	s_endpgm
	.section	.rodata,"a",@progbits
	.p2align	6, 0x0
	.amdhsa_kernel _ZL9moe_vec_qIN3c108BFloat16ELi256ELi16E10block_q2_KLi1EXadL_ZL17vec_dot_q2_K_q8_1PKvPK10block_q8_1RKiEEEvS4_S4_PT_PS8_iiii
		.amdhsa_group_segment_fixed_size 0
		.amdhsa_private_segment_fixed_size 0
		.amdhsa_kernarg_size 304
		.amdhsa_user_sgpr_count 6
		.amdhsa_user_sgpr_private_segment_buffer 1
		.amdhsa_user_sgpr_dispatch_ptr 0
		.amdhsa_user_sgpr_queue_ptr 0
		.amdhsa_user_sgpr_kernarg_segment_ptr 1
		.amdhsa_user_sgpr_dispatch_id 0
		.amdhsa_user_sgpr_flat_scratch_init 0
		.amdhsa_user_sgpr_private_segment_size 0
		.amdhsa_uses_dynamic_stack 0
		.amdhsa_system_sgpr_private_segment_wavefront_offset 0
		.amdhsa_system_sgpr_workgroup_id_x 1
		.amdhsa_system_sgpr_workgroup_id_y 0
		.amdhsa_system_sgpr_workgroup_id_z 1
		.amdhsa_system_sgpr_workgroup_info 0
		.amdhsa_system_vgpr_workitem_id 1
		.amdhsa_next_free_vgpr 33
		.amdhsa_next_free_sgpr 20
		.amdhsa_reserve_vcc 1
		.amdhsa_reserve_flat_scratch 0
		.amdhsa_float_round_mode_32 0
		.amdhsa_float_round_mode_16_64 0
		.amdhsa_float_denorm_mode_32 3
		.amdhsa_float_denorm_mode_16_64 3
		.amdhsa_dx10_clamp 1
		.amdhsa_ieee_mode 1
		.amdhsa_fp16_overflow 0
		.amdhsa_exception_fp_ieee_invalid_op 0
		.amdhsa_exception_fp_denorm_src 0
		.amdhsa_exception_fp_ieee_div_zero 0
		.amdhsa_exception_fp_ieee_overflow 0
		.amdhsa_exception_fp_ieee_underflow 0
		.amdhsa_exception_fp_ieee_inexact 0
		.amdhsa_exception_int_div_zero 0
	.end_amdhsa_kernel
	.section	.text._ZL9moe_vec_qIN3c108BFloat16ELi256ELi16E10block_q2_KLi1EXadL_ZL17vec_dot_q2_K_q8_1PKvPK10block_q8_1RKiEEEvS4_S4_PT_PS8_iiii,"axG",@progbits,_ZL9moe_vec_qIN3c108BFloat16ELi256ELi16E10block_q2_KLi1EXadL_ZL17vec_dot_q2_K_q8_1PKvPK10block_q8_1RKiEEEvS4_S4_PT_PS8_iiii,comdat
.Lfunc_end280:
	.size	_ZL9moe_vec_qIN3c108BFloat16ELi256ELi16E10block_q2_KLi1EXadL_ZL17vec_dot_q2_K_q8_1PKvPK10block_q8_1RKiEEEvS4_S4_PT_PS8_iiii, .Lfunc_end280-_ZL9moe_vec_qIN3c108BFloat16ELi256ELi16E10block_q2_KLi1EXadL_ZL17vec_dot_q2_K_q8_1PKvPK10block_q8_1RKiEEEvS4_S4_PT_PS8_iiii
                                        ; -- End function
	.set _ZL9moe_vec_qIN3c108BFloat16ELi256ELi16E10block_q2_KLi1EXadL_ZL17vec_dot_q2_K_q8_1PKvPK10block_q8_1RKiEEEvS4_S4_PT_PS8_iiii.num_vgpr, 33
	.set _ZL9moe_vec_qIN3c108BFloat16ELi256ELi16E10block_q2_KLi1EXadL_ZL17vec_dot_q2_K_q8_1PKvPK10block_q8_1RKiEEEvS4_S4_PT_PS8_iiii.num_agpr, 0
	.set _ZL9moe_vec_qIN3c108BFloat16ELi256ELi16E10block_q2_KLi1EXadL_ZL17vec_dot_q2_K_q8_1PKvPK10block_q8_1RKiEEEvS4_S4_PT_PS8_iiii.numbered_sgpr, 20
	.set _ZL9moe_vec_qIN3c108BFloat16ELi256ELi16E10block_q2_KLi1EXadL_ZL17vec_dot_q2_K_q8_1PKvPK10block_q8_1RKiEEEvS4_S4_PT_PS8_iiii.num_named_barrier, 0
	.set _ZL9moe_vec_qIN3c108BFloat16ELi256ELi16E10block_q2_KLi1EXadL_ZL17vec_dot_q2_K_q8_1PKvPK10block_q8_1RKiEEEvS4_S4_PT_PS8_iiii.private_seg_size, 0
	.set _ZL9moe_vec_qIN3c108BFloat16ELi256ELi16E10block_q2_KLi1EXadL_ZL17vec_dot_q2_K_q8_1PKvPK10block_q8_1RKiEEEvS4_S4_PT_PS8_iiii.uses_vcc, 1
	.set _ZL9moe_vec_qIN3c108BFloat16ELi256ELi16E10block_q2_KLi1EXadL_ZL17vec_dot_q2_K_q8_1PKvPK10block_q8_1RKiEEEvS4_S4_PT_PS8_iiii.uses_flat_scratch, 0
	.set _ZL9moe_vec_qIN3c108BFloat16ELi256ELi16E10block_q2_KLi1EXadL_ZL17vec_dot_q2_K_q8_1PKvPK10block_q8_1RKiEEEvS4_S4_PT_PS8_iiii.has_dyn_sized_stack, 0
	.set _ZL9moe_vec_qIN3c108BFloat16ELi256ELi16E10block_q2_KLi1EXadL_ZL17vec_dot_q2_K_q8_1PKvPK10block_q8_1RKiEEEvS4_S4_PT_PS8_iiii.has_recursion, 0
	.set _ZL9moe_vec_qIN3c108BFloat16ELi256ELi16E10block_q2_KLi1EXadL_ZL17vec_dot_q2_K_q8_1PKvPK10block_q8_1RKiEEEvS4_S4_PT_PS8_iiii.has_indirect_call, 0
	.section	.AMDGPU.csdata,"",@progbits
; Kernel info:
; codeLenInByte = 1224
; TotalNumSgprs: 24
; NumVgprs: 33
; ScratchSize: 0
; MemoryBound: 0
; FloatMode: 240
; IeeeMode: 1
; LDSByteSize: 0 bytes/workgroup (compile time only)
; SGPRBlocks: 2
; VGPRBlocks: 8
; NumSGPRsForWavesPerEU: 24
; NumVGPRsForWavesPerEU: 33
; Occupancy: 7
; WaveLimiterHint : 1
; COMPUTE_PGM_RSRC2:SCRATCH_EN: 0
; COMPUTE_PGM_RSRC2:USER_SGPR: 6
; COMPUTE_PGM_RSRC2:TRAP_HANDLER: 0
; COMPUTE_PGM_RSRC2:TGID_X_EN: 1
; COMPUTE_PGM_RSRC2:TGID_Y_EN: 0
; COMPUTE_PGM_RSRC2:TGID_Z_EN: 1
; COMPUTE_PGM_RSRC2:TIDIG_COMP_CNT: 1
	.section	.text._ZL9moe_vec_qIN3c108BFloat16ELi256ELi16E10block_q3_KLi1EXadL_ZL17vec_dot_q3_K_q8_1PKvPK10block_q8_1RKiEEEvS4_S4_PT_PS8_iiii,"axG",@progbits,_ZL9moe_vec_qIN3c108BFloat16ELi256ELi16E10block_q3_KLi1EXadL_ZL17vec_dot_q3_K_q8_1PKvPK10block_q8_1RKiEEEvS4_S4_PT_PS8_iiii,comdat
	.globl	_ZL9moe_vec_qIN3c108BFloat16ELi256ELi16E10block_q3_KLi1EXadL_ZL17vec_dot_q3_K_q8_1PKvPK10block_q8_1RKiEEEvS4_S4_PT_PS8_iiii ; -- Begin function _ZL9moe_vec_qIN3c108BFloat16ELi256ELi16E10block_q3_KLi1EXadL_ZL17vec_dot_q3_K_q8_1PKvPK10block_q8_1RKiEEEvS4_S4_PT_PS8_iiii
	.p2align	8
	.type	_ZL9moe_vec_qIN3c108BFloat16ELi256ELi16E10block_q3_KLi1EXadL_ZL17vec_dot_q3_K_q8_1PKvPK10block_q8_1RKiEEEvS4_S4_PT_PS8_iiii,@function
_ZL9moe_vec_qIN3c108BFloat16ELi256ELi16E10block_q3_KLi1EXadL_ZL17vec_dot_q3_K_q8_1PKvPK10block_q8_1RKiEEEvS4_S4_PT_PS8_iiii: ; @_ZL9moe_vec_qIN3c108BFloat16ELi256ELi16E10block_q3_KLi1EXadL_ZL17vec_dot_q3_K_q8_1PKvPK10block_q8_1RKiEEEvS4_S4_PT_PS8_iiii
; %bb.0:
	s_mov_b32 s8, s7
	s_load_dword s7, s[4:5], 0x3c
	s_load_dwordx4 s[0:3], s[4:5], 0x20
	s_waitcnt lgkmcnt(0)
	s_lshr_b32 s7, s7, 16
	s_mul_i32 s6, s6, s7
	v_add_u32_e32 v9, s6, v1
	v_cmp_gt_u32_e32 vcc, s2, v9
	s_and_saveexec_b64 s[6:7], vcc
	s_cbranch_execz .LBB281_7
; %bb.1:
	s_load_dwordx2 s[6:7], s[4:5], 0x10
	s_ashr_i32 s9, s1, 31
	s_lshr_b32 s9, s9, 24
	s_add_i32 s1, s1, s9
	s_ashr_i32 s12, s1, 8
	v_lshrrev_b32_e32 v10, 4, v0
	v_cmp_gt_u32_e32 vcc, s12, v10
	v_mov_b32_e32 v2, 0
	s_and_saveexec_b64 s[10:11], vcc
	s_cbranch_execz .LBB281_5
; %bb.2:
	v_cvt_f32_u32_e32 v1, s0
	s_load_dwordx2 s[14:15], s[4:5], 0x18
	s_load_dwordx4 s[16:19], s[4:5], 0x0
	v_and_b32_e32 v2, 15, v0
	v_rcp_iflag_f32_e32 v3, v1
	v_subrev_co_u32_e32 v1, vcc, 8, v2
	s_mov_b32 s9, 0
	v_cndmask_b32_e32 v1, v1, v2, vcc
	v_mul_f32_e32 v3, 0x4f7ffffe, v3
	s_lshl_b64 s[20:21], s[8:9], 2
	v_sub_u32_e32 v5, v2, v1
	v_cvt_u32_f32_e32 v3, v3
	v_cmp_lt_u32_e32 vcc, 3, v1
	s_waitcnt lgkmcnt(0)
	s_add_u32 s4, s14, s20
	v_addc_co_u32_e32 v5, vcc, 0, v5, vcc
	s_addc_u32 s5, s15, s21
	v_mov_b32_e32 v4, 7
	v_add_u16_e32 v11, 2, v5
	s_load_dword s4, s[4:5], 0x0
	v_mov_b32_e32 v7, 5
	v_mov_b32_e32 v8, 6
	v_lshrrev_b16_sdwa v12, v4, sext(v11) dst_sel:DWORD dst_unused:UNUSED_PAD src0_sel:DWORD src1_sel:BYTE_0
	v_readfirstlane_b32 s1, v3
	v_lshrrev_b16_sdwa v3, v7, v12 dst_sel:DWORD dst_unused:UNUSED_PAD src0_sel:DWORD src1_sel:BYTE_0
	v_lshrrev_b16_sdwa v12, v8, v12 dst_sel:DWORD dst_unused:UNUSED_PAD src0_sel:DWORD src1_sel:BYTE_0
	v_add_u16_e32 v13, v11, v3
	v_add_u16_e32 v14, v11, v12
	v_and_b32_e32 v3, 0xf8, v13
	v_and_b32_e32 v12, 0xfc, v14
	s_mul_i32 s5, s12, s2
	v_sub_u16_e32 v3, v11, v3
	v_sub_u16_e32 v24, v11, v12
	v_add_u16_e32 v11, 4, v5
	s_waitcnt lgkmcnt(0)
	s_mul_i32 s4, s5, s4
	v_lshrrev_b16_sdwa v12, v4, sext(v11) dst_sel:DWORD dst_unused:UNUSED_PAD src0_sel:DWORD src1_sel:BYTE_0
	s_mul_hi_i32 s5, s4, 0x6e
	s_mulk_i32 s4, 0x6e
	v_lshrrev_b16_sdwa v15, v7, v12 dst_sel:DWORD dst_unused:UNUSED_PAD src0_sel:DWORD src1_sel:BYTE_0
	s_add_u32 s4, s16, s4
	v_add_u16_e32 v15, v11, v15
	s_addc_u32 s5, s17, s5
	s_sub_i32 s14, 0, s0
	v_and_b32_e32 v16, 0xf8, v15
	v_lshrrev_b16_sdwa v12, v8, v12 dst_sel:DWORD dst_unused:UNUSED_PAD src0_sel:DWORD src1_sel:BYTE_0
	s_mul_i32 s14, s14, s1
	v_sub_u16_e32 v25, v11, v16
	v_add_u16_e32 v16, v11, v12
	s_mul_hi_u32 s14, s1, s14
	v_lshrrev_b16_sdwa v6, v4, sext(v5) dst_sel:DWORD dst_unused:UNUSED_PAD src0_sel:DWORD src1_sel:BYTE_0
	v_and_b32_e32 v12, 0xfc, v16
	s_add_i32 s1, s1, s14
	v_sub_u16_e32 v26, v11, v12
	v_lshrrev_b16_sdwa v11, v7, v6 dst_sel:DWORD dst_unused:UNUSED_PAD src0_sel:DWORD src1_sel:BYTE_0
	s_mul_hi_u32 s1, s8, s1
	v_add_u16_e32 v11, v5, v11
	v_lshrrev_b16_sdwa v6, v8, v6 dst_sel:DWORD dst_unused:UNUSED_PAD src0_sel:DWORD src1_sel:BYTE_0
	s_mul_i32 s14, s1, s0
	v_and_b32_e32 v12, 0xf8, v11
	v_add_u16_e32 v6, v5, v6
	s_sub_i32 s14, s8, s14
	v_sub_u16_e32 v21, v5, v12
	v_and_b32_e32 v12, 0xfc, v6
	s_add_i32 s15, s1, 1
	s_sub_i32 s16, s14, s0
	v_sub_u16_e32 v22, v5, v12
	v_add_u16_e32 v5, 6, v5
	s_cmp_ge_u32 s14, s0
	v_lshrrev_b16_sdwa v4, v4, sext(v5) dst_sel:DWORD dst_unused:UNUSED_PAD src0_sel:DWORD src1_sel:BYTE_0
	s_cselect_b32 s1, s15, s1
	v_lshrrev_b16_sdwa v7, v7, v4 dst_sel:DWORD dst_unused:UNUSED_PAD src0_sel:DWORD src1_sel:BYTE_0
	s_cselect_b32 s14, s16, s14
	s_add_i32 s15, s1, 1
	v_lshrrev_b16_sdwa v4, v8, v4 dst_sel:DWORD dst_unused:UNUSED_PAD src0_sel:DWORD src1_sel:BYTE_0
	v_mov_b32_e32 v8, 3
	v_add_u16_e32 v7, v5, v7
	s_cmp_ge_u32 s14, s0
	v_lshrrev_b16_sdwa v11, v8, sext(v11) dst_sel:DWORD dst_unused:UNUSED_PAD src0_sel:DWORD src1_sel:BYTE_0
	v_mov_b32_e32 v17, 2
	v_lshrrev_b16_sdwa v12, v8, sext(v13) dst_sel:DWORD dst_unused:UNUSED_PAD src0_sel:DWORD src1_sel:BYTE_0
	v_lshrrev_b16_sdwa v13, v8, sext(v15) dst_sel:DWORD dst_unused:UNUSED_PAD src0_sel:DWORD src1_sel:BYTE_0
	;; [unrolled: 1-line block ×3, first 2 shown]
	v_add_u16_e32 v4, v5, v4
	s_cselect_b32 s0, s15, s1
	v_ashrrev_i16_sdwa v18, v17, sext(v14) dst_sel:DWORD dst_unused:UNUSED_PAD src0_sel:DWORD src1_sel:BYTE_0
	v_and_b32_e32 v7, 0xf8, v7
	v_lshlrev_b32_sdwa v14, v17, v8 dst_sel:DWORD dst_unused:UNUSED_PAD src0_sel:DWORD src1_sel:BYTE_0
	v_lshrrev_b16_sdwa v8, v17, sext(v4) dst_sel:DWORD dst_unused:UNUSED_PAD src0_sel:DWORD src1_sel:BYTE_0
	v_and_b32_e32 v4, 0xfc, v4
	s_mul_i32 s0, s0, s3
	s_mov_b32 s1, s9
	v_ashrrev_i16_sdwa v6, v17, sext(v6) dst_sel:DWORD dst_unused:UNUSED_PAD src0_sel:DWORD src1_sel:BYTE_0
	v_lshrrev_b16_sdwa v19, v17, sext(v16) dst_sel:DWORD dst_unused:UNUSED_PAD src0_sel:DWORD src1_sel:BYTE_0
	v_sub_u16_e32 v7, v5, v7
	v_sub_u16_e32 v4, v5, v4
	v_mov_b32_e32 v5, 1
	s_lshl_b64 s[0:1], s[0:1], 2
	v_lshlrev_b32_sdwa v11, v17, v11 dst_sel:DWORD dst_unused:UNUSED_PAD src0_sel:DWORD src1_sel:BYTE_0
	v_lshlrev_b32_sdwa v12, v17, v12 dst_sel:DWORD dst_unused:UNUSED_PAD src0_sel:DWORD src1_sel:BYTE_0
	;; [unrolled: 1-line block ×3, first 2 shown]
	v_lshlrev_b32_sdwa v15, v5, sext(v6) dst_sel:DWORD dst_unused:UNUSED_PAD src0_sel:DWORD src1_sel:WORD_0
	v_lshlrev_b32_sdwa v16, v5, sext(v18) dst_sel:DWORD dst_unused:UNUSED_PAD src0_sel:DWORD src1_sel:WORD_0
	v_lshlrev_b32_sdwa v17, v5, v19 dst_sel:DWORD dst_unused:UNUSED_PAD src0_sel:DWORD src1_sel:BYTE_0
	v_lshlrev_b32_sdwa v18, v5, v8 dst_sel:DWORD dst_unused:UNUSED_PAD src0_sel:DWORD src1_sel:BYTE_0
	s_add_u32 s14, s18, s0
	v_lshrrev_b32_e32 v5, 1, v0
	s_addc_u32 s15, s19, s1
	v_and_b32_e32 v19, 4, v5
	v_bfe_i32 v23, v3, 0, 8
	v_bfe_i32 v28, v4, 0, 8
	v_mul_lo_u32 v29, v9, s12
	v_mad_u64_u32 v[3:4], s[14:15], v19, 36, s[14:15]
	v_lshlrev_b32_e32 v20, 2, v2
	v_mov_b32_e32 v2, 0
	v_bfe_i32 v21, v21, 0, 8
	v_bfe_i32 v22, v22, 0, 8
	;; [unrolled: 1-line block ×6, first 2 shown]
	v_lshlrev_b64 v[5:6], 2, v[1:2]
	s_movk_i32 s13, 0x6e
	s_mov_b64 s[0:1], 0
	v_ashrrev_i32_e32 v30, 31, v21
	v_ashrrev_i32_e32 v31, 31, v22
	;; [unrolled: 1-line block ×8, first 2 shown]
	v_lshlrev_b32_e32 v1, 3, v10
.LBB281_3:                              ; =>This Inner Loop Header: Depth=1
	v_mov_b32_e32 v8, s5
	v_mad_i64_i32 v[46:47], s[14:15], v1, 36, v[3:4]
	v_add_u32_e32 v38, v29, v10
	v_mov_b32_e32 v7, s4
	v_mad_i64_i32 v[7:8], s[14:15], v38, s13, v[7:8]
	v_add_co_u32_e32 v38, vcc, v46, v5
	v_addc_co_u32_e32 v39, vcc, v47, v6, vcc
	global_load_dword v42, v[38:39], off offset:4
	global_load_dword v43, v[38:39], off offset:40
	;; [unrolled: 1-line block ×3, first 2 shown]
	s_nop 0
	global_load_dword v38, v[38:39], off offset:112
	s_nop 0
	global_load_dword v45, v[46:47], off
	global_load_dword v44, v[46:47], off offset:36
	global_load_dword v41, v[46:47], off offset:72
	;; [unrolled: 1-line block ×3, first 2 shown]
	v_add_co_u32_e32 v46, vcc, v7, v21
	v_addc_co_u32_e32 v47, vcc, v8, v30, vcc
	global_load_ubyte v48, v[46:47], off offset:96
	v_add_co_u32_e32 v46, vcc, v7, v22
	v_addc_co_u32_e32 v47, vcc, v8, v31, vcc
	global_load_ubyte v49, v[46:47], off offset:104
	;; [unrolled: 3-line block ×4, first 2 shown]
	v_add_co_u32_e32 v46, vcc, v7, v5
	v_addc_co_u32_e32 v47, vcc, v8, v6, vcc
	global_load_dword v52, v[46:47], off
	v_add_co_u32_e32 v46, vcc, v7, v20
	v_addc_co_u32_e32 v47, vcc, 0, v8, vcc
	global_load_dword v53, v[46:47], off offset:32
	v_add_co_u32_e32 v46, vcc, v7, v25
	v_addc_co_u32_e32 v47, vcc, v8, v34, vcc
	global_load_ubyte v54, v[46:47], off offset:96
	v_add_co_u32_e32 v46, vcc, v7, v26
	v_addc_co_u32_e32 v47, vcc, v8, v35, vcc
	global_load_ubyte v55, v[46:47], off offset:104
	;; [unrolled: 3-line block ×4, first 2 shown]
	v_add_u32_e32 v10, 4, v10
	global_load_ushort v7, v[7:8], off offset:108
	v_cmp_le_u32_e32 vcc, s12, v10
	s_or_b64 s[0:1], vcc, s[0:1]
	v_add_u32_e32 v1, 32, v1
	s_waitcnt vmcnt(10)
	v_bfe_u32 v47, v48, v11, 4
	s_waitcnt vmcnt(9)
	v_lshrrev_b32_e32 v48, v15, v49
	v_lshlrev_b32_e32 v48, 4, v48
	v_and_or_b32 v47, v48, 48, v47
	v_subrev_u32_e32 v47, 32, v47
	s_waitcnt vmcnt(8)
	v_bfe_u32 v48, v50, v12, 4
	s_waitcnt vmcnt(7)
	v_lshrrev_b32_e32 v49, v16, v51
	v_lshlrev_b32_e32 v49, 4, v49
	v_and_or_b32 v48, v49, 48, v48
	s_waitcnt vmcnt(6)
	v_ashrrev_i32_e32 v49, v19, v52
	v_not_b32_e32 v49, v49
	v_lshlrev_b32_e32 v50, 2, v49
	v_and_b32_e32 v50, 0x4040404, v50
	v_lshlrev_b32_e32 v60, 1, v49
	s_waitcnt vmcnt(5)
	v_bfe_u32 v51, v53, 24, 2
	v_and_b32_e32 v52, 0x3030303, v53
	v_sub_u16_sdwa v51, v51, v50 dst_sel:BYTE_1 dst_unused:UNUSED_PAD src0_sel:DWORD src1_sel:BYTE_3
	v_sub_u16_e32 v57, v52, v50
	v_sub_u16_sdwa v58, v52, v50 dst_sel:BYTE_1 dst_unused:UNUSED_PAD src0_sel:BYTE_1 src1_sel:BYTE_1
	v_sub_u16_sdwa v50, v52, v50 dst_sel:DWORD dst_unused:UNUSED_PAD src0_sel:WORD_1 src1_sel:WORD_1
	v_lshrrev_b32_e32 v52, 2, v53
	v_and_b32_e32 v59, 0x3030303, v52
	v_bfe_u32 v52, v52, 24, 2
	v_and_b32_e32 v60, 0x4040404, v60
	v_sub_u16_sdwa v52, v52, v60 dst_sel:BYTE_1 dst_unused:UNUSED_PAD src0_sel:DWORD src1_sel:BYTE_3
	v_sub_u16_e32 v61, v59, v60
	v_sub_u16_sdwa v62, v59, v60 dst_sel:BYTE_1 dst_unused:UNUSED_PAD src0_sel:BYTE_1 src1_sel:BYTE_1
	v_sub_u16_sdwa v59, v59, v60 dst_sel:DWORD dst_unused:UNUSED_PAD src0_sel:WORD_1 src1_sel:WORD_1
	v_or_b32_sdwa v57, v57, v58 dst_sel:DWORD dst_unused:UNUSED_PAD src0_sel:BYTE_0 src1_sel:DWORD
	v_or_b32_sdwa v50, v50, v51 dst_sel:WORD_1 dst_unused:UNUSED_PAD src0_sel:BYTE_0 src1_sel:DWORD
	v_or_b32_sdwa v51, v61, v62 dst_sel:DWORD dst_unused:UNUSED_PAD src0_sel:BYTE_0 src1_sel:DWORD
	v_or_b32_sdwa v52, v59, v52 dst_sel:WORD_1 dst_unused:UNUSED_PAD src0_sel:BYTE_0 src1_sel:DWORD
	v_or_b32_sdwa v50, v57, v50 dst_sel:DWORD dst_unused:UNUSED_PAD src0_sel:WORD_0 src1_sel:DWORD
	v_or_b32_sdwa v51, v51, v52 dst_sel:DWORD dst_unused:UNUSED_PAD src0_sel:WORD_0 src1_sel:DWORD
	v_dot4_i32_i8 v42, v50, v42, 0
	v_dot4_i32_i8 v43, v51, v43, 0
	v_mul_lo_u32 v42, v47, v42
	v_subrev_u32_e32 v47, 32, v48
	v_mul_lo_u32 v43, v47, v43
	v_and_b32_e32 v47, 0x4040404, v49
	v_cvt_f32_i32_e32 v42, v42
	v_cvt_f32_i32_e32 v43, v43
	v_fma_mix_f32 v42, v45, v42, 0 op_sel_hi:[1,0,0]
	v_fma_mix_f32 v42, v44, v43, v42 op_sel_hi:[1,0,0]
	s_waitcnt vmcnt(3)
	v_lshrrev_b32_e32 v44, v17, v55
	v_bfe_u32 v43, v54, v13, 4
	v_lshlrev_b32_e32 v44, 4, v44
	v_and_or_b32 v43, v44, 48, v43
	v_lshrrev_b32_e32 v44, 4, v53
	v_and_b32_e32 v45, 0x3030303, v44
	v_bfe_u32 v44, v44, 24, 2
	v_sub_u16_sdwa v44, v44, v47 dst_sel:BYTE_1 dst_unused:UNUSED_PAD src0_sel:DWORD src1_sel:BYTE_3
	v_sub_u16_e32 v48, v45, v47
	v_sub_u16_sdwa v50, v45, v47 dst_sel:BYTE_1 dst_unused:UNUSED_PAD src0_sel:BYTE_1 src1_sel:BYTE_1
	v_sub_u16_sdwa v45, v45, v47 dst_sel:DWORD dst_unused:UNUSED_PAD src0_sel:WORD_1 src1_sel:WORD_1
	v_or_b32_sdwa v47, v48, v50 dst_sel:DWORD dst_unused:UNUSED_PAD src0_sel:BYTE_0 src1_sel:DWORD
	v_or_b32_sdwa v44, v45, v44 dst_sel:WORD_1 dst_unused:UNUSED_PAD src0_sel:BYTE_0 src1_sel:DWORD
	v_or_b32_sdwa v44, v47, v44 dst_sel:DWORD dst_unused:UNUSED_PAD src0_sel:WORD_0 src1_sel:DWORD
	v_dot4_i32_i8 v40, v44, v40, 0
	v_subrev_u32_e32 v43, 32, v43
	v_mul_lo_u32 v40, v43, v40
	v_lshrrev_b32_e32 v44, 1, v49
	v_lshrrev_b32_e32 v43, 30, v53
	v_and_b32_e32 v44, 0x4040404, v44
	v_cvt_f32_i32_e32 v40, v40
	v_sub_u16_sdwa v43, v43, v44 dst_sel:BYTE_1 dst_unused:UNUSED_PAD src0_sel:DWORD src1_sel:BYTE_3
	v_fma_mix_f32 v40, v41, v40, v42 op_sel_hi:[1,0,0]
	s_waitcnt vmcnt(1)
	v_lshrrev_b32_e32 v42, v18, v46
	v_bfe_u32 v41, v56, v14, 4
	v_lshlrev_b32_e32 v42, 4, v42
	v_and_or_b32 v41, v42, 48, v41
	v_lshrrev_b32_e32 v42, 6, v53
	v_and_b32_e32 v42, 0x3030303, v42
	v_sub_u16_e32 v45, v42, v44
	v_sub_u16_sdwa v46, v42, v44 dst_sel:BYTE_1 dst_unused:UNUSED_PAD src0_sel:BYTE_1 src1_sel:BYTE_1
	v_sub_u16_sdwa v42, v42, v44 dst_sel:DWORD dst_unused:UNUSED_PAD src0_sel:WORD_1 src1_sel:WORD_1
	v_or_b32_sdwa v44, v45, v46 dst_sel:DWORD dst_unused:UNUSED_PAD src0_sel:BYTE_0 src1_sel:DWORD
	v_or_b32_sdwa v42, v42, v43 dst_sel:WORD_1 dst_unused:UNUSED_PAD src0_sel:BYTE_0 src1_sel:DWORD
	v_or_b32_sdwa v42, v44, v42 dst_sel:DWORD dst_unused:UNUSED_PAD src0_sel:WORD_0 src1_sel:DWORD
	v_dot4_i32_i8 v38, v42, v38, 0
	v_subrev_u32_e32 v41, 32, v41
	v_mul_lo_u32 v38, v41, v38
	v_cvt_f32_i32_e32 v38, v38
	v_fma_mix_f32 v38, v39, v38, v40 op_sel_hi:[1,0,0]
	s_waitcnt vmcnt(0)
	v_fma_mix_f32 v2, v38, v7, v2 op_sel_hi:[0,1,0]
	s_andn2_b64 exec, exec, s[0:1]
	s_cbranch_execnz .LBB281_3
; %bb.4:
	s_or_b64 exec, exec, s[0:1]
.LBB281_5:
	s_or_b64 exec, exec, s[10:11]
	v_mbcnt_lo_u32_b32 v1, -1, 0
	v_mbcnt_hi_u32_b32 v3, -1, v1
	v_and_b32_e32 v1, 64, v3
	v_add_u32_e32 v4, 64, v1
	v_xor_b32_e32 v1, 32, v3
	v_cmp_lt_i32_e32 vcc, v1, v4
	v_cndmask_b32_e32 v1, v3, v1, vcc
	v_lshlrev_b32_e32 v1, 2, v1
	ds_bpermute_b32 v1, v1, v2
	v_xor_b32_e32 v5, 16, v3
	v_cmp_lt_i32_e32 vcc, v5, v4
	s_waitcnt lgkmcnt(0)
	v_add_f32_e32 v1, v2, v1
	v_cndmask_b32_e32 v2, v3, v5, vcc
	v_lshlrev_b32_e32 v2, 2, v2
	ds_bpermute_b32 v2, v2, v1
	v_xor_b32_e32 v5, 8, v3
	v_cmp_lt_i32_e32 vcc, v5, v4
	s_waitcnt lgkmcnt(0)
	v_add_f32_e32 v1, v1, v2
	;; [unrolled: 7-line block ×5, first 2 shown]
	v_cndmask_b32_e32 v2, v3, v5, vcc
	v_lshlrev_b32_e32 v2, 2, v2
	ds_bpermute_b32 v2, v2, v1
	v_cmp_eq_u32_e32 vcc, 0, v0
	s_and_b64 exec, exec, vcc
	s_cbranch_execz .LBB281_7
; %bb.6:
	s_waitcnt lgkmcnt(0)
	v_add_f32_e32 v0, v1, v2
	v_bfe_u32 v1, v0, 16, 1
	s_movk_i32 s0, 0x7fff
	v_add3_u32 v1, v0, v1, s0
	v_cmp_o_f32_e32 vcc, v0, v0
	v_mov_b32_e32 v0, 0x7fc0
	s_mul_i32 s0, s2, s8
	v_cndmask_b32_sdwa v2, v0, v1, vcc dst_sel:DWORD dst_unused:UNUSED_PAD src0_sel:DWORD src1_sel:WORD_1
	v_add_u32_e32 v0, s0, v9
	v_mov_b32_e32 v1, 0
	v_lshlrev_b64 v[0:1], 1, v[0:1]
	v_mov_b32_e32 v3, s7
	v_add_co_u32_e32 v0, vcc, s6, v0
	v_addc_co_u32_e32 v1, vcc, v3, v1, vcc
	global_store_short v[0:1], v2, off
.LBB281_7:
	s_endpgm
	.section	.rodata,"a",@progbits
	.p2align	6, 0x0
	.amdhsa_kernel _ZL9moe_vec_qIN3c108BFloat16ELi256ELi16E10block_q3_KLi1EXadL_ZL17vec_dot_q3_K_q8_1PKvPK10block_q8_1RKiEEEvS4_S4_PT_PS8_iiii
		.amdhsa_group_segment_fixed_size 0
		.amdhsa_private_segment_fixed_size 0
		.amdhsa_kernarg_size 304
		.amdhsa_user_sgpr_count 6
		.amdhsa_user_sgpr_private_segment_buffer 1
		.amdhsa_user_sgpr_dispatch_ptr 0
		.amdhsa_user_sgpr_queue_ptr 0
		.amdhsa_user_sgpr_kernarg_segment_ptr 1
		.amdhsa_user_sgpr_dispatch_id 0
		.amdhsa_user_sgpr_flat_scratch_init 0
		.amdhsa_user_sgpr_private_segment_size 0
		.amdhsa_uses_dynamic_stack 0
		.amdhsa_system_sgpr_private_segment_wavefront_offset 0
		.amdhsa_system_sgpr_workgroup_id_x 1
		.amdhsa_system_sgpr_workgroup_id_y 0
		.amdhsa_system_sgpr_workgroup_id_z 1
		.amdhsa_system_sgpr_workgroup_info 0
		.amdhsa_system_vgpr_workitem_id 1
		.amdhsa_next_free_vgpr 63
		.amdhsa_next_free_sgpr 22
		.amdhsa_reserve_vcc 1
		.amdhsa_reserve_flat_scratch 0
		.amdhsa_float_round_mode_32 0
		.amdhsa_float_round_mode_16_64 0
		.amdhsa_float_denorm_mode_32 3
		.amdhsa_float_denorm_mode_16_64 3
		.amdhsa_dx10_clamp 1
		.amdhsa_ieee_mode 1
		.amdhsa_fp16_overflow 0
		.amdhsa_exception_fp_ieee_invalid_op 0
		.amdhsa_exception_fp_denorm_src 0
		.amdhsa_exception_fp_ieee_div_zero 0
		.amdhsa_exception_fp_ieee_overflow 0
		.amdhsa_exception_fp_ieee_underflow 0
		.amdhsa_exception_fp_ieee_inexact 0
		.amdhsa_exception_int_div_zero 0
	.end_amdhsa_kernel
	.section	.text._ZL9moe_vec_qIN3c108BFloat16ELi256ELi16E10block_q3_KLi1EXadL_ZL17vec_dot_q3_K_q8_1PKvPK10block_q8_1RKiEEEvS4_S4_PT_PS8_iiii,"axG",@progbits,_ZL9moe_vec_qIN3c108BFloat16ELi256ELi16E10block_q3_KLi1EXadL_ZL17vec_dot_q3_K_q8_1PKvPK10block_q8_1RKiEEEvS4_S4_PT_PS8_iiii,comdat
.Lfunc_end281:
	.size	_ZL9moe_vec_qIN3c108BFloat16ELi256ELi16E10block_q3_KLi1EXadL_ZL17vec_dot_q3_K_q8_1PKvPK10block_q8_1RKiEEEvS4_S4_PT_PS8_iiii, .Lfunc_end281-_ZL9moe_vec_qIN3c108BFloat16ELi256ELi16E10block_q3_KLi1EXadL_ZL17vec_dot_q3_K_q8_1PKvPK10block_q8_1RKiEEEvS4_S4_PT_PS8_iiii
                                        ; -- End function
	.set _ZL9moe_vec_qIN3c108BFloat16ELi256ELi16E10block_q3_KLi1EXadL_ZL17vec_dot_q3_K_q8_1PKvPK10block_q8_1RKiEEEvS4_S4_PT_PS8_iiii.num_vgpr, 63
	.set _ZL9moe_vec_qIN3c108BFloat16ELi256ELi16E10block_q3_KLi1EXadL_ZL17vec_dot_q3_K_q8_1PKvPK10block_q8_1RKiEEEvS4_S4_PT_PS8_iiii.num_agpr, 0
	.set _ZL9moe_vec_qIN3c108BFloat16ELi256ELi16E10block_q3_KLi1EXadL_ZL17vec_dot_q3_K_q8_1PKvPK10block_q8_1RKiEEEvS4_S4_PT_PS8_iiii.numbered_sgpr, 22
	.set _ZL9moe_vec_qIN3c108BFloat16ELi256ELi16E10block_q3_KLi1EXadL_ZL17vec_dot_q3_K_q8_1PKvPK10block_q8_1RKiEEEvS4_S4_PT_PS8_iiii.num_named_barrier, 0
	.set _ZL9moe_vec_qIN3c108BFloat16ELi256ELi16E10block_q3_KLi1EXadL_ZL17vec_dot_q3_K_q8_1PKvPK10block_q8_1RKiEEEvS4_S4_PT_PS8_iiii.private_seg_size, 0
	.set _ZL9moe_vec_qIN3c108BFloat16ELi256ELi16E10block_q3_KLi1EXadL_ZL17vec_dot_q3_K_q8_1PKvPK10block_q8_1RKiEEEvS4_S4_PT_PS8_iiii.uses_vcc, 1
	.set _ZL9moe_vec_qIN3c108BFloat16ELi256ELi16E10block_q3_KLi1EXadL_ZL17vec_dot_q3_K_q8_1PKvPK10block_q8_1RKiEEEvS4_S4_PT_PS8_iiii.uses_flat_scratch, 0
	.set _ZL9moe_vec_qIN3c108BFloat16ELi256ELi16E10block_q3_KLi1EXadL_ZL17vec_dot_q3_K_q8_1PKvPK10block_q8_1RKiEEEvS4_S4_PT_PS8_iiii.has_dyn_sized_stack, 0
	.set _ZL9moe_vec_qIN3c108BFloat16ELi256ELi16E10block_q3_KLi1EXadL_ZL17vec_dot_q3_K_q8_1PKvPK10block_q8_1RKiEEEvS4_S4_PT_PS8_iiii.has_recursion, 0
	.set _ZL9moe_vec_qIN3c108BFloat16ELi256ELi16E10block_q3_KLi1EXadL_ZL17vec_dot_q3_K_q8_1PKvPK10block_q8_1RKiEEEvS4_S4_PT_PS8_iiii.has_indirect_call, 0
	.section	.AMDGPU.csdata,"",@progbits
; Kernel info:
; codeLenInByte = 2052
; TotalNumSgprs: 26
; NumVgprs: 63
; ScratchSize: 0
; MemoryBound: 0
; FloatMode: 240
; IeeeMode: 1
; LDSByteSize: 0 bytes/workgroup (compile time only)
; SGPRBlocks: 3
; VGPRBlocks: 15
; NumSGPRsForWavesPerEU: 26
; NumVGPRsForWavesPerEU: 63
; Occupancy: 4
; WaveLimiterHint : 1
; COMPUTE_PGM_RSRC2:SCRATCH_EN: 0
; COMPUTE_PGM_RSRC2:USER_SGPR: 6
; COMPUTE_PGM_RSRC2:TRAP_HANDLER: 0
; COMPUTE_PGM_RSRC2:TGID_X_EN: 1
; COMPUTE_PGM_RSRC2:TGID_Y_EN: 0
; COMPUTE_PGM_RSRC2:TGID_Z_EN: 1
; COMPUTE_PGM_RSRC2:TIDIG_COMP_CNT: 1
	.section	.text._ZL9moe_vec_qIN3c108BFloat16ELi256ELi32E10block_q4_KLi2EXadL_ZL17vec_dot_q4_K_q8_1PKvPK10block_q8_1RKiEEEvS4_S4_PT_PS8_iiii,"axG",@progbits,_ZL9moe_vec_qIN3c108BFloat16ELi256ELi32E10block_q4_KLi2EXadL_ZL17vec_dot_q4_K_q8_1PKvPK10block_q8_1RKiEEEvS4_S4_PT_PS8_iiii,comdat
	.globl	_ZL9moe_vec_qIN3c108BFloat16ELi256ELi32E10block_q4_KLi2EXadL_ZL17vec_dot_q4_K_q8_1PKvPK10block_q8_1RKiEEEvS4_S4_PT_PS8_iiii ; -- Begin function _ZL9moe_vec_qIN3c108BFloat16ELi256ELi32E10block_q4_KLi2EXadL_ZL17vec_dot_q4_K_q8_1PKvPK10block_q8_1RKiEEEvS4_S4_PT_PS8_iiii
	.p2align	8
	.type	_ZL9moe_vec_qIN3c108BFloat16ELi256ELi32E10block_q4_KLi2EXadL_ZL17vec_dot_q4_K_q8_1PKvPK10block_q8_1RKiEEEvS4_S4_PT_PS8_iiii,@function
_ZL9moe_vec_qIN3c108BFloat16ELi256ELi32E10block_q4_KLi2EXadL_ZL17vec_dot_q4_K_q8_1PKvPK10block_q8_1RKiEEEvS4_S4_PT_PS8_iiii: ; @_ZL9moe_vec_qIN3c108BFloat16ELi256ELi32E10block_q4_KLi2EXadL_ZL17vec_dot_q4_K_q8_1PKvPK10block_q8_1RKiEEEvS4_S4_PT_PS8_iiii
; %bb.0:
	s_mov_b32 s8, s7
	s_load_dword s7, s[4:5], 0x3c
	s_load_dwordx4 s[0:3], s[4:5], 0x20
	s_waitcnt lgkmcnt(0)
	s_lshr_b32 s7, s7, 16
	s_mul_i32 s6, s6, s7
	v_add_u32_e32 v9, s6, v1
	v_cmp_gt_u32_e32 vcc, s2, v9
	s_and_saveexec_b64 s[6:7], vcc
	s_cbranch_execz .LBB282_11
; %bb.1:
	s_load_dwordx2 s[6:7], s[4:5], 0x10
	s_ashr_i32 s9, s1, 31
	s_lshr_b32 s9, s9, 24
	s_add_i32 s1, s1, s9
	s_ashr_i32 s12, s1, 8
	v_lshrrev_b32_e32 v10, 4, v0
	v_cmp_gt_u32_e32 vcc, s12, v10
	v_mov_b32_e32 v11, 0
	s_and_saveexec_b64 s[10:11], vcc
	s_cbranch_execz .LBB282_9
; %bb.2:
	s_load_dwordx2 s[14:15], s[4:5], 0x18
	v_cvt_f32_u32_e32 v1, s0
	s_mov_b32 s9, 0
	s_lshl_b64 s[16:17], s[8:9], 2
	v_mul_lo_u32 v12, v9, s12
	s_waitcnt lgkmcnt(0)
	s_add_u32 s14, s14, s16
	v_rcp_iflag_f32_e32 v1, v1
	s_addc_u32 s15, s15, s17
	s_load_dword s1, s[14:15], 0x0
	s_load_dwordx4 s[16:19], s[4:5], 0x0
	s_mul_i32 s4, s12, s2
	v_mul_f32_e32 v1, 0x4f7ffffe, v1
	v_cvt_u32_f32_e32 v1, v1
	s_waitcnt lgkmcnt(0)
	s_mul_i32 s1, s4, s1
	s_mul_hi_i32 s4, s1, 0x90
	s_mulk_i32 s1, 0x90
	s_add_u32 s14, s16, s1
	s_addc_u32 s15, s17, s4
	s_sub_i32 s1, 0, s0
	v_readfirstlane_b32 s4, v1
	s_mul_i32 s1, s1, s4
	s_mul_hi_u32 s1, s4, s1
	s_add_i32 s4, s4, s1
	s_mul_hi_u32 s1, s8, s4
	s_mul_i32 s4, s1, s0
	s_sub_i32 s4, s8, s4
	s_add_i32 s5, s1, 1
	s_sub_i32 s16, s4, s0
	s_cmp_ge_u32 s4, s0
	s_cselect_b32 s1, s5, s1
	s_cselect_b32 s4, s16, s4
	s_add_i32 s5, s1, 1
	s_cmp_ge_u32 s4, s0
	s_cselect_b32 s0, s5, s1
	s_mul_i32 s0, s0, s3
	s_mov_b32 s1, s9
	s_lshl_b64 s[0:1], s[0:1], 2
	v_lshlrev_b32_e32 v1, 1, v0
	s_add_u32 s0, s18, s0
	v_bfe_u32 v5, v1, 3, 2
	s_addc_u32 s1, s19, s1
	v_and_b32_e32 v2, 30, v1
	v_lshlrev_b32_e32 v1, 1, v5
	v_cmp_lt_u32_e32 vcc, 15, v2
	v_mad_u64_u32 v[1:2], s[0:1], v1, 36, s[0:1]
	v_and_b32_e32 v6, 3, v0
	v_mov_b32_e32 v3, s14
	s_movk_i32 s13, 0x90
	v_lshlrev_b32_e32 v13, 5, v5
	v_mov_b32_e32 v11, 0
	v_lshlrev_b32_e32 v14, 2, v6
	v_lshlrev_b32_e32 v15, 3, v10
	s_mov_b64 s[4:5], 0
	v_mov_b32_e32 v4, s15
	v_lshlrev_b32_e32 v16, 1, v5
	s_mov_b32 s3, 0x5040100
	s_mov_b32 s9, 0x20004
	;; [unrolled: 1-line block ×3, first 2 shown]
	v_lshlrev_b32_e32 v17, 2, v6
	s_mov_b32 s15, 0x1010101
	s_branch .LBB282_4
.LBB282_3:                              ;   in Loop: Header=BB282_4 Depth=1
	s_or_b64 exec, exec, s[0:1]
	v_mad_i64_i32 v[7:8], s[0:1], v15, 36, v[1:2]
	v_add_u32_e32 v10, 4, v10
	v_add_u32_e32 v15, 32, v15
	v_add_co_u32_e64 v21, s[0:1], v7, v17
	v_addc_co_u32_e64 v22, s[0:1], 0, v8, s[0:1]
	global_load_dword v23, v[5:6], off
	global_load_dword v24, v[21:22], off offset:4
	global_load_dword v25, v[21:22], off offset:40
	global_load_dword v26, v[21:22], off offset:20
	global_load_dword v27, v[21:22], off offset:56
	global_load_dword v28, v[7:8], off
	global_load_dword v29, v[7:8], off offset:36
	s_waitcnt vmcnt(8)
	v_and_b32_e32 v5, 0xf0f0f0f, v18
	v_lshrrev_b32_e32 v8, 4, v18
	s_waitcnt vmcnt(7)
	v_and_b32_e32 v6, 0xf0f0f0f, v19
	v_lshrrev_b32_e32 v18, 4, v19
	v_and_b32_e32 v8, 0xf0f0f0f, v8
	v_and_b32_e32 v21, 0xff, v20
	;; [unrolled: 1-line block ×3, first 2 shown]
	v_lshrrev_b16_e32 v7, 8, v20
	v_lshrrev_b32_e32 v19, 24, v20
	v_bfe_u32 v20, v20, 16, 8
	v_cmp_le_u32_e64 s[0:1], s12, v10
	s_or_b64 s[4:5], s[0:1], s[4:5]
	s_waitcnt vmcnt(6)
	v_cvt_f32_f16_sdwa v22, v23 dst_sel:DWORD dst_unused:UNUSED_PAD src0_sel:WORD_1
	s_waitcnt vmcnt(5)
	v_dot4_i32_i8 v5, v5, v24, 0
	v_dot4_i32_i8 v24, s15, v24, 0
	s_waitcnt vmcnt(4)
	v_dot4_i32_i8 v8, v8, v25, 0
	v_dot4_i32_i8 v25, s15, v25, 0
	;; [unrolled: 3-line block ×4, first 2 shown]
	v_mul_lo_u32 v6, v6, v21
	v_mul_lo_u32 v5, v5, v20
	;; [unrolled: 1-line block ×4, first 2 shown]
	v_cvt_f32_i32_e32 v6, v6
	v_cvt_f32_i32_e32 v5, v5
	;; [unrolled: 1-line block ×4, first 2 shown]
	s_waitcnt vmcnt(1)
	v_fma_mix_f32 v6, v28, v6, 0 op_sel_hi:[1,0,0]
	v_fma_mix_f32 v5, v28, v5, 0 op_sel_hi:[1,0,0]
	s_waitcnt vmcnt(0)
	v_fma_mix_f32 v6, v29, v7, v6 op_sel_hi:[1,0,0]
	v_fma_mix_f32 v5, v29, v8, v5 op_sel_hi:[1,0,0]
	v_mul_f32_e32 v6, v6, v22
	v_fma_mix_f32 v5, v5, v23, -v6 op_sel_hi:[0,1,0]
	v_add_f32_e32 v11, v11, v5
	s_andn2_b64 exec, exec, s[4:5]
	s_cbranch_execz .LBB282_8
.LBB282_4:                              ; =>This Inner Loop Header: Depth=1
	v_add_u32_e32 v5, v12, v10
	v_mad_i64_i32 v[5:6], s[0:1], v5, s13, v[3:4]
                                        ; implicit-def: $vgpr20
	v_add_co_u32_e64 v7, s[0:1], v5, v13
	v_addc_co_u32_e64 v8, s[0:1], 0, v6, s[0:1]
	v_add_co_u32_e64 v7, s[0:1], v7, v14
	v_addc_co_u32_e64 v8, s[0:1], 0, v8, s[0:1]
	global_load_dword v18, v[7:8], off offset:16
	global_load_dword v19, v[7:8], off offset:32
	v_add_co_u32_e64 v7, s[0:1], v5, v16
	v_addc_co_u32_e64 v8, s[0:1], 0, v6, s[0:1]
	s_and_saveexec_b64 s[0:1], vcc
	s_xor_b64 s[0:1], exec, s[0:1]
	s_cbranch_execz .LBB282_6
; %bb.5:                                ;   in Loop: Header=BB282_4 Depth=1
	global_load_ushort v20, v[7:8], off
	global_load_ushort v21, v[7:8], off offset:8
	global_load_ushort v22, v[7:8], off offset:4
	s_waitcnt vmcnt(1)
	v_perm_b32 v7, v20, v21, s3
	s_waitcnt vmcnt(0)
	v_perm_b32 v8, v21, v22, s3
	v_pk_lshrrev_b16 v8, 2, v8
	v_pk_lshrrev_b16 v7, s9, v7
	v_and_b32_e32 v8, 0xf0f3030, v8
	v_and_or_b32 v20, v7, s14, v8
                                        ; implicit-def: $vgpr7_vgpr8
.LBB282_6:                              ;   in Loop: Header=BB282_4 Depth=1
	s_andn2_saveexec_b64 s[0:1], s[0:1]
	s_cbranch_execz .LBB282_3
; %bb.7:                                ;   in Loop: Header=BB282_4 Depth=1
	global_load_ushort v20, v[7:8], off offset:4
	global_load_ushort v21, v[7:8], off offset:8
	s_waitcnt vmcnt(0)
	v_perm_b32 v7, v20, v21, s3
	v_and_b32_e32 v20, 0x3f3f3f3f, v7
	s_branch .LBB282_3
.LBB282_8:
	s_or_b64 exec, exec, s[4:5]
.LBB282_9:
	s_or_b64 exec, exec, s[10:11]
	v_mbcnt_lo_u32_b32 v1, -1, 0
	v_mbcnt_hi_u32_b32 v2, -1, v1
	v_and_b32_e32 v1, 64, v2
	v_add_u32_e32 v3, 64, v1
	v_xor_b32_e32 v1, 32, v2
	v_cmp_lt_i32_e32 vcc, v1, v3
	v_cndmask_b32_e32 v1, v2, v1, vcc
	v_lshlrev_b32_e32 v1, 2, v1
	ds_bpermute_b32 v1, v1, v11
	v_xor_b32_e32 v4, 16, v2
	v_cmp_lt_i32_e32 vcc, v4, v3
	v_cndmask_b32_e32 v4, v2, v4, vcc
	v_lshlrev_b32_e32 v4, 2, v4
	s_waitcnt lgkmcnt(0)
	v_add_f32_e32 v1, v11, v1
	ds_bpermute_b32 v4, v4, v1
	v_xor_b32_e32 v5, 8, v2
	v_cmp_lt_i32_e32 vcc, v5, v3
	s_waitcnt lgkmcnt(0)
	v_add_f32_e32 v1, v1, v4
	v_cndmask_b32_e32 v4, v2, v5, vcc
	v_lshlrev_b32_e32 v4, 2, v4
	ds_bpermute_b32 v4, v4, v1
	v_xor_b32_e32 v5, 4, v2
	v_cmp_lt_i32_e32 vcc, v5, v3
	s_waitcnt lgkmcnt(0)
	v_add_f32_e32 v1, v1, v4
	v_cndmask_b32_e32 v4, v2, v5, vcc
	v_lshlrev_b32_e32 v4, 2, v4
	;; [unrolled: 7-line block ×3, first 2 shown]
	ds_bpermute_b32 v4, v4, v1
	v_xor_b32_e32 v5, 1, v2
	v_cmp_lt_i32_e32 vcc, v5, v3
	v_cndmask_b32_e32 v2, v2, v5, vcc
	v_lshlrev_b32_e32 v2, 2, v2
	s_waitcnt lgkmcnt(0)
	v_add_f32_e32 v1, v1, v4
	ds_bpermute_b32 v2, v2, v1
	v_cmp_eq_u32_e32 vcc, 0, v0
	s_and_b64 exec, exec, vcc
	s_cbranch_execz .LBB282_11
; %bb.10:
	s_waitcnt lgkmcnt(0)
	v_add_f32_e32 v0, v1, v2
	v_bfe_u32 v1, v0, 16, 1
	s_movk_i32 s0, 0x7fff
	v_add3_u32 v1, v0, v1, s0
	v_cmp_o_f32_e32 vcc, v0, v0
	v_mov_b32_e32 v0, 0x7fc0
	s_mul_i32 s0, s2, s8
	v_cndmask_b32_sdwa v2, v0, v1, vcc dst_sel:DWORD dst_unused:UNUSED_PAD src0_sel:DWORD src1_sel:WORD_1
	v_add_u32_e32 v0, s0, v9
	v_mov_b32_e32 v1, 0
	v_lshlrev_b64 v[0:1], 1, v[0:1]
	v_mov_b32_e32 v3, s7
	v_add_co_u32_e32 v0, vcc, s6, v0
	v_addc_co_u32_e32 v1, vcc, v3, v1, vcc
	global_store_short v[0:1], v2, off
.LBB282_11:
	s_endpgm
	.section	.rodata,"a",@progbits
	.p2align	6, 0x0
	.amdhsa_kernel _ZL9moe_vec_qIN3c108BFloat16ELi256ELi32E10block_q4_KLi2EXadL_ZL17vec_dot_q4_K_q8_1PKvPK10block_q8_1RKiEEEvS4_S4_PT_PS8_iiii
		.amdhsa_group_segment_fixed_size 0
		.amdhsa_private_segment_fixed_size 0
		.amdhsa_kernarg_size 304
		.amdhsa_user_sgpr_count 6
		.amdhsa_user_sgpr_private_segment_buffer 1
		.amdhsa_user_sgpr_dispatch_ptr 0
		.amdhsa_user_sgpr_queue_ptr 0
		.amdhsa_user_sgpr_kernarg_segment_ptr 1
		.amdhsa_user_sgpr_dispatch_id 0
		.amdhsa_user_sgpr_flat_scratch_init 0
		.amdhsa_user_sgpr_private_segment_size 0
		.amdhsa_uses_dynamic_stack 0
		.amdhsa_system_sgpr_private_segment_wavefront_offset 0
		.amdhsa_system_sgpr_workgroup_id_x 1
		.amdhsa_system_sgpr_workgroup_id_y 0
		.amdhsa_system_sgpr_workgroup_id_z 1
		.amdhsa_system_sgpr_workgroup_info 0
		.amdhsa_system_vgpr_workitem_id 1
		.amdhsa_next_free_vgpr 30
		.amdhsa_next_free_sgpr 20
		.amdhsa_reserve_vcc 1
		.amdhsa_reserve_flat_scratch 0
		.amdhsa_float_round_mode_32 0
		.amdhsa_float_round_mode_16_64 0
		.amdhsa_float_denorm_mode_32 3
		.amdhsa_float_denorm_mode_16_64 3
		.amdhsa_dx10_clamp 1
		.amdhsa_ieee_mode 1
		.amdhsa_fp16_overflow 0
		.amdhsa_exception_fp_ieee_invalid_op 0
		.amdhsa_exception_fp_denorm_src 0
		.amdhsa_exception_fp_ieee_div_zero 0
		.amdhsa_exception_fp_ieee_overflow 0
		.amdhsa_exception_fp_ieee_underflow 0
		.amdhsa_exception_fp_ieee_inexact 0
		.amdhsa_exception_int_div_zero 0
	.end_amdhsa_kernel
	.section	.text._ZL9moe_vec_qIN3c108BFloat16ELi256ELi32E10block_q4_KLi2EXadL_ZL17vec_dot_q4_K_q8_1PKvPK10block_q8_1RKiEEEvS4_S4_PT_PS8_iiii,"axG",@progbits,_ZL9moe_vec_qIN3c108BFloat16ELi256ELi32E10block_q4_KLi2EXadL_ZL17vec_dot_q4_K_q8_1PKvPK10block_q8_1RKiEEEvS4_S4_PT_PS8_iiii,comdat
.Lfunc_end282:
	.size	_ZL9moe_vec_qIN3c108BFloat16ELi256ELi32E10block_q4_KLi2EXadL_ZL17vec_dot_q4_K_q8_1PKvPK10block_q8_1RKiEEEvS4_S4_PT_PS8_iiii, .Lfunc_end282-_ZL9moe_vec_qIN3c108BFloat16ELi256ELi32E10block_q4_KLi2EXadL_ZL17vec_dot_q4_K_q8_1PKvPK10block_q8_1RKiEEEvS4_S4_PT_PS8_iiii
                                        ; -- End function
	.set _ZL9moe_vec_qIN3c108BFloat16ELi256ELi32E10block_q4_KLi2EXadL_ZL17vec_dot_q4_K_q8_1PKvPK10block_q8_1RKiEEEvS4_S4_PT_PS8_iiii.num_vgpr, 30
	.set _ZL9moe_vec_qIN3c108BFloat16ELi256ELi32E10block_q4_KLi2EXadL_ZL17vec_dot_q4_K_q8_1PKvPK10block_q8_1RKiEEEvS4_S4_PT_PS8_iiii.num_agpr, 0
	.set _ZL9moe_vec_qIN3c108BFloat16ELi256ELi32E10block_q4_KLi2EXadL_ZL17vec_dot_q4_K_q8_1PKvPK10block_q8_1RKiEEEvS4_S4_PT_PS8_iiii.numbered_sgpr, 20
	.set _ZL9moe_vec_qIN3c108BFloat16ELi256ELi32E10block_q4_KLi2EXadL_ZL17vec_dot_q4_K_q8_1PKvPK10block_q8_1RKiEEEvS4_S4_PT_PS8_iiii.num_named_barrier, 0
	.set _ZL9moe_vec_qIN3c108BFloat16ELi256ELi32E10block_q4_KLi2EXadL_ZL17vec_dot_q4_K_q8_1PKvPK10block_q8_1RKiEEEvS4_S4_PT_PS8_iiii.private_seg_size, 0
	.set _ZL9moe_vec_qIN3c108BFloat16ELi256ELi32E10block_q4_KLi2EXadL_ZL17vec_dot_q4_K_q8_1PKvPK10block_q8_1RKiEEEvS4_S4_PT_PS8_iiii.uses_vcc, 1
	.set _ZL9moe_vec_qIN3c108BFloat16ELi256ELi32E10block_q4_KLi2EXadL_ZL17vec_dot_q4_K_q8_1PKvPK10block_q8_1RKiEEEvS4_S4_PT_PS8_iiii.uses_flat_scratch, 0
	.set _ZL9moe_vec_qIN3c108BFloat16ELi256ELi32E10block_q4_KLi2EXadL_ZL17vec_dot_q4_K_q8_1PKvPK10block_q8_1RKiEEEvS4_S4_PT_PS8_iiii.has_dyn_sized_stack, 0
	.set _ZL9moe_vec_qIN3c108BFloat16ELi256ELi32E10block_q4_KLi2EXadL_ZL17vec_dot_q4_K_q8_1PKvPK10block_q8_1RKiEEEvS4_S4_PT_PS8_iiii.has_recursion, 0
	.set _ZL9moe_vec_qIN3c108BFloat16ELi256ELi32E10block_q4_KLi2EXadL_ZL17vec_dot_q4_K_q8_1PKvPK10block_q8_1RKiEEEvS4_S4_PT_PS8_iiii.has_indirect_call, 0
	.section	.AMDGPU.csdata,"",@progbits
; Kernel info:
; codeLenInByte = 1308
; TotalNumSgprs: 24
; NumVgprs: 30
; ScratchSize: 0
; MemoryBound: 0
; FloatMode: 240
; IeeeMode: 1
; LDSByteSize: 0 bytes/workgroup (compile time only)
; SGPRBlocks: 2
; VGPRBlocks: 7
; NumSGPRsForWavesPerEU: 24
; NumVGPRsForWavesPerEU: 30
; Occupancy: 8
; WaveLimiterHint : 1
; COMPUTE_PGM_RSRC2:SCRATCH_EN: 0
; COMPUTE_PGM_RSRC2:USER_SGPR: 6
; COMPUTE_PGM_RSRC2:TRAP_HANDLER: 0
; COMPUTE_PGM_RSRC2:TGID_X_EN: 1
; COMPUTE_PGM_RSRC2:TGID_Y_EN: 0
; COMPUTE_PGM_RSRC2:TGID_Z_EN: 1
; COMPUTE_PGM_RSRC2:TIDIG_COMP_CNT: 1
	.section	.text._ZL9moe_vec_qIN3c108BFloat16ELi256ELi32E10block_q5_KLi2EXadL_ZL17vec_dot_q5_K_q8_1PKvPK10block_q8_1RKiEEEvS4_S4_PT_PS8_iiii,"axG",@progbits,_ZL9moe_vec_qIN3c108BFloat16ELi256ELi32E10block_q5_KLi2EXadL_ZL17vec_dot_q5_K_q8_1PKvPK10block_q8_1RKiEEEvS4_S4_PT_PS8_iiii,comdat
	.globl	_ZL9moe_vec_qIN3c108BFloat16ELi256ELi32E10block_q5_KLi2EXadL_ZL17vec_dot_q5_K_q8_1PKvPK10block_q8_1RKiEEEvS4_S4_PT_PS8_iiii ; -- Begin function _ZL9moe_vec_qIN3c108BFloat16ELi256ELi32E10block_q5_KLi2EXadL_ZL17vec_dot_q5_K_q8_1PKvPK10block_q8_1RKiEEEvS4_S4_PT_PS8_iiii
	.p2align	8
	.type	_ZL9moe_vec_qIN3c108BFloat16ELi256ELi32E10block_q5_KLi2EXadL_ZL17vec_dot_q5_K_q8_1PKvPK10block_q8_1RKiEEEvS4_S4_PT_PS8_iiii,@function
_ZL9moe_vec_qIN3c108BFloat16ELi256ELi32E10block_q5_KLi2EXadL_ZL17vec_dot_q5_K_q8_1PKvPK10block_q8_1RKiEEEvS4_S4_PT_PS8_iiii: ; @_ZL9moe_vec_qIN3c108BFloat16ELi256ELi32E10block_q5_KLi2EXadL_ZL17vec_dot_q5_K_q8_1PKvPK10block_q8_1RKiEEEvS4_S4_PT_PS8_iiii
; %bb.0:
	s_mov_b32 s8, s7
	s_load_dword s7, s[4:5], 0x3c
	s_load_dwordx4 s[0:3], s[4:5], 0x20
	s_waitcnt lgkmcnt(0)
	s_lshr_b32 s7, s7, 16
	s_mul_i32 s6, s6, s7
	v_add_u32_e32 v9, s6, v1
	v_cmp_gt_u32_e32 vcc, s2, v9
	s_and_saveexec_b64 s[6:7], vcc
	s_cbranch_execz .LBB283_11
; %bb.1:
	s_load_dwordx2 s[6:7], s[4:5], 0x10
	s_ashr_i32 s9, s1, 31
	s_lshr_b32 s9, s9, 24
	s_add_i32 s1, s1, s9
	s_ashr_i32 s12, s1, 8
	v_lshrrev_b32_e32 v10, 4, v0
	v_cmp_gt_u32_e32 vcc, s12, v10
	v_mov_b32_e32 v11, 0
	s_and_saveexec_b64 s[10:11], vcc
	s_cbranch_execz .LBB283_9
; %bb.2:
	s_load_dwordx2 s[14:15], s[4:5], 0x18
	v_cvt_f32_u32_e32 v1, s0
	s_mov_b32 s9, 0
	s_lshl_b64 s[16:17], s[8:9], 2
	v_mul_lo_u32 v12, v9, s12
	s_waitcnt lgkmcnt(0)
	s_add_u32 s14, s14, s16
	v_rcp_iflag_f32_e32 v1, v1
	s_addc_u32 s15, s15, s17
	s_load_dword s1, s[14:15], 0x0
	s_load_dwordx4 s[16:19], s[4:5], 0x0
	s_mul_i32 s4, s12, s2
	v_mul_f32_e32 v1, 0x4f7ffffe, v1
	v_cvt_u32_f32_e32 v1, v1
	s_waitcnt lgkmcnt(0)
	s_mul_i32 s1, s4, s1
	s_mul_hi_i32 s4, s1, 0xb0
	s_mulk_i32 s1, 0xb0
	s_add_u32 s14, s16, s1
	s_addc_u32 s15, s17, s4
	s_sub_i32 s1, 0, s0
	v_readfirstlane_b32 s4, v1
	s_mul_i32 s1, s1, s4
	s_mul_hi_u32 s1, s4, s1
	s_add_i32 s4, s4, s1
	s_mul_hi_u32 s1, s8, s4
	s_mul_i32 s4, s1, s0
	s_sub_i32 s4, s8, s4
	s_add_i32 s5, s1, 1
	s_sub_i32 s16, s4, s0
	s_cmp_ge_u32 s4, s0
	s_cselect_b32 s1, s5, s1
	s_cselect_b32 s4, s16, s4
	s_add_i32 s5, s1, 1
	s_cmp_ge_u32 s4, s0
	s_cselect_b32 s0, s5, s1
	s_mul_i32 s0, s0, s3
	s_mov_b32 s1, s9
	s_lshl_b64 s[0:1], s[0:1], 2
	v_lshlrev_b32_e32 v1, 1, v0
	s_add_u32 s0, s18, s0
	v_bfe_u32 v5, v1, 3, 2
	s_addc_u32 s1, s19, s1
	v_and_b32_e32 v2, 30, v1
	v_lshlrev_b32_e32 v15, 1, v5
	v_cmp_lt_u32_e32 vcc, 15, v2
	v_mad_u64_u32 v[1:2], s[0:1], v15, 36, s[0:1]
	v_and_b32_e32 v6, 3, v0
	v_mov_b32_e32 v3, s14
	s_movk_i32 s13, 0xb0
	v_lshlrev_b32_e32 v13, 5, v5
	v_mov_b32_e32 v11, 0
	v_lshlrev_b32_e32 v14, 2, v6
	v_lshlrev_b32_e32 v16, 3, v10
	s_mov_b64 s[4:5], 0
	v_mov_b32_e32 v4, s15
	v_lshlrev_b32_e32 v17, 1, v5
	s_mov_b32 s3, 0x5040100
	s_mov_b32 s9, 0x20004
	;; [unrolled: 1-line block ×3, first 2 shown]
	v_lshlrev_b32_e32 v18, 2, v6
	s_mov_b32 s15, 0x10101010
	s_mov_b32 s16, 0x1010101
	s_branch .LBB283_4
.LBB283_3:                              ;   in Loop: Header=BB283_4 Depth=1
	s_or_b64 exec, exec, s[0:1]
	v_mad_i64_i32 v[7:8], s[0:1], v16, 36, v[1:2]
	v_add_u32_e32 v10, 4, v10
	v_add_u32_e32 v16, 32, v16
	v_add_co_u32_e64 v24, s[0:1], v7, v18
	v_addc_co_u32_e64 v25, s[0:1], 0, v8, s[0:1]
	global_load_dword v26, v[5:6], off
	global_load_dword v27, v[24:25], off offset:20
	global_load_dword v28, v[24:25], off offset:56
	;; [unrolled: 1-line block ×4, first 2 shown]
	global_load_dword v31, v[7:8], off
                                        ; kill: killed $vgpr5 killed $vgpr6
                                        ; kill: killed $vgpr24 killed $vgpr25
	global_load_dword v5, v[7:8], off offset:36
	s_waitcnt vmcnt(7)
	v_ashrrev_i32_e32 v6, v15, v23
	v_ashrrev_i32_e32 v7, v15, v22
	v_and_b32_e32 v8, 0xf0f0f0f, v21
	v_and_b32_e32 v22, 0xf0f0f0f, v19
	v_lshrrev_b32_e32 v21, 4, v21
	v_lshrrev_b32_e32 v19, 4, v19
	v_lshlrev_b32_e32 v33, 4, v6
	v_lshlrev_b32_e32 v32, 4, v7
	v_and_b32_e32 v21, 0xf0f0f0f, v21
	v_lshlrev_b32_e32 v7, 3, v7
	v_and_b32_e32 v19, 0xf0f0f0f, v19
	v_lshlrev_b32_e32 v6, 3, v6
	v_and_or_b32 v22, v33, s15, v22
	v_and_or_b32 v8, v32, s15, v8
	;; [unrolled: 1-line block ×4, first 2 shown]
	v_lshrrev_b16_e32 v23, 8, v20
	v_lshrrev_b32_e32 v24, 24, v20
	v_and_b32_e32 v25, 0xff, v20
	v_bfe_u32 v20, v20, 16, 8
	v_cmp_le_u32_e64 s[0:1], s12, v10
	s_or_b64 s[4:5], s[0:1], s[4:5]
	s_waitcnt vmcnt(6)
	v_cvt_f32_f16_sdwa v19, v26 dst_sel:DWORD dst_unused:UNUSED_PAD src0_sel:WORD_1
	s_waitcnt vmcnt(5)
	v_dot4_i32_i8 v21, v22, v27, 0
	v_dot4_i32_i8 v22, s16, v27, 0
	s_waitcnt vmcnt(4)
	v_dot4_i32_i8 v6, v6, v28, 0
	v_dot4_i32_i8 v27, s16, v28, 0
	;; [unrolled: 3-line block ×3, first 2 shown]
	v_dot4_i32_i8 v6, v7, v29, v6
	v_dot4_i32_i8 v7, s16, v29, v27
	v_mul_lo_u32 v8, v8, v20
	v_mul_lo_u32 v20, v21, v25
	;; [unrolled: 1-line block ×4, first 2 shown]
	v_cvt_f32_i32_e32 v8, v8
	v_cvt_f32_i32_e32 v20, v20
	;; [unrolled: 1-line block ×4, first 2 shown]
	s_waitcnt vmcnt(1)
	v_fma_mix_f32 v8, v31, v8, 0 op_sel_hi:[1,0,0]
	v_fma_mix_f32 v20, v31, v20, 0 op_sel_hi:[1,0,0]
	s_waitcnt vmcnt(0)
	v_fma_mix_f32 v6, v5, v6, v8 op_sel_hi:[1,0,0]
	v_fma_mix_f32 v5, v5, v7, v20 op_sel_hi:[1,0,0]
	v_mul_f32_e32 v5, v5, v19
	v_fma_mix_f32 v5, v6, v26, -v5 op_sel_hi:[0,1,0]
	v_add_f32_e32 v11, v11, v5
	s_andn2_b64 exec, exec, s[4:5]
	s_cbranch_execz .LBB283_8
.LBB283_4:                              ; =>This Inner Loop Header: Depth=1
	v_add_u32_e32 v5, v12, v10
	v_mad_i64_i32 v[5:6], s[0:1], v5, s13, v[3:4]
                                        ; implicit-def: $vgpr20
	v_add_co_u32_e64 v7, s[0:1], v5, v13
	v_addc_co_u32_e64 v8, s[0:1], 0, v6, s[0:1]
	v_add_co_u32_e64 v7, s[0:1], v7, v14
	v_addc_co_u32_e64 v8, s[0:1], 0, v8, s[0:1]
	;; [unrolled: 2-line block ×3, first 2 shown]
	global_load_dword v21, v[7:8], off offset:48
	global_load_dword v19, v[7:8], off offset:64
	;; [unrolled: 1-line block ×4, first 2 shown]
	v_add_co_u32_e64 v7, s[0:1], v5, v17
	v_addc_co_u32_e64 v8, s[0:1], 0, v6, s[0:1]
	s_and_saveexec_b64 s[0:1], vcc
	s_xor_b64 s[0:1], exec, s[0:1]
	s_cbranch_execz .LBB283_6
; %bb.5:                                ;   in Loop: Header=BB283_4 Depth=1
	global_load_ushort v20, v[7:8], off
	global_load_ushort v24, v[7:8], off offset:8
	global_load_ushort v25, v[7:8], off offset:4
	s_waitcnt vmcnt(1)
	v_perm_b32 v7, v20, v24, s3
	s_waitcnt vmcnt(0)
	v_perm_b32 v8, v24, v25, s3
	v_pk_lshrrev_b16 v8, 2, v8
	v_pk_lshrrev_b16 v7, s9, v7
	v_and_b32_e32 v8, 0xf0f3030, v8
	v_and_or_b32 v20, v7, s14, v8
                                        ; implicit-def: $vgpr7_vgpr8
.LBB283_6:                              ;   in Loop: Header=BB283_4 Depth=1
	s_andn2_saveexec_b64 s[0:1], s[0:1]
	s_cbranch_execz .LBB283_3
; %bb.7:                                ;   in Loop: Header=BB283_4 Depth=1
	global_load_ushort v20, v[7:8], off offset:4
	global_load_ushort v24, v[7:8], off offset:8
	s_waitcnt vmcnt(0)
	v_perm_b32 v7, v20, v24, s3
	v_and_b32_e32 v20, 0x3f3f3f3f, v7
	s_branch .LBB283_3
.LBB283_8:
	s_or_b64 exec, exec, s[4:5]
.LBB283_9:
	s_or_b64 exec, exec, s[10:11]
	v_mbcnt_lo_u32_b32 v1, -1, 0
	v_mbcnt_hi_u32_b32 v2, -1, v1
	v_and_b32_e32 v1, 64, v2
	v_add_u32_e32 v3, 64, v1
	v_xor_b32_e32 v1, 32, v2
	v_cmp_lt_i32_e32 vcc, v1, v3
	v_cndmask_b32_e32 v1, v2, v1, vcc
	v_lshlrev_b32_e32 v1, 2, v1
	ds_bpermute_b32 v1, v1, v11
	v_xor_b32_e32 v4, 16, v2
	v_cmp_lt_i32_e32 vcc, v4, v3
	v_cndmask_b32_e32 v4, v2, v4, vcc
	v_lshlrev_b32_e32 v4, 2, v4
	s_waitcnt lgkmcnt(0)
	v_add_f32_e32 v1, v11, v1
	ds_bpermute_b32 v4, v4, v1
	v_xor_b32_e32 v5, 8, v2
	v_cmp_lt_i32_e32 vcc, v5, v3
	s_waitcnt lgkmcnt(0)
	v_add_f32_e32 v1, v1, v4
	v_cndmask_b32_e32 v4, v2, v5, vcc
	v_lshlrev_b32_e32 v4, 2, v4
	ds_bpermute_b32 v4, v4, v1
	v_xor_b32_e32 v5, 4, v2
	v_cmp_lt_i32_e32 vcc, v5, v3
	s_waitcnt lgkmcnt(0)
	v_add_f32_e32 v1, v1, v4
	v_cndmask_b32_e32 v4, v2, v5, vcc
	v_lshlrev_b32_e32 v4, 2, v4
	;; [unrolled: 7-line block ×3, first 2 shown]
	ds_bpermute_b32 v4, v4, v1
	v_xor_b32_e32 v5, 1, v2
	v_cmp_lt_i32_e32 vcc, v5, v3
	v_cndmask_b32_e32 v2, v2, v5, vcc
	v_lshlrev_b32_e32 v2, 2, v2
	s_waitcnt lgkmcnt(0)
	v_add_f32_e32 v1, v1, v4
	ds_bpermute_b32 v2, v2, v1
	v_cmp_eq_u32_e32 vcc, 0, v0
	s_and_b64 exec, exec, vcc
	s_cbranch_execz .LBB283_11
; %bb.10:
	s_waitcnt lgkmcnt(0)
	v_add_f32_e32 v0, v1, v2
	v_bfe_u32 v1, v0, 16, 1
	s_movk_i32 s0, 0x7fff
	v_add3_u32 v1, v0, v1, s0
	v_cmp_o_f32_e32 vcc, v0, v0
	v_mov_b32_e32 v0, 0x7fc0
	s_mul_i32 s0, s2, s8
	v_cndmask_b32_sdwa v2, v0, v1, vcc dst_sel:DWORD dst_unused:UNUSED_PAD src0_sel:DWORD src1_sel:WORD_1
	v_add_u32_e32 v0, s0, v9
	v_mov_b32_e32 v1, 0
	v_lshlrev_b64 v[0:1], 1, v[0:1]
	v_mov_b32_e32 v3, s7
	v_add_co_u32_e32 v0, vcc, s6, v0
	v_addc_co_u32_e32 v1, vcc, v3, v1, vcc
	global_store_short v[0:1], v2, off
.LBB283_11:
	s_endpgm
	.section	.rodata,"a",@progbits
	.p2align	6, 0x0
	.amdhsa_kernel _ZL9moe_vec_qIN3c108BFloat16ELi256ELi32E10block_q5_KLi2EXadL_ZL17vec_dot_q5_K_q8_1PKvPK10block_q8_1RKiEEEvS4_S4_PT_PS8_iiii
		.amdhsa_group_segment_fixed_size 0
		.amdhsa_private_segment_fixed_size 0
		.amdhsa_kernarg_size 304
		.amdhsa_user_sgpr_count 6
		.amdhsa_user_sgpr_private_segment_buffer 1
		.amdhsa_user_sgpr_dispatch_ptr 0
		.amdhsa_user_sgpr_queue_ptr 0
		.amdhsa_user_sgpr_kernarg_segment_ptr 1
		.amdhsa_user_sgpr_dispatch_id 0
		.amdhsa_user_sgpr_flat_scratch_init 0
		.amdhsa_user_sgpr_private_segment_size 0
		.amdhsa_uses_dynamic_stack 0
		.amdhsa_system_sgpr_private_segment_wavefront_offset 0
		.amdhsa_system_sgpr_workgroup_id_x 1
		.amdhsa_system_sgpr_workgroup_id_y 0
		.amdhsa_system_sgpr_workgroup_id_z 1
		.amdhsa_system_sgpr_workgroup_info 0
		.amdhsa_system_vgpr_workitem_id 1
		.amdhsa_next_free_vgpr 34
		.amdhsa_next_free_sgpr 20
		.amdhsa_reserve_vcc 1
		.amdhsa_reserve_flat_scratch 0
		.amdhsa_float_round_mode_32 0
		.amdhsa_float_round_mode_16_64 0
		.amdhsa_float_denorm_mode_32 3
		.amdhsa_float_denorm_mode_16_64 3
		.amdhsa_dx10_clamp 1
		.amdhsa_ieee_mode 1
		.amdhsa_fp16_overflow 0
		.amdhsa_exception_fp_ieee_invalid_op 0
		.amdhsa_exception_fp_denorm_src 0
		.amdhsa_exception_fp_ieee_div_zero 0
		.amdhsa_exception_fp_ieee_overflow 0
		.amdhsa_exception_fp_ieee_underflow 0
		.amdhsa_exception_fp_ieee_inexact 0
		.amdhsa_exception_int_div_zero 0
	.end_amdhsa_kernel
	.section	.text._ZL9moe_vec_qIN3c108BFloat16ELi256ELi32E10block_q5_KLi2EXadL_ZL17vec_dot_q5_K_q8_1PKvPK10block_q8_1RKiEEEvS4_S4_PT_PS8_iiii,"axG",@progbits,_ZL9moe_vec_qIN3c108BFloat16ELi256ELi32E10block_q5_KLi2EXadL_ZL17vec_dot_q5_K_q8_1PKvPK10block_q8_1RKiEEEvS4_S4_PT_PS8_iiii,comdat
.Lfunc_end283:
	.size	_ZL9moe_vec_qIN3c108BFloat16ELi256ELi32E10block_q5_KLi2EXadL_ZL17vec_dot_q5_K_q8_1PKvPK10block_q8_1RKiEEEvS4_S4_PT_PS8_iiii, .Lfunc_end283-_ZL9moe_vec_qIN3c108BFloat16ELi256ELi32E10block_q5_KLi2EXadL_ZL17vec_dot_q5_K_q8_1PKvPK10block_q8_1RKiEEEvS4_S4_PT_PS8_iiii
                                        ; -- End function
	.set _ZL9moe_vec_qIN3c108BFloat16ELi256ELi32E10block_q5_KLi2EXadL_ZL17vec_dot_q5_K_q8_1PKvPK10block_q8_1RKiEEEvS4_S4_PT_PS8_iiii.num_vgpr, 34
	.set _ZL9moe_vec_qIN3c108BFloat16ELi256ELi32E10block_q5_KLi2EXadL_ZL17vec_dot_q5_K_q8_1PKvPK10block_q8_1RKiEEEvS4_S4_PT_PS8_iiii.num_agpr, 0
	.set _ZL9moe_vec_qIN3c108BFloat16ELi256ELi32E10block_q5_KLi2EXadL_ZL17vec_dot_q5_K_q8_1PKvPK10block_q8_1RKiEEEvS4_S4_PT_PS8_iiii.numbered_sgpr, 20
	.set _ZL9moe_vec_qIN3c108BFloat16ELi256ELi32E10block_q5_KLi2EXadL_ZL17vec_dot_q5_K_q8_1PKvPK10block_q8_1RKiEEEvS4_S4_PT_PS8_iiii.num_named_barrier, 0
	.set _ZL9moe_vec_qIN3c108BFloat16ELi256ELi32E10block_q5_KLi2EXadL_ZL17vec_dot_q5_K_q8_1PKvPK10block_q8_1RKiEEEvS4_S4_PT_PS8_iiii.private_seg_size, 0
	.set _ZL9moe_vec_qIN3c108BFloat16ELi256ELi32E10block_q5_KLi2EXadL_ZL17vec_dot_q5_K_q8_1PKvPK10block_q8_1RKiEEEvS4_S4_PT_PS8_iiii.uses_vcc, 1
	.set _ZL9moe_vec_qIN3c108BFloat16ELi256ELi32E10block_q5_KLi2EXadL_ZL17vec_dot_q5_K_q8_1PKvPK10block_q8_1RKiEEEvS4_S4_PT_PS8_iiii.uses_flat_scratch, 0
	.set _ZL9moe_vec_qIN3c108BFloat16ELi256ELi32E10block_q5_KLi2EXadL_ZL17vec_dot_q5_K_q8_1PKvPK10block_q8_1RKiEEEvS4_S4_PT_PS8_iiii.has_dyn_sized_stack, 0
	.set _ZL9moe_vec_qIN3c108BFloat16ELi256ELi32E10block_q5_KLi2EXadL_ZL17vec_dot_q5_K_q8_1PKvPK10block_q8_1RKiEEEvS4_S4_PT_PS8_iiii.has_recursion, 0
	.set _ZL9moe_vec_qIN3c108BFloat16ELi256ELi32E10block_q5_KLi2EXadL_ZL17vec_dot_q5_K_q8_1PKvPK10block_q8_1RKiEEEvS4_S4_PT_PS8_iiii.has_indirect_call, 0
	.section	.AMDGPU.csdata,"",@progbits
; Kernel info:
; codeLenInByte = 1396
; TotalNumSgprs: 24
; NumVgprs: 34
; ScratchSize: 0
; MemoryBound: 0
; FloatMode: 240
; IeeeMode: 1
; LDSByteSize: 0 bytes/workgroup (compile time only)
; SGPRBlocks: 2
; VGPRBlocks: 8
; NumSGPRsForWavesPerEU: 24
; NumVGPRsForWavesPerEU: 34
; Occupancy: 7
; WaveLimiterHint : 1
; COMPUTE_PGM_RSRC2:SCRATCH_EN: 0
; COMPUTE_PGM_RSRC2:USER_SGPR: 6
; COMPUTE_PGM_RSRC2:TRAP_HANDLER: 0
; COMPUTE_PGM_RSRC2:TGID_X_EN: 1
; COMPUTE_PGM_RSRC2:TGID_Y_EN: 0
; COMPUTE_PGM_RSRC2:TGID_Z_EN: 1
; COMPUTE_PGM_RSRC2:TIDIG_COMP_CNT: 1
	.section	.text._ZL9moe_vec_qIN3c108BFloat16ELi256ELi32E10block_q6_KLi1EXadL_ZL17vec_dot_q6_K_q8_1PKvPK10block_q8_1RKiEEEvS4_S4_PT_PS8_iiii,"axG",@progbits,_ZL9moe_vec_qIN3c108BFloat16ELi256ELi32E10block_q6_KLi1EXadL_ZL17vec_dot_q6_K_q8_1PKvPK10block_q8_1RKiEEEvS4_S4_PT_PS8_iiii,comdat
	.globl	_ZL9moe_vec_qIN3c108BFloat16ELi256ELi32E10block_q6_KLi1EXadL_ZL17vec_dot_q6_K_q8_1PKvPK10block_q8_1RKiEEEvS4_S4_PT_PS8_iiii ; -- Begin function _ZL9moe_vec_qIN3c108BFloat16ELi256ELi32E10block_q6_KLi1EXadL_ZL17vec_dot_q6_K_q8_1PKvPK10block_q8_1RKiEEEvS4_S4_PT_PS8_iiii
	.p2align	8
	.type	_ZL9moe_vec_qIN3c108BFloat16ELi256ELi32E10block_q6_KLi1EXadL_ZL17vec_dot_q6_K_q8_1PKvPK10block_q8_1RKiEEEvS4_S4_PT_PS8_iiii,@function
_ZL9moe_vec_qIN3c108BFloat16ELi256ELi32E10block_q6_KLi1EXadL_ZL17vec_dot_q6_K_q8_1PKvPK10block_q8_1RKiEEEvS4_S4_PT_PS8_iiii: ; @_ZL9moe_vec_qIN3c108BFloat16ELi256ELi32E10block_q6_KLi1EXadL_ZL17vec_dot_q6_K_q8_1PKvPK10block_q8_1RKiEEEvS4_S4_PT_PS8_iiii
; %bb.0:
	s_mov_b32 s8, s7
	s_load_dword s7, s[4:5], 0x3c
	s_load_dwordx4 s[0:3], s[4:5], 0x20
	s_waitcnt lgkmcnt(0)
	s_lshr_b32 s7, s7, 16
	s_mul_i32 s6, s6, s7
	v_add_u32_e32 v5, s6, v1
	v_cmp_gt_u32_e32 vcc, s2, v5
	s_and_saveexec_b64 s[6:7], vcc
	s_cbranch_execz .LBB284_7
; %bb.1:
	s_load_dwordx2 s[6:7], s[4:5], 0x10
	s_ashr_i32 s9, s1, 31
	s_lshr_b32 s9, s9, 24
	s_add_i32 s1, s1, s9
	s_ashr_i32 s12, s1, 8
	v_lshrrev_b32_e32 v6, 5, v0
	v_cmp_gt_u32_e32 vcc, s12, v6
	v_mov_b32_e32 v7, 0
	s_and_saveexec_b64 s[10:11], vcc
	s_cbranch_execz .LBB284_5
; %bb.2:
	s_load_dwordx2 s[14:15], s[4:5], 0x18
	v_cvt_f32_u32_e32 v1, s0
	s_mov_b32 s9, 0
	s_lshl_b64 s[16:17], s[8:9], 2
	v_mul_lo_u32 v8, v5, s12
	s_waitcnt lgkmcnt(0)
	s_add_u32 s14, s14, s16
	v_rcp_iflag_f32_e32 v1, v1
	s_addc_u32 s15, s15, s17
	s_load_dword s1, s[14:15], 0x0
	s_load_dwordx4 s[16:19], s[4:5], 0x0
	s_mul_i32 s4, s12, s2
	v_mul_f32_e32 v1, 0x4f7ffffe, v1
	v_cvt_u32_f32_e32 v1, v1
	s_waitcnt lgkmcnt(0)
	s_mul_i32 s1, s4, s1
	s_mul_hi_i32 s4, s1, 0xd2
	s_mulk_i32 s1, 0xd2
	s_add_u32 s14, s16, s1
	s_addc_u32 s15, s17, s4
	s_sub_i32 s1, 0, s0
	v_readfirstlane_b32 s4, v1
	s_mul_i32 s1, s1, s4
	s_mul_hi_u32 s1, s4, s1
	s_add_i32 s4, s4, s1
	s_mul_hi_u32 s1, s8, s4
	s_mul_i32 s4, s1, s0
	s_sub_i32 s4, s8, s4
	s_add_i32 s5, s1, 1
	s_sub_i32 s16, s4, s0
	s_cmp_ge_u32 s4, s0
	s_cselect_b32 s1, s5, s1
	s_cselect_b32 s4, s16, s4
	s_add_i32 s5, s1, 1
	s_cmp_ge_u32 s4, s0
	s_cselect_b32 s0, s5, s1
	v_and_b32_e32 v1, 31, v0
	s_mul_i32 s0, s0, s3
	s_mov_b32 s1, s9
	v_add_u32_e32 v2, 0xf0, v1
	v_cmp_gt_u32_e32 vcc, 16, v1
	s_lshl_b64 s[0:1], s[0:1], 2
	v_cndmask_b32_e32 v3, v2, v1, vcc
	v_cmp_lt_u32_e32 vcc, 15, v1
	s_add_u32 s0, s18, s0
	v_lshlrev_b32_e32 v9, 2, v1
	v_cndmask_b32_e64 v13, 0, 8, vcc
	v_and_b32_e32 v1, 7, v0
	s_addc_u32 s1, s19, s1
	v_or_b32_e32 v2, v13, v1
	v_lshlrev_b32_e32 v11, 2, v1
	v_cndmask_b32_e64 v1, 0, 4, vcc
	v_lshlrev_b32_e32 v10, 2, v2
	v_mad_u64_u32 v[1:2], s[0:1], v1, 36, s[0:1]
	v_and_b32_e32 v4, 0xf8, v3
	v_cmp_ne_u32_e32 vcc, 0, v4
	v_cndmask_b32_e64 v4, 0, 1, vcc
	v_mad_u64_u32 v[1:2], s[0:1], v4, 36, v[1:2]
	v_bfe_u32 v3, v3, 2, 6
	v_add_u32_e32 v13, v3, v13
	v_mov_b32_e32 v3, s14
	s_movk_i32 s13, 0xd2
	v_mov_b32_e32 v7, 0
	v_cndmask_b32_e64 v12, 0, 2, vcc
	v_lshlrev_b32_e32 v14, 3, v6
	s_mov_b64 s[4:5], 0
	v_mov_b32_e32 v4, s15
	s_mov_b32 s3, 0x30303030
	s_movk_i32 s9, 0x3f00
	s_movk_i32 s14, 0xe000
	v_mov_b32_e32 v15, 8
.LBB284_3:                              ; =>This Inner Loop Header: Depth=1
	v_add_u32_e32 v18, v8, v6
	v_mad_i64_i32 v[18:19], s[0:1], v18, s13, v[3:4]
	v_mad_i64_i32 v[16:17], s[0:1], v14, 36, v[1:2]
	v_add_co_u32_e64 v21, s[0:1], v18, v9
	v_addc_co_u32_e64 v22, s[0:1], 0, v19, s[0:1]
	v_add_co_u32_e64 v23, s[0:1], v18, v10
	v_addc_co_u32_e64 v24, s[0:1], 0, v19, s[0:1]
	global_load_dword v25, v[23:24], off offset:128
	global_load_dword v26, v[21:22], off
	v_add_co_u32_e32 v20, vcc, v16, v11
	v_addc_co_u32_e32 v21, vcc, 0, v17, vcc
	global_load_dword v22, v[20:21], off offset:4
	global_load_dword v23, v[20:21], off offset:76
	v_add_co_u32_e32 v20, vcc, v18, v13
	v_addc_co_u32_e32 v21, vcc, 0, v19, vcc
	global_load_sbyte v24, v[20:21], off offset:192
	global_load_sbyte v27, v[20:21], off offset:196
	global_load_dword v28, v[16:17], off
	global_load_dword v29, v[16:17], off offset:72
	global_load_ushort v30, v[18:19], off offset:208
	v_add_u32_e32 v6, 2, v6
	v_cmp_le_u32_e32 vcc, s12, v6
	v_add_u32_e32 v14, 16, v14
	s_or_b64 s[4:5], vcc, s[4:5]
	s_waitcnt vmcnt(8)
	v_ashrrev_i32_e32 v16, v12, v25
	s_waitcnt vmcnt(7)
	v_and_b32_e32 v17, 0xf0f0f0f, v26
	v_lshrrev_b32_e32 v18, 4, v26
	v_lshlrev_b32_e32 v19, 4, v16
	v_and_b32_e32 v18, 0xf0f0f0f, v18
	v_and_or_b32 v17, v19, s3, v17
	v_and_or_b32 v16, v16, s3, v18
	v_lshlrev_b16_e32 v18, 8, v17
	v_and_b32_e32 v19, 0x3f00, v17
	v_and_b32_sdwa v20, v17, s9 dst_sel:DWORD dst_unused:UNUSED_PAD src0_sel:WORD_1 src1_sel:DWORD
	v_lshlrev_b16_sdwa v17, v15, v17 dst_sel:DWORD dst_unused:UNUSED_PAD src0_sel:DWORD src1_sel:WORD_1
	v_add_u16_e32 v18, 0xe000, v18
	v_lshlrev_b16_e32 v21, 8, v16
	v_and_b32_e32 v25, 0x3f00, v16
	v_or_b32_sdwa v18, v19, v18 dst_sel:DWORD dst_unused:UNUSED_PAD src0_sel:DWORD src1_sel:BYTE_1
	v_and_b32_sdwa v19, v16, s9 dst_sel:DWORD dst_unused:UNUSED_PAD src0_sel:WORD_1 src1_sel:DWORD
	v_lshlrev_b16_sdwa v16, v15, v16 dst_sel:DWORD dst_unused:UNUSED_PAD src0_sel:DWORD src1_sel:WORD_1
	v_add_u16_e32 v17, 0xe000, v17
	v_add_u16_e32 v21, 0xe000, v21
	;; [unrolled: 1-line block ×3, first 2 shown]
	v_or_b32_sdwa v17, v20, v17 dst_sel:DWORD dst_unused:UNUSED_PAD src0_sel:DWORD src1_sel:BYTE_1
	v_or_b32_sdwa v20, v25, v21 dst_sel:DWORD dst_unused:UNUSED_PAD src0_sel:DWORD src1_sel:BYTE_1
	;; [unrolled: 1-line block ×3, first 2 shown]
	v_add_u16_e32 v18, 0xe000, v18
	v_add_u16_sdwa v17, v17, s14 dst_sel:WORD_1 dst_unused:UNUSED_PAD src0_sel:DWORD src1_sel:DWORD
	v_add_u16_e32 v19, 0xe000, v20
	v_add_u16_sdwa v16, v16, s14 dst_sel:WORD_1 dst_unused:UNUSED_PAD src0_sel:DWORD src1_sel:DWORD
	v_or_b32_e32 v17, v18, v17
	v_or_b32_e32 v16, v19, v16
	s_waitcnt vmcnt(6)
	v_dot4_i32_i8 v17, v17, v22, 0
	s_waitcnt vmcnt(5)
	v_dot4_i32_i8 v16, v16, v23, 0
	s_waitcnt vmcnt(4)
	v_mul_lo_u32 v17, v17, v24
	s_waitcnt vmcnt(3)
	v_mul_lo_u32 v16, v16, v27
	v_cvt_f32_i32_e32 v17, v17
	v_cvt_f32_i32_e32 v16, v16
	s_waitcnt vmcnt(2)
	v_fma_mix_f32 v17, v28, v17, 0 op_sel_hi:[1,0,0]
	s_waitcnt vmcnt(1)
	v_fma_mix_f32 v16, v29, v16, v17 op_sel_hi:[1,0,0]
	;; [unrolled: 2-line block ×3, first 2 shown]
	s_andn2_b64 exec, exec, s[4:5]
	s_cbranch_execnz .LBB284_3
; %bb.4:
	s_or_b64 exec, exec, s[4:5]
.LBB284_5:
	s_or_b64 exec, exec, s[10:11]
	v_mbcnt_lo_u32_b32 v1, -1, 0
	v_mbcnt_hi_u32_b32 v2, -1, v1
	v_and_b32_e32 v1, 64, v2
	v_add_u32_e32 v3, 64, v1
	v_xor_b32_e32 v1, 32, v2
	v_cmp_lt_i32_e32 vcc, v1, v3
	v_cndmask_b32_e32 v1, v2, v1, vcc
	v_lshlrev_b32_e32 v1, 2, v1
	ds_bpermute_b32 v1, v1, v7
	v_xor_b32_e32 v4, 16, v2
	v_cmp_lt_i32_e32 vcc, v4, v3
	v_cndmask_b32_e32 v4, v2, v4, vcc
	v_lshlrev_b32_e32 v4, 2, v4
	s_waitcnt lgkmcnt(0)
	v_add_f32_e32 v1, v7, v1
	ds_bpermute_b32 v4, v4, v1
	v_xor_b32_e32 v6, 8, v2
	v_cmp_lt_i32_e32 vcc, v6, v3
	s_waitcnt lgkmcnt(0)
	v_add_f32_e32 v1, v1, v4
	v_cndmask_b32_e32 v4, v2, v6, vcc
	v_lshlrev_b32_e32 v4, 2, v4
	ds_bpermute_b32 v4, v4, v1
	v_xor_b32_e32 v6, 4, v2
	v_cmp_lt_i32_e32 vcc, v6, v3
	s_waitcnt lgkmcnt(0)
	v_add_f32_e32 v1, v1, v4
	v_cndmask_b32_e32 v4, v2, v6, vcc
	v_lshlrev_b32_e32 v4, 2, v4
	;; [unrolled: 7-line block ×3, first 2 shown]
	ds_bpermute_b32 v4, v4, v1
	v_xor_b32_e32 v6, 1, v2
	v_cmp_lt_i32_e32 vcc, v6, v3
	v_cndmask_b32_e32 v2, v2, v6, vcc
	v_lshlrev_b32_e32 v2, 2, v2
	s_waitcnt lgkmcnt(0)
	v_add_f32_e32 v1, v1, v4
	ds_bpermute_b32 v2, v2, v1
	v_cmp_eq_u32_e32 vcc, 0, v0
	s_and_b64 exec, exec, vcc
	s_cbranch_execz .LBB284_7
; %bb.6:
	s_waitcnt lgkmcnt(0)
	v_add_f32_e32 v0, v1, v2
	v_bfe_u32 v1, v0, 16, 1
	s_movk_i32 s0, 0x7fff
	v_add3_u32 v1, v0, v1, s0
	v_cmp_o_f32_e32 vcc, v0, v0
	v_mov_b32_e32 v0, 0x7fc0
	s_mul_i32 s0, s2, s8
	v_cndmask_b32_sdwa v2, v0, v1, vcc dst_sel:DWORD dst_unused:UNUSED_PAD src0_sel:DWORD src1_sel:WORD_1
	v_add_u32_e32 v0, s0, v5
	v_mov_b32_e32 v1, 0
	v_lshlrev_b64 v[0:1], 1, v[0:1]
	v_mov_b32_e32 v3, s7
	v_add_co_u32_e32 v0, vcc, s6, v0
	v_addc_co_u32_e32 v1, vcc, v3, v1, vcc
	global_store_short v[0:1], v2, off
.LBB284_7:
	s_endpgm
	.section	.rodata,"a",@progbits
	.p2align	6, 0x0
	.amdhsa_kernel _ZL9moe_vec_qIN3c108BFloat16ELi256ELi32E10block_q6_KLi1EXadL_ZL17vec_dot_q6_K_q8_1PKvPK10block_q8_1RKiEEEvS4_S4_PT_PS8_iiii
		.amdhsa_group_segment_fixed_size 0
		.amdhsa_private_segment_fixed_size 0
		.amdhsa_kernarg_size 304
		.amdhsa_user_sgpr_count 6
		.amdhsa_user_sgpr_private_segment_buffer 1
		.amdhsa_user_sgpr_dispatch_ptr 0
		.amdhsa_user_sgpr_queue_ptr 0
		.amdhsa_user_sgpr_kernarg_segment_ptr 1
		.amdhsa_user_sgpr_dispatch_id 0
		.amdhsa_user_sgpr_flat_scratch_init 0
		.amdhsa_user_sgpr_private_segment_size 0
		.amdhsa_uses_dynamic_stack 0
		.amdhsa_system_sgpr_private_segment_wavefront_offset 0
		.amdhsa_system_sgpr_workgroup_id_x 1
		.amdhsa_system_sgpr_workgroup_id_y 0
		.amdhsa_system_sgpr_workgroup_id_z 1
		.amdhsa_system_sgpr_workgroup_info 0
		.amdhsa_system_vgpr_workitem_id 1
		.amdhsa_next_free_vgpr 31
		.amdhsa_next_free_sgpr 20
		.amdhsa_reserve_vcc 1
		.amdhsa_reserve_flat_scratch 0
		.amdhsa_float_round_mode_32 0
		.amdhsa_float_round_mode_16_64 0
		.amdhsa_float_denorm_mode_32 3
		.amdhsa_float_denorm_mode_16_64 3
		.amdhsa_dx10_clamp 1
		.amdhsa_ieee_mode 1
		.amdhsa_fp16_overflow 0
		.amdhsa_exception_fp_ieee_invalid_op 0
		.amdhsa_exception_fp_denorm_src 0
		.amdhsa_exception_fp_ieee_div_zero 0
		.amdhsa_exception_fp_ieee_overflow 0
		.amdhsa_exception_fp_ieee_underflow 0
		.amdhsa_exception_fp_ieee_inexact 0
		.amdhsa_exception_int_div_zero 0
	.end_amdhsa_kernel
	.section	.text._ZL9moe_vec_qIN3c108BFloat16ELi256ELi32E10block_q6_KLi1EXadL_ZL17vec_dot_q6_K_q8_1PKvPK10block_q8_1RKiEEEvS4_S4_PT_PS8_iiii,"axG",@progbits,_ZL9moe_vec_qIN3c108BFloat16ELi256ELi32E10block_q6_KLi1EXadL_ZL17vec_dot_q6_K_q8_1PKvPK10block_q8_1RKiEEEvS4_S4_PT_PS8_iiii,comdat
.Lfunc_end284:
	.size	_ZL9moe_vec_qIN3c108BFloat16ELi256ELi32E10block_q6_KLi1EXadL_ZL17vec_dot_q6_K_q8_1PKvPK10block_q8_1RKiEEEvS4_S4_PT_PS8_iiii, .Lfunc_end284-_ZL9moe_vec_qIN3c108BFloat16ELi256ELi32E10block_q6_KLi1EXadL_ZL17vec_dot_q6_K_q8_1PKvPK10block_q8_1RKiEEEvS4_S4_PT_PS8_iiii
                                        ; -- End function
	.set _ZL9moe_vec_qIN3c108BFloat16ELi256ELi32E10block_q6_KLi1EXadL_ZL17vec_dot_q6_K_q8_1PKvPK10block_q8_1RKiEEEvS4_S4_PT_PS8_iiii.num_vgpr, 31
	.set _ZL9moe_vec_qIN3c108BFloat16ELi256ELi32E10block_q6_KLi1EXadL_ZL17vec_dot_q6_K_q8_1PKvPK10block_q8_1RKiEEEvS4_S4_PT_PS8_iiii.num_agpr, 0
	.set _ZL9moe_vec_qIN3c108BFloat16ELi256ELi32E10block_q6_KLi1EXadL_ZL17vec_dot_q6_K_q8_1PKvPK10block_q8_1RKiEEEvS4_S4_PT_PS8_iiii.numbered_sgpr, 20
	.set _ZL9moe_vec_qIN3c108BFloat16ELi256ELi32E10block_q6_KLi1EXadL_ZL17vec_dot_q6_K_q8_1PKvPK10block_q8_1RKiEEEvS4_S4_PT_PS8_iiii.num_named_barrier, 0
	.set _ZL9moe_vec_qIN3c108BFloat16ELi256ELi32E10block_q6_KLi1EXadL_ZL17vec_dot_q6_K_q8_1PKvPK10block_q8_1RKiEEEvS4_S4_PT_PS8_iiii.private_seg_size, 0
	.set _ZL9moe_vec_qIN3c108BFloat16ELi256ELi32E10block_q6_KLi1EXadL_ZL17vec_dot_q6_K_q8_1PKvPK10block_q8_1RKiEEEvS4_S4_PT_PS8_iiii.uses_vcc, 1
	.set _ZL9moe_vec_qIN3c108BFloat16ELi256ELi32E10block_q6_KLi1EXadL_ZL17vec_dot_q6_K_q8_1PKvPK10block_q8_1RKiEEEvS4_S4_PT_PS8_iiii.uses_flat_scratch, 0
	.set _ZL9moe_vec_qIN3c108BFloat16ELi256ELi32E10block_q6_KLi1EXadL_ZL17vec_dot_q6_K_q8_1PKvPK10block_q8_1RKiEEEvS4_S4_PT_PS8_iiii.has_dyn_sized_stack, 0
	.set _ZL9moe_vec_qIN3c108BFloat16ELi256ELi32E10block_q6_KLi1EXadL_ZL17vec_dot_q6_K_q8_1PKvPK10block_q8_1RKiEEEvS4_S4_PT_PS8_iiii.has_recursion, 0
	.set _ZL9moe_vec_qIN3c108BFloat16ELi256ELi32E10block_q6_KLi1EXadL_ZL17vec_dot_q6_K_q8_1PKvPK10block_q8_1RKiEEEvS4_S4_PT_PS8_iiii.has_indirect_call, 0
	.section	.AMDGPU.csdata,"",@progbits
; Kernel info:
; codeLenInByte = 1228
; TotalNumSgprs: 24
; NumVgprs: 31
; ScratchSize: 0
; MemoryBound: 0
; FloatMode: 240
; IeeeMode: 1
; LDSByteSize: 0 bytes/workgroup (compile time only)
; SGPRBlocks: 2
; VGPRBlocks: 7
; NumSGPRsForWavesPerEU: 24
; NumVGPRsForWavesPerEU: 31
; Occupancy: 8
; WaveLimiterHint : 1
; COMPUTE_PGM_RSRC2:SCRATCH_EN: 0
; COMPUTE_PGM_RSRC2:USER_SGPR: 6
; COMPUTE_PGM_RSRC2:TRAP_HANDLER: 0
; COMPUTE_PGM_RSRC2:TGID_X_EN: 1
; COMPUTE_PGM_RSRC2:TGID_Y_EN: 0
; COMPUTE_PGM_RSRC2:TGID_Z_EN: 1
; COMPUTE_PGM_RSRC2:TIDIG_COMP_CNT: 1
	.section	.text._ZL9moe_vec_qIN3c108BFloat16ELi256ELi8E13block_iq2_xxsLi1EXadL_ZL20vec_dot_iq2_xxs_q8_1PKvPK10block_q8_1RKiEEEvS4_S4_PT_PS8_iiii,"axG",@progbits,_ZL9moe_vec_qIN3c108BFloat16ELi256ELi8E13block_iq2_xxsLi1EXadL_ZL20vec_dot_iq2_xxs_q8_1PKvPK10block_q8_1RKiEEEvS4_S4_PT_PS8_iiii,comdat
	.globl	_ZL9moe_vec_qIN3c108BFloat16ELi256ELi8E13block_iq2_xxsLi1EXadL_ZL20vec_dot_iq2_xxs_q8_1PKvPK10block_q8_1RKiEEEvS4_S4_PT_PS8_iiii ; -- Begin function _ZL9moe_vec_qIN3c108BFloat16ELi256ELi8E13block_iq2_xxsLi1EXadL_ZL20vec_dot_iq2_xxs_q8_1PKvPK10block_q8_1RKiEEEvS4_S4_PT_PS8_iiii
	.p2align	8
	.type	_ZL9moe_vec_qIN3c108BFloat16ELi256ELi8E13block_iq2_xxsLi1EXadL_ZL20vec_dot_iq2_xxs_q8_1PKvPK10block_q8_1RKiEEEvS4_S4_PT_PS8_iiii,@function
_ZL9moe_vec_qIN3c108BFloat16ELi256ELi8E13block_iq2_xxsLi1EXadL_ZL20vec_dot_iq2_xxs_q8_1PKvPK10block_q8_1RKiEEEvS4_S4_PT_PS8_iiii: ; @_ZL9moe_vec_qIN3c108BFloat16ELi256ELi8E13block_iq2_xxsLi1EXadL_ZL20vec_dot_iq2_xxs_q8_1PKvPK10block_q8_1RKiEEEvS4_S4_PT_PS8_iiii
; %bb.0:
	s_load_dword s0, s[4:5], 0x3c
	s_load_dwordx4 s[44:47], s[4:5], 0x20
	s_waitcnt lgkmcnt(0)
	s_lshr_b32 s0, s0, 16
	s_mul_i32 s6, s6, s0
	v_add_u32_e32 v9, s6, v1
	v_cmp_gt_u32_e32 vcc, s46, v9
	s_and_saveexec_b64 s[0:1], vcc
	s_cbranch_execz .LBB285_7
; %bb.1:
	s_load_dwordx2 s[50:51], s[4:5], 0x10
	s_ashr_i32 s0, s45, 31
	s_lshr_b32 s0, s0, 24
	s_add_i32 s0, s45, s0
	s_ashr_i32 s33, s0, 8
	v_lshrrev_b32_e32 v10, 3, v0
	s_mov_b32 s48, s7
	v_cmp_gt_u32_e32 vcc, s33, v10
	v_mov_b32_e32 v11, 0
	s_and_saveexec_b64 s[52:53], vcc
	s_cbranch_execz .LBB285_5
; %bb.2:
	s_load_dwordx2 s[0:1], s[4:5], 0x18
	v_cvt_f32_u32_e32 v1, s44
	s_mov_b32 s49, 0
	s_lshl_b64 s[2:3], s[48:49], 2
	v_mul_lo_u32 v12, v9, s33
	s_waitcnt lgkmcnt(0)
	s_add_u32 s6, s0, s2
	v_rcp_iflag_f32_e32 v1, v1
	s_addc_u32 s7, s1, s3
	s_load_dword s8, s[6:7], 0x0
	s_load_dwordx4 s[0:3], s[4:5], 0x0
	s_mul_i32 s4, s33, s46
	v_mul_f32_e32 v1, 0x4f7ffffe, v1
	v_cvt_u32_f32_e32 v1, v1
	s_waitcnt lgkmcnt(0)
	s_mul_i32 s4, s4, s8
	s_mul_hi_i32 s5, s4, 0x42
	s_mulk_i32 s4, 0x42
	s_add_u32 s0, s0, s4
	s_addc_u32 s1, s1, s5
	s_sub_i32 s4, 0, s44
	v_readfirstlane_b32 s5, v1
	s_mul_i32 s4, s4, s5
	s_mul_hi_u32 s4, s5, s4
	s_add_i32 s5, s5, s4
	s_mul_hi_u32 s4, s48, s5
	s_mul_i32 s5, s4, s44
	s_sub_i32 s5, s48, s5
	s_add_i32 s6, s4, 1
	s_sub_i32 s7, s5, s44
	s_cmp_ge_u32 s5, s44
	s_cselect_b32 s4, s6, s4
	s_cselect_b32 s5, s7, s5
	s_add_i32 s6, s4, 1
	s_cmp_ge_u32 s5, s44
	s_cselect_b32 s4, s6, s4
	s_mul_i32 s4, s4, s47
	s_mov_b32 s5, s49
	s_lshl_b64 s[4:5], s[4:5], 2
	s_add_u32 s2, s2, s4
	s_addc_u32 s3, s3, s5
	v_and_b32_e32 v1, 7, v0
	v_lshlrev_b32_e32 v5, 2, v1
	v_mad_u64_u32 v[1:2], s[2:3], v1, 36, s[2:3]
	v_mov_b32_e32 v4, s1
	s_movk_i32 s54, 0x42
	v_mov_b32_e32 v11, 0
	v_lshlrev_b32_e32 v13, 3, v10
	s_mov_b64 s[44:45], 0
	v_mov_b32_e32 v3, s0
	v_lshlrev_b32_e32 v14, 1, v5
	v_mov_b32_e32 v15, 3
.LBB285_3:                              ; =>This Inner Loop Header: Depth=1
	v_add_u32_e32 v5, v12, v10
	v_mad_i64_i32 v[5:6], s[2:3], v5, s54, v[3:4]
	v_mad_i64_i32 v[7:8], s[0:1], v13, 36, v[1:2]
	v_add_co_u32_e32 v53, vcc, v5, v14
	v_addc_co_u32_e32 v54, vcc, 0, v6, vcc
	global_load_dword v24, v[53:54], off offset:2
	s_getpc_b64 s[0:1]
	s_add_u32 s0, s0, _ZL11iq2xxs_grid@rel32@lo+4
	s_addc_u32 s1, s1, _ZL11iq2xxs_grid@rel32@hi+12
	global_load_dwordx4 v[16:19], v[7:8], off offset:4
	s_getpc_b64 s[6:7]
	s_add_u32 s6, s6, _ZL12ksigns_iq2xs@rel32@lo+4
	s_addc_u32 s7, s7, _ZL12ksigns_iq2xs@rel32@hi+12
	v_add_u32_e32 v10, 8, v10
	v_add_u32_e32 v13, 64, v13
	s_waitcnt vmcnt(1)
	v_lshlrev_b32_sdwa v25, v15, v24 dst_sel:DWORD dst_unused:UNUSED_PAD src0_sel:DWORD src1_sel:BYTE_0
	v_lshlrev_b32_sdwa v26, v15, v24 dst_sel:DWORD dst_unused:UNUSED_PAD src0_sel:DWORD src1_sel:BYTE_1
	global_load_dwordx2 v[20:21], v25, s[0:1]
	global_load_dwordx2 v[22:23], v26, s[0:1]
	s_waitcnt vmcnt(1)
	v_mul_i32_i24_sdwa v48, v20, sext(v16) dst_sel:DWORD dst_unused:UNUSED_PAD src0_sel:BYTE_0 src1_sel:BYTE_0
	v_mul_i32_i24_sdwa v47, v20, sext(v16) dst_sel:DWORD dst_unused:UNUSED_PAD src0_sel:BYTE_1 src1_sel:BYTE_1
	v_mul_i32_i24_sdwa v46, v20, sext(v16) dst_sel:DWORD dst_unused:UNUSED_PAD src0_sel:BYTE_2 src1_sel:BYTE_2
	v_mul_i32_i24_sdwa v45, v20, sext(v16) dst_sel:DWORD dst_unused:UNUSED_PAD src0_sel:BYTE_3 src1_sel:BYTE_3
	v_lshlrev_b32_sdwa v16, v15, v24 dst_sel:DWORD dst_unused:UNUSED_PAD src0_sel:DWORD src1_sel:BYTE_2
	v_mul_i32_i24_sdwa v44, v21, sext(v17) dst_sel:DWORD dst_unused:UNUSED_PAD src0_sel:BYTE_0 src1_sel:BYTE_0
	v_mul_i32_i24_sdwa v43, v21, sext(v17) dst_sel:DWORD dst_unused:UNUSED_PAD src0_sel:BYTE_1 src1_sel:BYTE_1
	v_mul_i32_i24_sdwa v42, v21, sext(v17) dst_sel:DWORD dst_unused:UNUSED_PAD src0_sel:BYTE_2 src1_sel:BYTE_2
	v_mul_i32_i24_sdwa v41, v21, sext(v17) dst_sel:DWORD dst_unused:UNUSED_PAD src0_sel:BYTE_3 src1_sel:BYTE_3
	global_load_dwordx2 v[16:17], v16, s[0:1]
	s_nop 0
	global_load_dwordx4 v[49:52], v[7:8], off offset:20
	s_waitcnt vmcnt(2)
	v_mul_i32_i24_sdwa v40, v22, sext(v18) dst_sel:DWORD dst_unused:UNUSED_PAD src0_sel:BYTE_0 src1_sel:BYTE_0
	v_mul_i32_i24_sdwa v38, v22, sext(v18) dst_sel:DWORD dst_unused:UNUSED_PAD src0_sel:BYTE_1 src1_sel:BYTE_1
	v_mul_i32_i24_sdwa v37, v22, sext(v18) dst_sel:DWORD dst_unused:UNUSED_PAD src0_sel:BYTE_2 src1_sel:BYTE_2
	v_mul_i32_i24_sdwa v36, v22, sext(v18) dst_sel:DWORD dst_unused:UNUSED_PAD src0_sel:BYTE_3 src1_sel:BYTE_3
	global_load_dword v39, v[53:54], off offset:6
	v_mul_i32_i24_sdwa v35, v23, sext(v19) dst_sel:DWORD dst_unused:UNUSED_PAD src0_sel:BYTE_0 src1_sel:BYTE_0
	v_mul_i32_i24_sdwa v34, v23, sext(v19) dst_sel:DWORD dst_unused:UNUSED_PAD src0_sel:BYTE_1 src1_sel:BYTE_1
	v_mul_i32_i24_sdwa v33, v23, sext(v19) dst_sel:DWORD dst_unused:UNUSED_PAD src0_sel:BYTE_2 src1_sel:BYTE_2
	v_mul_i32_i24_sdwa v29, v23, sext(v19) dst_sel:DWORD dst_unused:UNUSED_PAD src0_sel:BYTE_3 src1_sel:BYTE_3
	s_waitcnt vmcnt(1)
	v_mul_i32_i24_sdwa v32, v16, sext(v49) dst_sel:DWORD dst_unused:UNUSED_PAD src0_sel:BYTE_0 src1_sel:BYTE_0
	v_mul_i32_i24_sdwa v31, v16, sext(v49) dst_sel:DWORD dst_unused:UNUSED_PAD src0_sel:BYTE_1 src1_sel:BYTE_1
	v_mul_i32_i24_sdwa v30, v16, sext(v49) dst_sel:DWORD dst_unused:UNUSED_PAD src0_sel:BYTE_2 src1_sel:BYTE_2
	v_mul_i32_i24_sdwa v28, v16, sext(v49) dst_sel:DWORD dst_unused:UNUSED_PAD src0_sel:BYTE_3 src1_sel:BYTE_3
	v_lshlrev_b32_sdwa v16, v15, v24 dst_sel:DWORD dst_unused:UNUSED_PAD src0_sel:DWORD src1_sel:BYTE_3
	v_mul_i32_i24_sdwa v27, v17, sext(v50) dst_sel:DWORD dst_unused:UNUSED_PAD src0_sel:BYTE_0 src1_sel:BYTE_0
	v_mul_i32_i24_sdwa v26, v17, sext(v50) dst_sel:DWORD dst_unused:UNUSED_PAD src0_sel:BYTE_1 src1_sel:BYTE_1
	v_mul_i32_i24_sdwa v25, v17, sext(v50) dst_sel:DWORD dst_unused:UNUSED_PAD src0_sel:BYTE_2 src1_sel:BYTE_2
	v_mul_i32_i24_sdwa v22, v17, sext(v50) dst_sel:DWORD dst_unused:UNUSED_PAD src0_sel:BYTE_3 src1_sel:BYTE_3
	global_load_dwordx2 v[49:50], v16, s[0:1]
	s_waitcnt vmcnt(0)
	v_mul_i32_i24_sdwa v24, v49, sext(v51) dst_sel:DWORD dst_unused:UNUSED_PAD src0_sel:BYTE_0 src1_sel:BYTE_0
	v_mul_i32_i24_sdwa v23, v49, sext(v51) dst_sel:DWORD dst_unused:UNUSED_PAD src0_sel:BYTE_1 src1_sel:BYTE_1
	v_mul_i32_i24_sdwa v21, v49, sext(v51) dst_sel:DWORD dst_unused:UNUSED_PAD src0_sel:BYTE_2 src1_sel:BYTE_2
	v_mul_i32_i24_sdwa v20, v49, sext(v51) dst_sel:DWORD dst_unused:UNUSED_PAD src0_sel:BYTE_3 src1_sel:BYTE_3
	v_and_b32_e32 v49, 0x7f, v39
	v_mul_i32_i24_sdwa v19, v50, sext(v52) dst_sel:DWORD dst_unused:UNUSED_PAD src0_sel:BYTE_0 src1_sel:BYTE_0
	v_mul_i32_i24_sdwa v18, v50, sext(v52) dst_sel:DWORD dst_unused:UNUSED_PAD src0_sel:BYTE_1 src1_sel:BYTE_1
	v_mul_i32_i24_sdwa v17, v50, sext(v52) dst_sel:DWORD dst_unused:UNUSED_PAD src0_sel:BYTE_2 src1_sel:BYTE_2
	v_mul_i32_i24_sdwa v16, v50, sext(v52) dst_sel:DWORD dst_unused:UNUSED_PAD src0_sel:BYTE_3 src1_sel:BYTE_3
	global_load_sbyte v50, v49, s[6:7]
	s_waitcnt vmcnt(0)
	v_and_b32_e32 v51, 2, v50
	v_cmp_eq_u16_e32 vcc, 0, v51
	v_and_b32_e32 v51, 4, v50
	v_cmp_eq_u16_e64 s[0:1], 0, v51
	v_and_b32_e32 v51, 8, v50
	v_cmp_eq_u16_e64 s[2:3], 0, v51
	;; [unrolled: 2-line block ×3, first 2 shown]
	v_sub_u32_e32 v51, 0, v48
	v_cndmask_b32_e64 v48, v51, v48, s[4:5]
	v_sub_u32_e32 v51, 0, v47
	v_cndmask_b32_e32 v47, v51, v47, vcc
	v_sub_u32_e32 v51, 0, v46
	v_cndmask_b32_e64 v46, v51, v46, s[0:1]
	v_sub_u32_e32 v51, 0, v45
	v_cndmask_b32_e64 v45, v51, v45, s[2:3]
	v_add_u32_e32 v47, v47, v48
	v_add3_u32 v45, v47, v46, v45
	v_and_b32_e32 v46, 32, v50
	v_cmp_eq_u16_e32 vcc, 0, v46
	v_and_b32_e32 v46, 16, v50
	v_cmp_eq_u16_e64 s[0:1], 0, v46
	v_sub_u32_e32 v46, 0, v44
	v_cndmask_b32_e64 v44, v46, v44, s[0:1]
	v_sub_u32_e32 v46, 0, v43
	v_cndmask_b32_e32 v43, v46, v43, vcc
	v_add3_u32 v43, v45, v44, v43
	v_cmp_gt_u32_e32 vcc, 64, v49
	v_sub_u32_e32 v44, 0, v42
	v_cmp_gt_i16_e64 s[0:1], 0, v50
	v_cndmask_b32_e32 v42, v44, v42, vcc
	v_sub_u32_e32 v44, 0, v41
	v_cndmask_b32_e64 v41, v41, v44, s[0:1]
	v_add3_u32 v42, v43, v42, v41
	v_bfe_u32 v43, v39, 7, 7
	global_load_sbyte v41, v43, s[6:7]
	s_nop 0
	global_load_ushort v7, v[7:8], off
	s_nop 0
	global_load_ushort v6, v[5:6], off
	s_waitcnt vmcnt(2)
	v_and_b32_e32 v5, 8, v41
	v_cmp_eq_u16_e64 s[36:37], 0, v5
	v_and_b32_e32 v5, 4, v41
	v_cmp_eq_u16_e64 s[38:39], 0, v5
	v_and_b32_e32 v5, 32, v41
	v_cmp_eq_u16_e64 s[40:41], 0, v5
	v_and_b32_e32 v5, 16, v41
	v_cmp_eq_u16_e64 s[42:43], 0, v5
	v_bfe_u32 v5, v39, 14, 7
	v_cmp_gt_u32_e64 s[16:17], 64, v5
	global_load_sbyte v5, v5, s[6:7]
	v_and_b32_e32 v44, 2, v41
	v_cmp_eq_u16_e32 vcc, 0, v44
	v_and_b32_e32 v44, 1, v41
	v_cmp_eq_u16_e64 s[0:1], 0, v44
	v_sub_u32_e32 v44, 0, v40
	v_cndmask_b32_e64 v40, v44, v40, s[0:1]
	v_sub_u32_e32 v44, 0, v38
	v_cndmask_b32_e32 v38, v44, v38, vcc
	v_cmp_le_u32_e32 vcc, s33, v10
	s_or_b64 s[44:45], vcc, s[44:45]
	v_cmp_gt_u32_e64 s[0:1], 64, v43
	v_cmp_gt_i16_e64 s[20:21], 0, v41
	v_add3_u32 v38, v42, v40, v38
	s_waitcnt vmcnt(1)
	v_cvt_f32_f16_e32 v6, v6
	s_waitcnt vmcnt(0)
	v_and_b32_e32 v8, 2, v5
	v_cmp_eq_u16_e64 s[22:23], 0, v8
	v_and_b32_e32 v8, 1, v5
	v_cmp_eq_u16_e64 s[28:29], 0, v8
	;; [unrolled: 2-line block ×4, first 2 shown]
	v_and_b32_e32 v8, 32, v5
	v_cmp_gt_i16_e64 s[4:5], 0, v5
	v_and_b32_e32 v5, 16, v5
	v_cmp_eq_u16_e64 s[34:35], 0, v5
	v_bfe_u32 v5, v39, 21, 7
	v_cmp_eq_u16_e64 s[26:27], 0, v8
	global_load_sbyte v8, v5, s[6:7]
	v_cmp_gt_u32_e64 s[2:3], 64, v5
	s_waitcnt vmcnt(0)
	v_and_b32_e32 v5, 2, v8
	v_cmp_eq_u16_e64 s[6:7], 0, v5
	v_and_b32_e32 v5, 1, v8
	v_cmp_eq_u16_e64 s[14:15], 0, v5
	v_and_b32_e32 v5, 8, v8
	v_cmp_eq_u16_e64 s[8:9], 0, v5
	v_and_b32_e32 v5, 16, v8
	v_cmp_eq_u16_e64 s[10:11], 0, v5
	v_and_b32_e32 v5, 32, v8
	v_cmp_gt_i16_e32 vcc, 0, v8
	v_and_b32_e32 v8, 4, v8
	v_cmp_eq_u16_e64 s[18:19], 0, v8
	v_sub_u32_e32 v8, 0, v37
	v_cndmask_b32_e64 v8, v8, v37, s[38:39]
	v_sub_u32_e32 v37, 0, v36
	v_cndmask_b32_e64 v36, v37, v36, s[36:37]
	;; [unrolled: 2-line block ×13, first 2 shown]
	v_sub_u32_e32 v37, 0, v22
	v_add3_u32 v8, v38, v8, v36
	v_cndmask_b32_e64 v22, v22, v37, s[4:5]
	v_sub_u32_e32 v37, 0, v24
	v_add3_u32 v8, v8, v35, v34
	v_cndmask_b32_e64 v24, v37, v24, s[14:15]
	;; [unrolled: 3-line block ×5, first 2 shown]
	v_sub_u32_e32 v37, 0, v19
	v_add3_u32 v8, v8, v27, v26
	v_cmp_eq_u16_e64 s[12:13], 0, v5
	v_cndmask_b32_e64 v19, v37, v19, s[10:11]
	v_sub_u32_e32 v37, 0, v18
	v_add3_u32 v8, v8, v25, v22
	v_cndmask_b32_e64 v18, v37, v18, s[12:13]
	v_sub_u32_e32 v37, 0, v17
	v_add3_u32 v8, v8, v24, v23
	v_cndmask_b32_e64 v17, v37, v17, s[2:3]
	v_sub_u32_e32 v37, 0, v16
	v_add3_u32 v8, v8, v21, v20
	v_cvt_f32_f16_e32 v5, v7
	v_lshrrev_b32_e32 v7, 28, v39
	v_cndmask_b32_e32 v16, v16, v37, vcc
	v_add3_u32 v8, v8, v19, v18
	v_cvt_f32_ubyte0_e32 v7, v7
	v_add3_u32 v8, v8, v17, v16
	v_add_f32_e32 v7, 0.5, v7
	v_cvt_f32_i32_e32 v8, v8
	v_mul_f32_e32 v6, v7, v6
	v_mul_f32_e32 v5, v6, v5
	;; [unrolled: 1-line block ×3, first 2 shown]
	v_fmac_f32_e32 v11, v5, v8
	s_andn2_b64 exec, exec, s[44:45]
	s_cbranch_execnz .LBB285_3
; %bb.4:
	s_or_b64 exec, exec, s[44:45]
.LBB285_5:
	s_or_b64 exec, exec, s[52:53]
	v_mbcnt_lo_u32_b32 v1, -1, 0
	v_mbcnt_hi_u32_b32 v2, -1, v1
	v_and_b32_e32 v1, 64, v2
	v_add_u32_e32 v3, 64, v1
	v_xor_b32_e32 v1, 32, v2
	v_cmp_lt_i32_e32 vcc, v1, v3
	v_cndmask_b32_e32 v1, v2, v1, vcc
	v_lshlrev_b32_e32 v1, 2, v1
	ds_bpermute_b32 v1, v1, v11
	v_xor_b32_e32 v4, 16, v2
	v_cmp_lt_i32_e32 vcc, v4, v3
	v_cndmask_b32_e32 v4, v2, v4, vcc
	v_lshlrev_b32_e32 v4, 2, v4
	s_waitcnt lgkmcnt(0)
	v_add_f32_e32 v1, v11, v1
	ds_bpermute_b32 v4, v4, v1
	v_xor_b32_e32 v5, 8, v2
	v_cmp_lt_i32_e32 vcc, v5, v3
	s_waitcnt lgkmcnt(0)
	v_add_f32_e32 v1, v1, v4
	v_cndmask_b32_e32 v4, v2, v5, vcc
	v_lshlrev_b32_e32 v4, 2, v4
	ds_bpermute_b32 v4, v4, v1
	v_xor_b32_e32 v5, 4, v2
	v_cmp_lt_i32_e32 vcc, v5, v3
	s_waitcnt lgkmcnt(0)
	v_add_f32_e32 v1, v1, v4
	v_cndmask_b32_e32 v4, v2, v5, vcc
	v_lshlrev_b32_e32 v4, 2, v4
	;; [unrolled: 7-line block ×3, first 2 shown]
	ds_bpermute_b32 v4, v4, v1
	v_xor_b32_e32 v5, 1, v2
	v_cmp_lt_i32_e32 vcc, v5, v3
	v_cndmask_b32_e32 v2, v2, v5, vcc
	v_lshlrev_b32_e32 v2, 2, v2
	s_waitcnt lgkmcnt(0)
	v_add_f32_e32 v1, v1, v4
	ds_bpermute_b32 v2, v2, v1
	v_cmp_eq_u32_e32 vcc, 0, v0
	s_and_b64 exec, exec, vcc
	s_cbranch_execz .LBB285_7
; %bb.6:
	s_waitcnt lgkmcnt(0)
	v_add_f32_e32 v0, v1, v2
	v_bfe_u32 v1, v0, 16, 1
	s_movk_i32 s0, 0x7fff
	v_add3_u32 v1, v0, v1, s0
	v_cmp_o_f32_e32 vcc, v0, v0
	v_mov_b32_e32 v0, 0x7fc0
	s_mul_i32 s0, s46, s48
	v_cndmask_b32_sdwa v2, v0, v1, vcc dst_sel:DWORD dst_unused:UNUSED_PAD src0_sel:DWORD src1_sel:WORD_1
	v_add_u32_e32 v0, s0, v9
	v_mov_b32_e32 v1, 0
	v_lshlrev_b64 v[0:1], 1, v[0:1]
	v_mov_b32_e32 v3, s51
	v_add_co_u32_e32 v0, vcc, s50, v0
	v_addc_co_u32_e32 v1, vcc, v3, v1, vcc
	global_store_short v[0:1], v2, off
.LBB285_7:
	s_endpgm
	.section	.rodata,"a",@progbits
	.p2align	6, 0x0
	.amdhsa_kernel _ZL9moe_vec_qIN3c108BFloat16ELi256ELi8E13block_iq2_xxsLi1EXadL_ZL20vec_dot_iq2_xxs_q8_1PKvPK10block_q8_1RKiEEEvS4_S4_PT_PS8_iiii
		.amdhsa_group_segment_fixed_size 0
		.amdhsa_private_segment_fixed_size 0
		.amdhsa_kernarg_size 304
		.amdhsa_user_sgpr_count 6
		.amdhsa_user_sgpr_private_segment_buffer 1
		.amdhsa_user_sgpr_dispatch_ptr 0
		.amdhsa_user_sgpr_queue_ptr 0
		.amdhsa_user_sgpr_kernarg_segment_ptr 1
		.amdhsa_user_sgpr_dispatch_id 0
		.amdhsa_user_sgpr_flat_scratch_init 0
		.amdhsa_user_sgpr_private_segment_size 0
		.amdhsa_uses_dynamic_stack 0
		.amdhsa_system_sgpr_private_segment_wavefront_offset 0
		.amdhsa_system_sgpr_workgroup_id_x 1
		.amdhsa_system_sgpr_workgroup_id_y 0
		.amdhsa_system_sgpr_workgroup_id_z 1
		.amdhsa_system_sgpr_workgroup_info 0
		.amdhsa_system_vgpr_workitem_id 1
		.amdhsa_next_free_vgpr 55
		.amdhsa_next_free_sgpr 55
		.amdhsa_reserve_vcc 1
		.amdhsa_reserve_flat_scratch 0
		.amdhsa_float_round_mode_32 0
		.amdhsa_float_round_mode_16_64 0
		.amdhsa_float_denorm_mode_32 3
		.amdhsa_float_denorm_mode_16_64 3
		.amdhsa_dx10_clamp 1
		.amdhsa_ieee_mode 1
		.amdhsa_fp16_overflow 0
		.amdhsa_exception_fp_ieee_invalid_op 0
		.amdhsa_exception_fp_denorm_src 0
		.amdhsa_exception_fp_ieee_div_zero 0
		.amdhsa_exception_fp_ieee_overflow 0
		.amdhsa_exception_fp_ieee_underflow 0
		.amdhsa_exception_fp_ieee_inexact 0
		.amdhsa_exception_int_div_zero 0
	.end_amdhsa_kernel
	.section	.text._ZL9moe_vec_qIN3c108BFloat16ELi256ELi8E13block_iq2_xxsLi1EXadL_ZL20vec_dot_iq2_xxs_q8_1PKvPK10block_q8_1RKiEEEvS4_S4_PT_PS8_iiii,"axG",@progbits,_ZL9moe_vec_qIN3c108BFloat16ELi256ELi8E13block_iq2_xxsLi1EXadL_ZL20vec_dot_iq2_xxs_q8_1PKvPK10block_q8_1RKiEEEvS4_S4_PT_PS8_iiii,comdat
.Lfunc_end285:
	.size	_ZL9moe_vec_qIN3c108BFloat16ELi256ELi8E13block_iq2_xxsLi1EXadL_ZL20vec_dot_iq2_xxs_q8_1PKvPK10block_q8_1RKiEEEvS4_S4_PT_PS8_iiii, .Lfunc_end285-_ZL9moe_vec_qIN3c108BFloat16ELi256ELi8E13block_iq2_xxsLi1EXadL_ZL20vec_dot_iq2_xxs_q8_1PKvPK10block_q8_1RKiEEEvS4_S4_PT_PS8_iiii
                                        ; -- End function
	.set _ZL9moe_vec_qIN3c108BFloat16ELi256ELi8E13block_iq2_xxsLi1EXadL_ZL20vec_dot_iq2_xxs_q8_1PKvPK10block_q8_1RKiEEEvS4_S4_PT_PS8_iiii.num_vgpr, 55
	.set _ZL9moe_vec_qIN3c108BFloat16ELi256ELi8E13block_iq2_xxsLi1EXadL_ZL20vec_dot_iq2_xxs_q8_1PKvPK10block_q8_1RKiEEEvS4_S4_PT_PS8_iiii.num_agpr, 0
	.set _ZL9moe_vec_qIN3c108BFloat16ELi256ELi8E13block_iq2_xxsLi1EXadL_ZL20vec_dot_iq2_xxs_q8_1PKvPK10block_q8_1RKiEEEvS4_S4_PT_PS8_iiii.numbered_sgpr, 55
	.set _ZL9moe_vec_qIN3c108BFloat16ELi256ELi8E13block_iq2_xxsLi1EXadL_ZL20vec_dot_iq2_xxs_q8_1PKvPK10block_q8_1RKiEEEvS4_S4_PT_PS8_iiii.num_named_barrier, 0
	.set _ZL9moe_vec_qIN3c108BFloat16ELi256ELi8E13block_iq2_xxsLi1EXadL_ZL20vec_dot_iq2_xxs_q8_1PKvPK10block_q8_1RKiEEEvS4_S4_PT_PS8_iiii.private_seg_size, 0
	.set _ZL9moe_vec_qIN3c108BFloat16ELi256ELi8E13block_iq2_xxsLi1EXadL_ZL20vec_dot_iq2_xxs_q8_1PKvPK10block_q8_1RKiEEEvS4_S4_PT_PS8_iiii.uses_vcc, 1
	.set _ZL9moe_vec_qIN3c108BFloat16ELi256ELi8E13block_iq2_xxsLi1EXadL_ZL20vec_dot_iq2_xxs_q8_1PKvPK10block_q8_1RKiEEEvS4_S4_PT_PS8_iiii.uses_flat_scratch, 0
	.set _ZL9moe_vec_qIN3c108BFloat16ELi256ELi8E13block_iq2_xxsLi1EXadL_ZL20vec_dot_iq2_xxs_q8_1PKvPK10block_q8_1RKiEEEvS4_S4_PT_PS8_iiii.has_dyn_sized_stack, 0
	.set _ZL9moe_vec_qIN3c108BFloat16ELi256ELi8E13block_iq2_xxsLi1EXadL_ZL20vec_dot_iq2_xxs_q8_1PKvPK10block_q8_1RKiEEEvS4_S4_PT_PS8_iiii.has_recursion, 0
	.set _ZL9moe_vec_qIN3c108BFloat16ELi256ELi8E13block_iq2_xxsLi1EXadL_ZL20vec_dot_iq2_xxs_q8_1PKvPK10block_q8_1RKiEEEvS4_S4_PT_PS8_iiii.has_indirect_call, 0
	.section	.AMDGPU.csdata,"",@progbits
; Kernel info:
; codeLenInByte = 2088
; TotalNumSgprs: 59
; NumVgprs: 55
; ScratchSize: 0
; MemoryBound: 0
; FloatMode: 240
; IeeeMode: 1
; LDSByteSize: 0 bytes/workgroup (compile time only)
; SGPRBlocks: 7
; VGPRBlocks: 13
; NumSGPRsForWavesPerEU: 59
; NumVGPRsForWavesPerEU: 55
; Occupancy: 4
; WaveLimiterHint : 1
; COMPUTE_PGM_RSRC2:SCRATCH_EN: 0
; COMPUTE_PGM_RSRC2:USER_SGPR: 6
; COMPUTE_PGM_RSRC2:TRAP_HANDLER: 0
; COMPUTE_PGM_RSRC2:TGID_X_EN: 1
; COMPUTE_PGM_RSRC2:TGID_Y_EN: 0
; COMPUTE_PGM_RSRC2:TGID_Z_EN: 1
; COMPUTE_PGM_RSRC2:TIDIG_COMP_CNT: 1
	.section	.text._ZL9moe_vec_qIN3c108BFloat16ELi256ELi8E12block_iq2_xsLi1EXadL_ZL19vec_dot_iq2_xs_q8_1PKvPK10block_q8_1RKiEEEvS4_S4_PT_PS8_iiii,"axG",@progbits,_ZL9moe_vec_qIN3c108BFloat16ELi256ELi8E12block_iq2_xsLi1EXadL_ZL19vec_dot_iq2_xs_q8_1PKvPK10block_q8_1RKiEEEvS4_S4_PT_PS8_iiii,comdat
	.globl	_ZL9moe_vec_qIN3c108BFloat16ELi256ELi8E12block_iq2_xsLi1EXadL_ZL19vec_dot_iq2_xs_q8_1PKvPK10block_q8_1RKiEEEvS4_S4_PT_PS8_iiii ; -- Begin function _ZL9moe_vec_qIN3c108BFloat16ELi256ELi8E12block_iq2_xsLi1EXadL_ZL19vec_dot_iq2_xs_q8_1PKvPK10block_q8_1RKiEEEvS4_S4_PT_PS8_iiii
	.p2align	8
	.type	_ZL9moe_vec_qIN3c108BFloat16ELi256ELi8E12block_iq2_xsLi1EXadL_ZL19vec_dot_iq2_xs_q8_1PKvPK10block_q8_1RKiEEEvS4_S4_PT_PS8_iiii,@function
_ZL9moe_vec_qIN3c108BFloat16ELi256ELi8E12block_iq2_xsLi1EXadL_ZL19vec_dot_iq2_xs_q8_1PKvPK10block_q8_1RKiEEEvS4_S4_PT_PS8_iiii: ; @_ZL9moe_vec_qIN3c108BFloat16ELi256ELi8E12block_iq2_xsLi1EXadL_ZL19vec_dot_iq2_xs_q8_1PKvPK10block_q8_1RKiEEEvS4_S4_PT_PS8_iiii
; %bb.0:
	s_load_dword s0, s[4:5], 0x3c
	s_load_dwordx4 s[40:43], s[4:5], 0x20
	s_waitcnt lgkmcnt(0)
	s_lshr_b32 s0, s0, 16
	s_mul_i32 s6, s6, s0
	v_add_u32_e32 v11, s6, v1
	v_cmp_gt_u32_e32 vcc, s42, v11
	s_and_saveexec_b64 s[0:1], vcc
	s_cbranch_execz .LBB286_7
; %bb.1:
	s_load_dwordx2 s[46:47], s[4:5], 0x10
	s_ashr_i32 s0, s41, 31
	s_lshr_b32 s0, s0, 24
	s_add_i32 s0, s41, s0
	s_ashr_i32 s33, s0, 8
	v_lshrrev_b32_e32 v12, 3, v0
	s_mov_b32 s44, s7
	v_cmp_gt_u32_e32 vcc, s33, v12
	v_mov_b32_e32 v13, 0
	s_and_saveexec_b64 s[48:49], vcc
	s_cbranch_execz .LBB286_5
; %bb.2:
	s_load_dwordx2 s[0:1], s[4:5], 0x18
	v_cvt_f32_u32_e32 v1, s40
	s_mov_b32 s45, 0
	s_lshl_b64 s[2:3], s[44:45], 2
	v_and_b32_e32 v15, 7, v0
	s_waitcnt lgkmcnt(0)
	s_add_u32 s6, s0, s2
	v_rcp_iflag_f32_e32 v1, v1
	s_addc_u32 s7, s1, s3
	s_load_dword s8, s[6:7], 0x0
	s_load_dwordx4 s[0:3], s[4:5], 0x0
	s_mul_i32 s4, s33, s42
	v_mul_f32_e32 v1, 0x4f7ffffe, v1
	v_cvt_u32_f32_e32 v1, v1
	s_waitcnt lgkmcnt(0)
	s_mul_i32 s4, s4, s8
	s_mul_hi_i32 s5, s4, 0x4a
	s_mulk_i32 s4, 0x4a
	s_add_u32 s0, s0, s4
	s_addc_u32 s1, s1, s5
	s_sub_i32 s4, 0, s40
	v_readfirstlane_b32 s5, v1
	s_mul_i32 s4, s4, s5
	s_mul_hi_u32 s4, s5, s4
	s_add_i32 s5, s5, s4
	s_mul_hi_u32 s4, s44, s5
	s_mul_i32 s5, s4, s40
	s_sub_i32 s5, s44, s5
	s_add_i32 s6, s4, 1
	s_sub_i32 s7, s5, s40
	s_cmp_ge_u32 s5, s40
	s_cselect_b32 s4, s6, s4
	s_cselect_b32 s5, s7, s5
	s_add_i32 s6, s4, 1
	s_cmp_ge_u32 s5, s40
	s_cselect_b32 s4, s6, s4
	s_mul_i32 s4, s4, s43
	s_mov_b32 s5, s45
	s_lshl_b64 s[4:5], s[4:5], 2
	s_add_u32 s2, s2, s4
	s_addc_u32 s3, s3, s5
	v_mul_lo_u32 v14, v11, s33
	v_mad_u64_u32 v[1:2], s[2:3], v15, 36, s[2:3]
	v_lshlrev_b32_e32 v5, 2, v15
	v_mov_b32_e32 v4, s1
	s_movk_i32 s50, 0x4a
	v_mov_b32_e32 v16, 0
	v_lshlrev_b32_e32 v17, 3, v12
	s_mov_b64 s[40:41], 0
	v_mov_b32_e32 v3, s0
	v_lshlrev_b32_e32 v18, 1, v5
	v_mov_b32_e32 v13, 0
.LBB286_3:                              ; =>This Inner Loop Header: Depth=1
	v_add_u32_e32 v5, v14, v12
	v_mad_i64_i32 v[9:10], s[2:3], v5, s50, v[3:4]
	v_mad_i64_i32 v[7:8], s[0:1], v17, 36, v[1:2]
	v_add_co_u32_e32 v5, vcc, v9, v18
	v_addc_co_u32_e32 v6, vcc, 0, v10, vcc
	global_load_dwordx2 v[5:6], v[5:6], off offset:2
	s_getpc_b64 s[0:1]
	s_add_u32 s0, s0, _ZL10iq2xs_grid@rel32@lo+4
	s_addc_u32 s1, s1, _ZL10iq2xs_grid@rel32@hi+12
	global_load_dwordx4 v[25:28], v[7:8], off offset:4
	s_getpc_b64 s[8:9]
	s_add_u32 s8, s8, _ZL12ksigns_iq2xs@rel32@lo+4
	s_addc_u32 s9, s9, _ZL12ksigns_iq2xs@rel32@hi+12
	v_add_u32_e32 v12, 8, v12
	v_add_u32_e32 v17, 64, v17
	s_waitcnt vmcnt(1)
	v_and_b32_e32 v19, 0x1ff, v5
	v_lshrrev_b32_e32 v20, 13, v5
	v_lshlrev_b32_e32 v21, 3, v19
	v_and_b32_e32 v22, 0xff8, v20
	global_load_dwordx2 v[19:20], v21, s[0:1]
	global_load_dwordx2 v[31:32], v22, s[0:1]
	v_cmp_gt_i16_e64 s[6:7], 0, v5
	s_waitcnt vmcnt(1)
	v_mul_i32_i24_sdwa v49, v19, sext(v25) dst_sel:DWORD dst_unused:UNUSED_PAD src0_sel:BYTE_0 src1_sel:BYTE_0
	v_mul_i32_i24_sdwa v47, v19, sext(v25) dst_sel:DWORD dst_unused:UNUSED_PAD src0_sel:BYTE_1 src1_sel:BYTE_1
	v_mul_i32_i24_sdwa v45, v19, sext(v25) dst_sel:DWORD dst_unused:UNUSED_PAD src0_sel:BYTE_2 src1_sel:BYTE_2
	v_mul_i32_i24_sdwa v43, v19, sext(v25) dst_sel:DWORD dst_unused:UNUSED_PAD src0_sel:BYTE_3 src1_sel:BYTE_3
	v_mul_i32_i24_sdwa v40, v20, sext(v26) dst_sel:DWORD dst_unused:UNUSED_PAD src0_sel:BYTE_0 src1_sel:BYTE_0
	v_mul_i32_i24_sdwa v39, v20, sext(v26) dst_sel:DWORD dst_unused:UNUSED_PAD src0_sel:BYTE_1 src1_sel:BYTE_1
	v_mul_i32_i24_sdwa v30, v20, sext(v26) dst_sel:DWORD dst_unused:UNUSED_PAD src0_sel:BYTE_2 src1_sel:BYTE_2
	v_mul_i32_i24_sdwa v29, v20, sext(v26) dst_sel:DWORD dst_unused:UNUSED_PAD src0_sel:BYTE_3 src1_sel:BYTE_3
	s_waitcnt vmcnt(0)
	v_mul_i32_i24_sdwa v26, v31, sext(v27) dst_sel:DWORD dst_unused:UNUSED_PAD src0_sel:BYTE_0 src1_sel:BYTE_0
	v_mul_i32_i24_sdwa v25, v31, sext(v27) dst_sel:DWORD dst_unused:UNUSED_PAD src0_sel:BYTE_1 src1_sel:BYTE_1
	v_mul_i32_i24_sdwa v24, v31, sext(v27) dst_sel:DWORD dst_unused:UNUSED_PAD src0_sel:BYTE_2 src1_sel:BYTE_2
	v_mul_i32_i24_sdwa v23, v31, sext(v27) dst_sel:DWORD dst_unused:UNUSED_PAD src0_sel:BYTE_3 src1_sel:BYTE_3
	v_and_b32_e32 v27, 0x1ff, v6
	v_lshlrev_b32_e32 v27, 3, v27
	v_mul_i32_i24_sdwa v22, v32, sext(v28) dst_sel:DWORD dst_unused:UNUSED_PAD src0_sel:BYTE_0 src1_sel:BYTE_0
	v_mul_i32_i24_sdwa v21, v32, sext(v28) dst_sel:DWORD dst_unused:UNUSED_PAD src0_sel:BYTE_1 src1_sel:BYTE_1
	v_mul_i32_i24_sdwa v20, v32, sext(v28) dst_sel:DWORD dst_unused:UNUSED_PAD src0_sel:BYTE_2 src1_sel:BYTE_2
	v_mul_i32_i24_sdwa v19, v32, sext(v28) dst_sel:DWORD dst_unused:UNUSED_PAD src0_sel:BYTE_3 src1_sel:BYTE_3
	global_load_dwordx2 v[27:28], v27, s[0:1]
	s_nop 0
	global_load_dwordx4 v[51:54], v[7:8], off offset:20
	s_waitcnt vmcnt(0)
	v_mul_i32_i24_sdwa v50, v27, sext(v51) dst_sel:DWORD dst_unused:UNUSED_PAD src0_sel:BYTE_0 src1_sel:BYTE_0
	v_mul_i32_i24_sdwa v48, v27, sext(v51) dst_sel:DWORD dst_unused:UNUSED_PAD src0_sel:BYTE_1 src1_sel:BYTE_1
	v_mul_i32_i24_sdwa v46, v27, sext(v51) dst_sel:DWORD dst_unused:UNUSED_PAD src0_sel:BYTE_2 src1_sel:BYTE_2
	v_mul_i32_i24_sdwa v44, v27, sext(v51) dst_sel:DWORD dst_unused:UNUSED_PAD src0_sel:BYTE_3 src1_sel:BYTE_3
	v_lshrrev_b32_e32 v27, 13, v6
	v_and_b32_e32 v27, 0xff8, v27
	v_mul_i32_i24_sdwa v42, v28, sext(v52) dst_sel:DWORD dst_unused:UNUSED_PAD src0_sel:BYTE_0 src1_sel:BYTE_0
	v_mul_i32_i24_sdwa v41, v28, sext(v52) dst_sel:DWORD dst_unused:UNUSED_PAD src0_sel:BYTE_1 src1_sel:BYTE_1
	v_mul_i32_i24_sdwa v36, v28, sext(v52) dst_sel:DWORD dst_unused:UNUSED_PAD src0_sel:BYTE_2 src1_sel:BYTE_2
	v_mul_i32_i24_sdwa v35, v28, sext(v52) dst_sel:DWORD dst_unused:UNUSED_PAD src0_sel:BYTE_3 src1_sel:BYTE_3
	global_load_dwordx2 v[51:52], v27, s[0:1]
	s_waitcnt vmcnt(0)
	v_mul_i32_i24_sdwa v38, v51, sext(v53) dst_sel:DWORD dst_unused:UNUSED_PAD src0_sel:BYTE_0 src1_sel:BYTE_0
	v_mul_i32_i24_sdwa v37, v51, sext(v53) dst_sel:DWORD dst_unused:UNUSED_PAD src0_sel:BYTE_1 src1_sel:BYTE_1
	v_mul_i32_i24_sdwa v34, v51, sext(v53) dst_sel:DWORD dst_unused:UNUSED_PAD src0_sel:BYTE_2 src1_sel:BYTE_2
	v_mul_i32_i24_sdwa v33, v51, sext(v53) dst_sel:DWORD dst_unused:UNUSED_PAD src0_sel:BYTE_3 src1_sel:BYTE_3
	v_bfe_u32 v51, v5, 9, 7
	global_load_sbyte v51, v51, s[8:9]
	v_mul_i32_i24_sdwa v32, v52, sext(v54) dst_sel:DWORD dst_unused:UNUSED_PAD src0_sel:BYTE_0 src1_sel:BYTE_0
	v_mul_i32_i24_sdwa v31, v52, sext(v54) dst_sel:DWORD dst_unused:UNUSED_PAD src0_sel:BYTE_1 src1_sel:BYTE_1
	v_mul_i32_i24_sdwa v28, v52, sext(v54) dst_sel:DWORD dst_unused:UNUSED_PAD src0_sel:BYTE_2 src1_sel:BYTE_2
	v_mul_i32_i24_sdwa v27, v52, sext(v54) dst_sel:DWORD dst_unused:UNUSED_PAD src0_sel:BYTE_3 src1_sel:BYTE_3
	global_load_ushort v8, v[7:8], off
	s_waitcnt vmcnt(1)
	v_and_b32_e32 v52, 2, v51
	v_cmp_eq_u16_e32 vcc, 0, v52
	v_and_b32_e32 v52, 4, v51
	v_cmp_eq_u16_e64 s[0:1], 0, v52
	v_and_b32_e32 v52, 8, v51
	v_cmp_eq_u16_e64 s[2:3], 0, v52
	;; [unrolled: 2-line block ×3, first 2 shown]
	v_sub_u32_e32 v52, 0, v49
	v_cndmask_b32_e64 v49, v52, v49, s[4:5]
	v_sub_u32_e32 v52, 0, v47
	v_cndmask_b32_e32 v47, v52, v47, vcc
	v_sub_u32_e32 v52, 0, v45
	v_cndmask_b32_e64 v45, v52, v45, s[0:1]
	v_sub_u32_e32 v52, 0, v43
	v_cndmask_b32_e64 v43, v52, v43, s[2:3]
	v_add_u32_e32 v47, v47, v49
	v_add3_u32 v45, v47, v45, v43
	v_bfe_u32 v43, v6, 9, 7
	global_load_sbyte v43, v43, s[8:9]
	v_sub_u32_e32 v49, 0, v48
	v_cmp_gt_i16_e64 s[36:37], 0, v51
	s_waitcnt vmcnt(0)
	v_and_b32_e32 v47, 2, v43
	v_cmp_eq_u16_e32 vcc, 0, v47
	v_and_b32_e32 v47, 4, v43
	v_cmp_eq_u16_e64 s[0:1], 0, v47
	v_and_b32_e32 v47, 8, v43
	v_cmp_eq_u16_e64 s[2:3], 0, v47
	;; [unrolled: 2-line block ×3, first 2 shown]
	v_sub_u32_e32 v47, 0, v50
	v_cndmask_b32_e32 v48, v49, v48, vcc
	v_sub_u32_e32 v49, 0, v46
	v_cndmask_b32_e64 v47, v47, v50, s[4:5]
	v_cndmask_b32_e64 v46, v49, v46, s[0:1]
	v_sub_u32_e32 v49, 0, v44
	v_cndmask_b32_e64 v44, v49, v44, s[2:3]
	v_add_u32_e32 v47, v48, v47
	v_add3_u32 v44, v47, v46, v44
	v_and_b32_e32 v46, 32, v51
	v_cmp_eq_u16_e32 vcc, 0, v46
	v_and_b32_e32 v46, 16, v51
	v_cmp_eq_u16_e64 s[0:1], 0, v46
	v_sub_u32_e32 v46, 0, v40
	v_cndmask_b32_e64 v40, v46, v40, s[0:1]
	v_sub_u32_e32 v46, 0, v39
	v_cndmask_b32_e32 v39, v46, v39, vcc
	v_add3_u32 v39, v45, v40, v39
	v_and_b32_e32 v40, 32, v43
	v_cmp_eq_u16_e32 vcc, 0, v40
	v_and_b32_e32 v40, 16, v43
	v_cmp_eq_u16_e64 s[0:1], 0, v40
	v_sub_u32_e32 v40, 0, v42
	v_cndmask_b32_e64 v40, v40, v42, s[0:1]
	v_sub_u32_e32 v42, 0, v41
	v_cndmask_b32_e32 v41, v42, v41, vcc
	v_add3_u32 v40, v44, v40, v41
	v_add_co_u32_e32 v41, vcc, v9, v15
	v_cmp_gt_i16_e64 s[4:5], 0, v6
	v_cmp_lt_i16_sdwa s[2:3], v6, v16 src0_sel:WORD_1 src1_sel:DWORD
	v_lshrrev_b32_e32 v6, 25, v6
	v_addc_co_u32_e32 v42, vcc, 0, v10, vcc
	global_load_ushort v9, v[9:10], off
	s_nop 0
	global_load_ubyte v7, v[41:42], off offset:66
	v_cmp_lt_i16_sdwa s[0:1], v5, v16 src0_sel:WORD_1 src1_sel:DWORD
	global_load_sbyte v6, v6, s[8:9]
	v_lshrrev_b32_e32 v5, 25, v5
	v_cmp_le_u32_e32 vcc, s33, v12
	s_or_b64 s[40:41], vcc, s[40:41]
	v_cmp_gt_i16_e64 s[16:17], 0, v43
	s_waitcnt vmcnt(0)
	v_and_b32_e32 v10, 2, v6
	v_cmp_eq_u16_e64 s[10:11], 0, v10
	v_and_b32_e32 v10, 1, v6
	v_cmp_eq_u16_e64 s[24:25], 0, v10
	global_load_sbyte v10, v5, s[8:9]
	v_cmp_gt_i16_e64 s[8:9], 0, v6
	s_waitcnt vmcnt(0)
	v_and_b32_e32 v5, 2, v10
	v_cmp_eq_u16_e64 s[12:13], 0, v5
	v_and_b32_e32 v5, 1, v10
	v_cmp_eq_u16_e64 s[26:27], 0, v5
	;; [unrolled: 2-line block ×9, first 2 shown]
	v_cvt_f32_f16_e32 v5, v8
	v_cmp_gt_i16_e32 vcc, 0, v10
	v_and_b32_e32 v8, 16, v10
	v_sub_u32_e32 v10, 0, v36
	v_cndmask_b32_e64 v10, v36, v10, s[4:5]
	v_sub_u32_e32 v36, 0, v26
	v_cndmask_b32_e64 v26, v36, v26, s[26:27]
	;; [unrolled: 2-line block ×7, first 2 shown]
	v_sub_u32_e32 v36, 0, v32
	v_cvt_f32_f16_e32 v6, v9
	v_sub_u32_e32 v9, 0, v29
	v_cndmask_b32_e64 v32, v36, v32, s[34:35]
	v_sub_u32_e32 v36, 0, v31
	v_cmp_eq_u16_e64 s[38:39], 0, v8
	v_sub_u32_e32 v8, 0, v30
	v_cndmask_b32_e64 v9, v29, v9, s[36:37]
	v_sub_u32_e32 v29, 0, v35
	v_cndmask_b32_e64 v31, v36, v31, s[20:21]
	;; [unrolled: 2-line block ×3, first 2 shown]
	v_cndmask_b32_e64 v29, v35, v29, s[16:17]
	v_sub_u32_e32 v30, 0, v38
	v_sub_u32_e32 v35, 0, v37
	v_cndmask_b32_e64 v22, v36, v22, s[38:39]
	v_sub_u32_e32 v36, 0, v21
	v_cndmask_b32_e64 v30, v30, v38, s[24:25]
	v_cndmask_b32_e64 v35, v35, v37, s[10:11]
	;; [unrolled: 1-line block ×3, first 2 shown]
	v_sub_u32_e32 v36, 0, v28
	v_add3_u32 v8, v39, v8, v9
	v_add3_u32 v9, v40, v10, v29
	v_cndmask_b32_e64 v28, v28, v36, s[2:3]
	v_sub_u32_e32 v36, 0, v27
	v_add3_u32 v9, v9, v30, v35
	v_cndmask_b32_e64 v27, v27, v36, s[8:9]
	v_sub_u32_e32 v36, 0, v20
	v_add3_u32 v8, v8, v26, v25
	v_add3_u32 v9, v9, v34, v33
	v_cndmask_b32_e64 v20, v20, v36, s[0:1]
	v_sub_u32_e32 v36, 0, v19
	v_add3_u32 v8, v8, v24, v23
	v_add3_u32 v9, v9, v32, v31
	v_cndmask_b32_e32 v19, v19, v36, vcc
	v_add3_u32 v8, v8, v22, v21
	v_add3_u32 v9, v9, v28, v27
	;; [unrolled: 1-line block ×3, first 2 shown]
	v_cvt_f32_i32_e32 v9, v9
	v_lshrrev_b16_e32 v36, 4, v7
	v_cvt_f32_i32_e32 v8, v8
	v_and_b32_e32 v7, 15, v7
	v_cvt_f32_ubyte0_e32 v36, v36
	v_cvt_f32_ubyte0_e32 v7, v7
	v_add_f32_e32 v36, 0.5, v36
	v_add_f32_e32 v7, 0.5, v7
	v_mul_f32_e32 v5, v6, v5
	v_mul_f32_e32 v6, v36, v9
	;; [unrolled: 1-line block ×3, first 2 shown]
	v_fmac_f32_e32 v6, v7, v8
	v_fmac_f32_e32 v13, v5, v6
	s_andn2_b64 exec, exec, s[40:41]
	s_cbranch_execnz .LBB286_3
; %bb.4:
	s_or_b64 exec, exec, s[40:41]
.LBB286_5:
	s_or_b64 exec, exec, s[48:49]
	v_mbcnt_lo_u32_b32 v1, -1, 0
	v_mbcnt_hi_u32_b32 v2, -1, v1
	v_and_b32_e32 v1, 64, v2
	v_add_u32_e32 v3, 64, v1
	v_xor_b32_e32 v1, 32, v2
	v_cmp_lt_i32_e32 vcc, v1, v3
	v_cndmask_b32_e32 v1, v2, v1, vcc
	v_lshlrev_b32_e32 v1, 2, v1
	ds_bpermute_b32 v1, v1, v13
	v_xor_b32_e32 v4, 16, v2
	v_cmp_lt_i32_e32 vcc, v4, v3
	v_cndmask_b32_e32 v4, v2, v4, vcc
	v_lshlrev_b32_e32 v4, 2, v4
	s_waitcnt lgkmcnt(0)
	v_add_f32_e32 v1, v13, v1
	ds_bpermute_b32 v4, v4, v1
	v_xor_b32_e32 v5, 8, v2
	v_cmp_lt_i32_e32 vcc, v5, v3
	s_waitcnt lgkmcnt(0)
	v_add_f32_e32 v1, v1, v4
	v_cndmask_b32_e32 v4, v2, v5, vcc
	v_lshlrev_b32_e32 v4, 2, v4
	ds_bpermute_b32 v4, v4, v1
	v_xor_b32_e32 v5, 4, v2
	v_cmp_lt_i32_e32 vcc, v5, v3
	s_waitcnt lgkmcnt(0)
	v_add_f32_e32 v1, v1, v4
	v_cndmask_b32_e32 v4, v2, v5, vcc
	v_lshlrev_b32_e32 v4, 2, v4
	;; [unrolled: 7-line block ×3, first 2 shown]
	ds_bpermute_b32 v4, v4, v1
	v_xor_b32_e32 v5, 1, v2
	v_cmp_lt_i32_e32 vcc, v5, v3
	v_cndmask_b32_e32 v2, v2, v5, vcc
	v_lshlrev_b32_e32 v2, 2, v2
	s_waitcnt lgkmcnt(0)
	v_add_f32_e32 v1, v1, v4
	ds_bpermute_b32 v2, v2, v1
	v_cmp_eq_u32_e32 vcc, 0, v0
	s_and_b64 exec, exec, vcc
	s_cbranch_execz .LBB286_7
; %bb.6:
	s_waitcnt lgkmcnt(0)
	v_add_f32_e32 v0, v1, v2
	v_bfe_u32 v1, v0, 16, 1
	s_movk_i32 s0, 0x7fff
	v_add3_u32 v1, v0, v1, s0
	v_cmp_o_f32_e32 vcc, v0, v0
	v_mov_b32_e32 v0, 0x7fc0
	s_mul_i32 s0, s42, s44
	v_cndmask_b32_sdwa v2, v0, v1, vcc dst_sel:DWORD dst_unused:UNUSED_PAD src0_sel:DWORD src1_sel:WORD_1
	v_add_u32_e32 v0, s0, v11
	v_mov_b32_e32 v1, 0
	v_lshlrev_b64 v[0:1], 1, v[0:1]
	v_mov_b32_e32 v3, s47
	v_add_co_u32_e32 v0, vcc, s46, v0
	v_addc_co_u32_e32 v1, vcc, v3, v1, vcc
	global_store_short v[0:1], v2, off
.LBB286_7:
	s_endpgm
	.section	.rodata,"a",@progbits
	.p2align	6, 0x0
	.amdhsa_kernel _ZL9moe_vec_qIN3c108BFloat16ELi256ELi8E12block_iq2_xsLi1EXadL_ZL19vec_dot_iq2_xs_q8_1PKvPK10block_q8_1RKiEEEvS4_S4_PT_PS8_iiii
		.amdhsa_group_segment_fixed_size 0
		.amdhsa_private_segment_fixed_size 0
		.amdhsa_kernarg_size 304
		.amdhsa_user_sgpr_count 6
		.amdhsa_user_sgpr_private_segment_buffer 1
		.amdhsa_user_sgpr_dispatch_ptr 0
		.amdhsa_user_sgpr_queue_ptr 0
		.amdhsa_user_sgpr_kernarg_segment_ptr 1
		.amdhsa_user_sgpr_dispatch_id 0
		.amdhsa_user_sgpr_flat_scratch_init 0
		.amdhsa_user_sgpr_private_segment_size 0
		.amdhsa_uses_dynamic_stack 0
		.amdhsa_system_sgpr_private_segment_wavefront_offset 0
		.amdhsa_system_sgpr_workgroup_id_x 1
		.amdhsa_system_sgpr_workgroup_id_y 0
		.amdhsa_system_sgpr_workgroup_id_z 1
		.amdhsa_system_sgpr_workgroup_info 0
		.amdhsa_system_vgpr_workitem_id 1
		.amdhsa_next_free_vgpr 55
		.amdhsa_next_free_sgpr 51
		.amdhsa_reserve_vcc 1
		.amdhsa_reserve_flat_scratch 0
		.amdhsa_float_round_mode_32 0
		.amdhsa_float_round_mode_16_64 0
		.amdhsa_float_denorm_mode_32 3
		.amdhsa_float_denorm_mode_16_64 3
		.amdhsa_dx10_clamp 1
		.amdhsa_ieee_mode 1
		.amdhsa_fp16_overflow 0
		.amdhsa_exception_fp_ieee_invalid_op 0
		.amdhsa_exception_fp_denorm_src 0
		.amdhsa_exception_fp_ieee_div_zero 0
		.amdhsa_exception_fp_ieee_overflow 0
		.amdhsa_exception_fp_ieee_underflow 0
		.amdhsa_exception_fp_ieee_inexact 0
		.amdhsa_exception_int_div_zero 0
	.end_amdhsa_kernel
	.section	.text._ZL9moe_vec_qIN3c108BFloat16ELi256ELi8E12block_iq2_xsLi1EXadL_ZL19vec_dot_iq2_xs_q8_1PKvPK10block_q8_1RKiEEEvS4_S4_PT_PS8_iiii,"axG",@progbits,_ZL9moe_vec_qIN3c108BFloat16ELi256ELi8E12block_iq2_xsLi1EXadL_ZL19vec_dot_iq2_xs_q8_1PKvPK10block_q8_1RKiEEEvS4_S4_PT_PS8_iiii,comdat
.Lfunc_end286:
	.size	_ZL9moe_vec_qIN3c108BFloat16ELi256ELi8E12block_iq2_xsLi1EXadL_ZL19vec_dot_iq2_xs_q8_1PKvPK10block_q8_1RKiEEEvS4_S4_PT_PS8_iiii, .Lfunc_end286-_ZL9moe_vec_qIN3c108BFloat16ELi256ELi8E12block_iq2_xsLi1EXadL_ZL19vec_dot_iq2_xs_q8_1PKvPK10block_q8_1RKiEEEvS4_S4_PT_PS8_iiii
                                        ; -- End function
	.set _ZL9moe_vec_qIN3c108BFloat16ELi256ELi8E12block_iq2_xsLi1EXadL_ZL19vec_dot_iq2_xs_q8_1PKvPK10block_q8_1RKiEEEvS4_S4_PT_PS8_iiii.num_vgpr, 55
	.set _ZL9moe_vec_qIN3c108BFloat16ELi256ELi8E12block_iq2_xsLi1EXadL_ZL19vec_dot_iq2_xs_q8_1PKvPK10block_q8_1RKiEEEvS4_S4_PT_PS8_iiii.num_agpr, 0
	.set _ZL9moe_vec_qIN3c108BFloat16ELi256ELi8E12block_iq2_xsLi1EXadL_ZL19vec_dot_iq2_xs_q8_1PKvPK10block_q8_1RKiEEEvS4_S4_PT_PS8_iiii.numbered_sgpr, 51
	.set _ZL9moe_vec_qIN3c108BFloat16ELi256ELi8E12block_iq2_xsLi1EXadL_ZL19vec_dot_iq2_xs_q8_1PKvPK10block_q8_1RKiEEEvS4_S4_PT_PS8_iiii.num_named_barrier, 0
	.set _ZL9moe_vec_qIN3c108BFloat16ELi256ELi8E12block_iq2_xsLi1EXadL_ZL19vec_dot_iq2_xs_q8_1PKvPK10block_q8_1RKiEEEvS4_S4_PT_PS8_iiii.private_seg_size, 0
	.set _ZL9moe_vec_qIN3c108BFloat16ELi256ELi8E12block_iq2_xsLi1EXadL_ZL19vec_dot_iq2_xs_q8_1PKvPK10block_q8_1RKiEEEvS4_S4_PT_PS8_iiii.uses_vcc, 1
	.set _ZL9moe_vec_qIN3c108BFloat16ELi256ELi8E12block_iq2_xsLi1EXadL_ZL19vec_dot_iq2_xs_q8_1PKvPK10block_q8_1RKiEEEvS4_S4_PT_PS8_iiii.uses_flat_scratch, 0
	.set _ZL9moe_vec_qIN3c108BFloat16ELi256ELi8E12block_iq2_xsLi1EXadL_ZL19vec_dot_iq2_xs_q8_1PKvPK10block_q8_1RKiEEEvS4_S4_PT_PS8_iiii.has_dyn_sized_stack, 0
	.set _ZL9moe_vec_qIN3c108BFloat16ELi256ELi8E12block_iq2_xsLi1EXadL_ZL19vec_dot_iq2_xs_q8_1PKvPK10block_q8_1RKiEEEvS4_S4_PT_PS8_iiii.has_recursion, 0
	.set _ZL9moe_vec_qIN3c108BFloat16ELi256ELi8E12block_iq2_xsLi1EXadL_ZL19vec_dot_iq2_xs_q8_1PKvPK10block_q8_1RKiEEEvS4_S4_PT_PS8_iiii.has_indirect_call, 0
	.section	.AMDGPU.csdata,"",@progbits
; Kernel info:
; codeLenInByte = 2112
; TotalNumSgprs: 55
; NumVgprs: 55
; ScratchSize: 0
; MemoryBound: 0
; FloatMode: 240
; IeeeMode: 1
; LDSByteSize: 0 bytes/workgroup (compile time only)
; SGPRBlocks: 6
; VGPRBlocks: 13
; NumSGPRsForWavesPerEU: 55
; NumVGPRsForWavesPerEU: 55
; Occupancy: 4
; WaveLimiterHint : 1
; COMPUTE_PGM_RSRC2:SCRATCH_EN: 0
; COMPUTE_PGM_RSRC2:USER_SGPR: 6
; COMPUTE_PGM_RSRC2:TRAP_HANDLER: 0
; COMPUTE_PGM_RSRC2:TGID_X_EN: 1
; COMPUTE_PGM_RSRC2:TGID_Y_EN: 0
; COMPUTE_PGM_RSRC2:TGID_Z_EN: 1
; COMPUTE_PGM_RSRC2:TIDIG_COMP_CNT: 1
	.section	.text._ZL9moe_vec_qIN3c108BFloat16ELi256ELi8E13block_iq3_xxsLi1EXadL_ZL20vec_dot_iq3_xxs_q8_1PKvPK10block_q8_1RKiEEEvS4_S4_PT_PS8_iiii,"axG",@progbits,_ZL9moe_vec_qIN3c108BFloat16ELi256ELi8E13block_iq3_xxsLi1EXadL_ZL20vec_dot_iq3_xxs_q8_1PKvPK10block_q8_1RKiEEEvS4_S4_PT_PS8_iiii,comdat
	.globl	_ZL9moe_vec_qIN3c108BFloat16ELi256ELi8E13block_iq3_xxsLi1EXadL_ZL20vec_dot_iq3_xxs_q8_1PKvPK10block_q8_1RKiEEEvS4_S4_PT_PS8_iiii ; -- Begin function _ZL9moe_vec_qIN3c108BFloat16ELi256ELi8E13block_iq3_xxsLi1EXadL_ZL20vec_dot_iq3_xxs_q8_1PKvPK10block_q8_1RKiEEEvS4_S4_PT_PS8_iiii
	.p2align	8
	.type	_ZL9moe_vec_qIN3c108BFloat16ELi256ELi8E13block_iq3_xxsLi1EXadL_ZL20vec_dot_iq3_xxs_q8_1PKvPK10block_q8_1RKiEEEvS4_S4_PT_PS8_iiii,@function
_ZL9moe_vec_qIN3c108BFloat16ELi256ELi8E13block_iq3_xxsLi1EXadL_ZL20vec_dot_iq3_xxs_q8_1PKvPK10block_q8_1RKiEEEvS4_S4_PT_PS8_iiii: ; @_ZL9moe_vec_qIN3c108BFloat16ELi256ELi8E13block_iq3_xxsLi1EXadL_ZL20vec_dot_iq3_xxs_q8_1PKvPK10block_q8_1RKiEEEvS4_S4_PT_PS8_iiii
; %bb.0:
	s_mov_b32 s8, s7
	s_load_dword s7, s[4:5], 0x3c
	s_load_dwordx4 s[0:3], s[4:5], 0x20
	s_waitcnt lgkmcnt(0)
	s_lshr_b32 s7, s7, 16
	s_mul_i32 s6, s6, s7
	v_add_u32_e32 v9, s6, v1
	v_cmp_gt_u32_e32 vcc, s2, v9
	s_and_saveexec_b64 s[6:7], vcc
	s_cbranch_execz .LBB287_7
; %bb.1:
	s_load_dwordx2 s[6:7], s[4:5], 0x10
	s_ashr_i32 s9, s1, 31
	s_lshr_b32 s9, s9, 24
	s_add_i32 s1, s1, s9
	s_ashr_i32 s14, s1, 8
	v_lshrrev_b32_e32 v10, 3, v0
	v_cmp_gt_u32_e32 vcc, s14, v10
	v_mov_b32_e32 v11, 0
	s_and_saveexec_b64 s[10:11], vcc
	s_cbranch_execz .LBB287_5
; %bb.2:
	s_load_dwordx2 s[12:13], s[4:5], 0x18
	v_cvt_f32_u32_e32 v1, s0
	s_mov_b32 s9, 0
	s_lshl_b64 s[16:17], s[8:9], 2
	v_mul_lo_u32 v12, v9, s14
	s_waitcnt lgkmcnt(0)
	s_add_u32 s12, s12, s16
	v_rcp_iflag_f32_e32 v1, v1
	s_addc_u32 s13, s13, s17
	s_load_dword s1, s[12:13], 0x0
	s_load_dwordx4 s[16:19], s[4:5], 0x0
	s_mul_i32 s4, s14, s2
	v_mul_f32_e32 v1, 0x4f7ffffe, v1
	v_cvt_u32_f32_e32 v1, v1
	s_waitcnt lgkmcnt(0)
	s_mul_i32 s1, s4, s1
	s_mul_hi_i32 s5, s1, 0x62
	s_mulk_i32 s1, 0x62
	s_add_u32 s4, s16, s1
	s_addc_u32 s5, s17, s5
	s_sub_i32 s1, 0, s0
	v_readfirstlane_b32 s12, v1
	s_mul_i32 s1, s1, s12
	s_mul_hi_u32 s1, s12, s1
	s_add_i32 s12, s12, s1
	s_mul_hi_u32 s1, s8, s12
	s_mul_i32 s12, s1, s0
	s_sub_i32 s12, s8, s12
	s_add_i32 s13, s1, 1
	s_sub_i32 s16, s12, s0
	s_cmp_ge_u32 s12, s0
	s_cselect_b32 s1, s13, s1
	s_cselect_b32 s12, s16, s12
	s_add_i32 s13, s1, 1
	s_cmp_ge_u32 s12, s0
	s_cselect_b32 s0, s13, s1
	s_mul_i32 s0, s0, s3
	s_mov_b32 s1, s9
	s_lshl_b64 s[0:1], s[0:1], 2
	s_add_u32 s0, s18, s0
	s_addc_u32 s1, s19, s1
	v_and_b32_e32 v1, 7, v0
	v_lshlrev_b32_e32 v13, 3, v1
	v_lshlrev_b32_e32 v5, 1, v1
	v_mad_u64_u32 v[1:2], s[0:1], v1, 36, s[0:1]
	v_mov_b32_e32 v3, s4
	s_movk_i32 s15, 0x62
	v_mov_b32_e32 v11, 0
	v_lshlrev_b32_e32 v14, 3, v10
	s_mov_b64 s[0:1], 0
	v_mov_b32_e32 v4, s5
	v_lshlrev_b32_e32 v15, 1, v5
	s_mov_b32 s3, 0xc060c00
	v_mov_b32_e32 v16, 2
	s_getpc_b64 s[4:5]
	s_add_u32 s4, s4, _ZL11iq3xxs_grid@rel32@lo+4
	s_addc_u32 s5, s5, _ZL11iq3xxs_grid@rel32@hi+12
.LBB287_3:                              ; =>This Inner Loop Header: Depth=1
	v_add_u32_e32 v7, v12, v10
	v_mad_i64_i32 v[19:20], s[16:17], v7, s15, v[3:4]
	s_getpc_b64 s[12:13]
	s_add_u32 s12, s12, _ZL8ksigns64@rel32@lo+4
	s_addc_u32 s13, s13, _ZL8ksigns64@rel32@hi+12
	v_mad_i64_i32 v[5:6], s[16:17], v14, 36, v[1:2]
	v_add_co_u32_e32 v21, vcc, v19, v13
	v_addc_co_u32_e32 v22, vcc, 0, v20, vcc
	v_add_co_u32_e32 v23, vcc, v19, v15
	v_addc_co_u32_e32 v24, vcc, 0, v20, vcc
	global_load_dwordx2 v[7:8], v[21:22], off offset:2
	global_load_dword v17, v[23:24], off offset:66
	global_load_ushort v18, v[19:20], off
	v_add_u32_e32 v10, 8, v10
	v_cmp_le_u32_e32 vcc, s14, v10
	v_add_u32_e32 v14, 64, v14
	s_or_b64 s[0:1], vcc, s[0:1]
	s_waitcnt vmcnt(2)
	v_lshlrev_b32_sdwa v19, v16, v7 dst_sel:DWORD dst_unused:UNUSED_PAD src0_sel:DWORD src1_sel:BYTE_0
	s_waitcnt vmcnt(1)
	v_and_b32_e32 v20, 0x7f, v17
	v_lshlrev_b32_sdwa v21, v16, v7 dst_sel:DWORD dst_unused:UNUSED_PAD src0_sel:DWORD src1_sel:BYTE_1
	v_lshlrev_b32_sdwa v22, v16, v7 dst_sel:DWORD dst_unused:UNUSED_PAD src0_sel:DWORD src1_sel:BYTE_2
	v_lshrrev_b32_e32 v23, 4, v17
	v_lshlrev_b32_sdwa v7, v16, v7 dst_sel:DWORD dst_unused:UNUSED_PAD src0_sel:DWORD src1_sel:BYTE_3
	v_lshlrev_b32_e32 v24, 3, v20
	global_load_dword v25, v19, s[4:5]
	global_load_dword v28, v21, s[4:5]
	v_and_b32_e32 v21, 0x3f8, v23
	global_load_dword v23, v22, s[4:5]
	global_load_dword v29, v7, s[4:5]
	global_load_dwordx2 v[19:20], v24, s[12:13]
	global_load_dwordx2 v[26:27], v21, s[12:13]
	s_waitcnt vmcnt(6)
	v_cvt_f32_f16_e32 v18, v18
	s_waitcnt vmcnt(1)
	v_xor_b32_e32 v7, v19, v25
	v_and_b32_e32 v21, 0xff000000, v19
	v_and_b32_e32 v22, 0xff0000, v19
	;; [unrolled: 1-line block ×3, first 2 shown]
	v_sub_u32_e32 v21, v7, v21
	v_sub_u32_e32 v22, v7, v22
	;; [unrolled: 1-line block ×4, first 2 shown]
	v_perm_b32 v7, v22, v7, s3
	v_and_b32_e32 v21, 0xff000000, v21
	v_and_b32_e32 v22, 0xff00, v24
	v_xor_b32_e32 v25, v20, v28
	v_or3_b32 v7, v7, v21, v22
	v_and_b32_e32 v21, 0xff0000, v20
	v_and_b32_e32 v19, 0xff000000, v20
	v_and_b32_e32 v22, 0xff00, v20
	v_sub_u32_e32 v20, v25, v20
	v_sub_u32_e32 v21, v25, v21
	s_waitcnt vmcnt(0)
	v_xor_b32_e32 v23, v26, v23
	v_and_b32_e32 v24, 0xff000000, v26
	v_sub_u32_e32 v19, v25, v19
	v_sub_u32_e32 v22, v25, v22
	v_and_b32_e32 v25, 0xff0000, v26
	v_perm_b32 v20, v21, v20, s3
	v_and_b32_e32 v21, 0xff00, v26
	v_sub_u32_e32 v24, v23, v24
	v_sub_u32_e32 v25, v23, v25
	;; [unrolled: 1-line block ×4, first 2 shown]
	v_and_b32_e32 v19, 0xff000000, v19
	v_and_b32_e32 v22, 0xff00, v22
	v_perm_b32 v23, v25, v23, s3
	v_and_b32_e32 v24, 0xff000000, v24
	v_and_b32_e32 v21, 0xff00, v21
	v_or3_b32 v28, v20, v19, v22
	v_or3_b32 v30, v23, v24, v21
	global_load_dwordx4 v[19:22], v[5:6], off
	global_load_dwordx4 v[23:26], v[5:6], off offset:16
	s_waitcnt vmcnt(1)
	v_dot4_i32_i8 v7, v7, v20, 0
	v_dot4_i32_i8 v7, v28, v21, v7
	v_dot4_i32_i8 v21, v30, v22, v7
	v_cvt_f32_f16_e32 v22, v19
	v_xor_b32_e32 v7, v27, v29
	v_and_b32_e32 v19, 0xff000000, v27
	v_and_b32_e32 v20, 0xff0000, v27
	;; [unrolled: 1-line block ×3, first 2 shown]
	v_sub_u32_e32 v27, v7, v27
	v_sub_u32_e32 v19, v7, v19
	;; [unrolled: 1-line block ×4, first 2 shown]
	v_lshrrev_b32_e32 v28, 11, v17
	v_perm_b32 v20, v20, v27, s3
	v_lshlrev_b32_sdwa v27, v16, v8 dst_sel:DWORD dst_unused:UNUSED_PAD src0_sel:DWORD src1_sel:BYTE_0
	v_and_b32_e32 v19, 0xff000000, v19
	v_and_b32_e32 v7, 0xff00, v7
	v_or3_b32 v29, v20, v19, v7
	v_lshlrev_b32_sdwa v7, v16, v8 dst_sel:DWORD dst_unused:UNUSED_PAD src0_sel:DWORD src1_sel:BYTE_1
	v_and_b32_e32 v28, 0x3f8, v28
	global_load_dword v30, v27, s[4:5]
	global_load_dword v31, v7, s[4:5]
	global_load_dwordx2 v[19:20], v28, s[12:13]
	s_waitcnt vmcnt(0)
	v_xor_b32_e32 v7, v19, v30
	v_and_b32_e32 v27, 0xff000000, v19
	v_and_b32_e32 v28, 0xff0000, v19
	;; [unrolled: 1-line block ×3, first 2 shown]
	v_sub_u32_e32 v27, v7, v27
	v_sub_u32_e32 v28, v7, v28
	;; [unrolled: 1-line block ×4, first 2 shown]
	v_perm_b32 v7, v28, v7, s3
	v_and_b32_e32 v19, 0xff000000, v27
	v_and_b32_e32 v27, 0xff00, v30
	v_or3_b32 v19, v7, v19, v27
	v_xor_b32_e32 v7, v20, v31
	v_and_b32_e32 v27, 0xff000000, v20
	v_and_b32_e32 v28, 0xff0000, v20
	;; [unrolled: 1-line block ×3, first 2 shown]
	v_sub_u32_e32 v20, v7, v20
	v_sub_u32_e32 v27, v7, v27
	;; [unrolled: 1-line block ×4, first 2 shown]
	v_perm_b32 v20, v28, v20, s3
	v_and_b32_e32 v27, 0xff000000, v27
	v_and_b32_e32 v7, 0xff00, v7
	v_or3_b32 v20, v20, v27, v7
	v_lshrrev_b32_e32 v7, 18, v17
	v_lshlrev_b32_sdwa v27, v16, v8 dst_sel:DWORD dst_unused:UNUSED_PAD src0_sel:DWORD src1_sel:BYTE_2
	v_lshlrev_b32_sdwa v28, v16, v8 dst_sel:DWORD dst_unused:UNUSED_PAD src0_sel:DWORD src1_sel:BYTE_3
	v_and_b32_e32 v30, 0x3f8, v7
	global_load_dword v27, v27, s[4:5]
	s_nop 0
	global_load_dword v31, v28, s[4:5]
	global_load_dwordx2 v[7:8], v30, s[12:13]
	v_lshrrev_b32_e32 v17, 28, v17
	global_load_dword v5, v[5:6], off offset:32
	v_cvt_f32_ubyte0_e32 v17, v17
	v_add_f32_e32 v17, 0.5, v17
	s_waitcnt vmcnt(1)
	v_xor_b32_e32 v27, v7, v27
	v_and_b32_e32 v28, 0xff000000, v7
	v_and_b32_e32 v30, 0xff0000, v7
	;; [unrolled: 1-line block ×3, first 2 shown]
	v_sub_u32_e32 v28, v27, v28
	v_sub_u32_e32 v30, v27, v30
	;; [unrolled: 1-line block ×4, first 2 shown]
	v_perm_b32 v7, v30, v7, s3
	v_and_b32_e32 v27, 0xff000000, v28
	v_and_b32_e32 v28, 0xff00, v32
	v_or3_b32 v7, v7, v27, v28
	v_xor_b32_e32 v6, v8, v31
	v_and_b32_e32 v27, 0xff000000, v8
	v_and_b32_e32 v28, 0xff0000, v8
	;; [unrolled: 1-line block ×3, first 2 shown]
	v_sub_u32_e32 v8, v6, v8
	v_sub_u32_e32 v27, v6, v27
	;; [unrolled: 1-line block ×4, first 2 shown]
	v_and_b32_e32 v27, 0xff000000, v27
	v_and_b32_e32 v6, 0xff00, v6
	v_perm_b32 v8, v28, v8, s3
	v_or3_b32 v6, v8, v27, v6
	v_dot4_i32_i8 v8, v29, v23, v21
	v_dot4_i32_i8 v8, v19, v24, v8
	;; [unrolled: 1-line block ×4, first 2 shown]
	s_waitcnt vmcnt(0)
	v_dot4_i32_i8 v5, v6, v5, v7
	v_cvt_f32_i32_e32 v5, v5
	v_mul_f32_e32 v6, v17, v18
	v_mul_f32_e32 v6, v6, v22
	v_mul_f32_e32 v6, 0.5, v6
	v_fmac_f32_e32 v11, v6, v5
	s_andn2_b64 exec, exec, s[0:1]
	s_cbranch_execnz .LBB287_3
; %bb.4:
	s_or_b64 exec, exec, s[0:1]
.LBB287_5:
	s_or_b64 exec, exec, s[10:11]
	v_mbcnt_lo_u32_b32 v1, -1, 0
	v_mbcnt_hi_u32_b32 v2, -1, v1
	v_and_b32_e32 v1, 64, v2
	v_add_u32_e32 v3, 64, v1
	v_xor_b32_e32 v1, 32, v2
	v_cmp_lt_i32_e32 vcc, v1, v3
	v_cndmask_b32_e32 v1, v2, v1, vcc
	v_lshlrev_b32_e32 v1, 2, v1
	ds_bpermute_b32 v1, v1, v11
	v_xor_b32_e32 v4, 16, v2
	v_cmp_lt_i32_e32 vcc, v4, v3
	v_cndmask_b32_e32 v4, v2, v4, vcc
	v_lshlrev_b32_e32 v4, 2, v4
	s_waitcnt lgkmcnt(0)
	v_add_f32_e32 v1, v11, v1
	ds_bpermute_b32 v4, v4, v1
	v_xor_b32_e32 v5, 8, v2
	v_cmp_lt_i32_e32 vcc, v5, v3
	s_waitcnt lgkmcnt(0)
	v_add_f32_e32 v1, v1, v4
	v_cndmask_b32_e32 v4, v2, v5, vcc
	v_lshlrev_b32_e32 v4, 2, v4
	ds_bpermute_b32 v4, v4, v1
	v_xor_b32_e32 v5, 4, v2
	v_cmp_lt_i32_e32 vcc, v5, v3
	s_waitcnt lgkmcnt(0)
	v_add_f32_e32 v1, v1, v4
	v_cndmask_b32_e32 v4, v2, v5, vcc
	v_lshlrev_b32_e32 v4, 2, v4
	;; [unrolled: 7-line block ×3, first 2 shown]
	ds_bpermute_b32 v4, v4, v1
	v_xor_b32_e32 v5, 1, v2
	v_cmp_lt_i32_e32 vcc, v5, v3
	v_cndmask_b32_e32 v2, v2, v5, vcc
	v_lshlrev_b32_e32 v2, 2, v2
	s_waitcnt lgkmcnt(0)
	v_add_f32_e32 v1, v1, v4
	ds_bpermute_b32 v2, v2, v1
	v_cmp_eq_u32_e32 vcc, 0, v0
	s_and_b64 exec, exec, vcc
	s_cbranch_execz .LBB287_7
; %bb.6:
	s_waitcnt lgkmcnt(0)
	v_add_f32_e32 v0, v1, v2
	v_bfe_u32 v1, v0, 16, 1
	s_movk_i32 s0, 0x7fff
	v_add3_u32 v1, v0, v1, s0
	v_cmp_o_f32_e32 vcc, v0, v0
	v_mov_b32_e32 v0, 0x7fc0
	s_mul_i32 s0, s2, s8
	v_cndmask_b32_sdwa v2, v0, v1, vcc dst_sel:DWORD dst_unused:UNUSED_PAD src0_sel:DWORD src1_sel:WORD_1
	v_add_u32_e32 v0, s0, v9
	v_mov_b32_e32 v1, 0
	v_lshlrev_b64 v[0:1], 1, v[0:1]
	v_mov_b32_e32 v3, s7
	v_add_co_u32_e32 v0, vcc, s6, v0
	v_addc_co_u32_e32 v1, vcc, v3, v1, vcc
	global_store_short v[0:1], v2, off
.LBB287_7:
	s_endpgm
	.section	.rodata,"a",@progbits
	.p2align	6, 0x0
	.amdhsa_kernel _ZL9moe_vec_qIN3c108BFloat16ELi256ELi8E13block_iq3_xxsLi1EXadL_ZL20vec_dot_iq3_xxs_q8_1PKvPK10block_q8_1RKiEEEvS4_S4_PT_PS8_iiii
		.amdhsa_group_segment_fixed_size 0
		.amdhsa_private_segment_fixed_size 0
		.amdhsa_kernarg_size 304
		.amdhsa_user_sgpr_count 6
		.amdhsa_user_sgpr_private_segment_buffer 1
		.amdhsa_user_sgpr_dispatch_ptr 0
		.amdhsa_user_sgpr_queue_ptr 0
		.amdhsa_user_sgpr_kernarg_segment_ptr 1
		.amdhsa_user_sgpr_dispatch_id 0
		.amdhsa_user_sgpr_flat_scratch_init 0
		.amdhsa_user_sgpr_private_segment_size 0
		.amdhsa_uses_dynamic_stack 0
		.amdhsa_system_sgpr_private_segment_wavefront_offset 0
		.amdhsa_system_sgpr_workgroup_id_x 1
		.amdhsa_system_sgpr_workgroup_id_y 0
		.amdhsa_system_sgpr_workgroup_id_z 1
		.amdhsa_system_sgpr_workgroup_info 0
		.amdhsa_system_vgpr_workitem_id 1
		.amdhsa_next_free_vgpr 33
		.amdhsa_next_free_sgpr 20
		.amdhsa_reserve_vcc 1
		.amdhsa_reserve_flat_scratch 0
		.amdhsa_float_round_mode_32 0
		.amdhsa_float_round_mode_16_64 0
		.amdhsa_float_denorm_mode_32 3
		.amdhsa_float_denorm_mode_16_64 3
		.amdhsa_dx10_clamp 1
		.amdhsa_ieee_mode 1
		.amdhsa_fp16_overflow 0
		.amdhsa_exception_fp_ieee_invalid_op 0
		.amdhsa_exception_fp_denorm_src 0
		.amdhsa_exception_fp_ieee_div_zero 0
		.amdhsa_exception_fp_ieee_overflow 0
		.amdhsa_exception_fp_ieee_underflow 0
		.amdhsa_exception_fp_ieee_inexact 0
		.amdhsa_exception_int_div_zero 0
	.end_amdhsa_kernel
	.section	.text._ZL9moe_vec_qIN3c108BFloat16ELi256ELi8E13block_iq3_xxsLi1EXadL_ZL20vec_dot_iq3_xxs_q8_1PKvPK10block_q8_1RKiEEEvS4_S4_PT_PS8_iiii,"axG",@progbits,_ZL9moe_vec_qIN3c108BFloat16ELi256ELi8E13block_iq3_xxsLi1EXadL_ZL20vec_dot_iq3_xxs_q8_1PKvPK10block_q8_1RKiEEEvS4_S4_PT_PS8_iiii,comdat
.Lfunc_end287:
	.size	_ZL9moe_vec_qIN3c108BFloat16ELi256ELi8E13block_iq3_xxsLi1EXadL_ZL20vec_dot_iq3_xxs_q8_1PKvPK10block_q8_1RKiEEEvS4_S4_PT_PS8_iiii, .Lfunc_end287-_ZL9moe_vec_qIN3c108BFloat16ELi256ELi8E13block_iq3_xxsLi1EXadL_ZL20vec_dot_iq3_xxs_q8_1PKvPK10block_q8_1RKiEEEvS4_S4_PT_PS8_iiii
                                        ; -- End function
	.set _ZL9moe_vec_qIN3c108BFloat16ELi256ELi8E13block_iq3_xxsLi1EXadL_ZL20vec_dot_iq3_xxs_q8_1PKvPK10block_q8_1RKiEEEvS4_S4_PT_PS8_iiii.num_vgpr, 33
	.set _ZL9moe_vec_qIN3c108BFloat16ELi256ELi8E13block_iq3_xxsLi1EXadL_ZL20vec_dot_iq3_xxs_q8_1PKvPK10block_q8_1RKiEEEvS4_S4_PT_PS8_iiii.num_agpr, 0
	.set _ZL9moe_vec_qIN3c108BFloat16ELi256ELi8E13block_iq3_xxsLi1EXadL_ZL20vec_dot_iq3_xxs_q8_1PKvPK10block_q8_1RKiEEEvS4_S4_PT_PS8_iiii.numbered_sgpr, 20
	.set _ZL9moe_vec_qIN3c108BFloat16ELi256ELi8E13block_iq3_xxsLi1EXadL_ZL20vec_dot_iq3_xxs_q8_1PKvPK10block_q8_1RKiEEEvS4_S4_PT_PS8_iiii.num_named_barrier, 0
	.set _ZL9moe_vec_qIN3c108BFloat16ELi256ELi8E13block_iq3_xxsLi1EXadL_ZL20vec_dot_iq3_xxs_q8_1PKvPK10block_q8_1RKiEEEvS4_S4_PT_PS8_iiii.private_seg_size, 0
	.set _ZL9moe_vec_qIN3c108BFloat16ELi256ELi8E13block_iq3_xxsLi1EXadL_ZL20vec_dot_iq3_xxs_q8_1PKvPK10block_q8_1RKiEEEvS4_S4_PT_PS8_iiii.uses_vcc, 1
	.set _ZL9moe_vec_qIN3c108BFloat16ELi256ELi8E13block_iq3_xxsLi1EXadL_ZL20vec_dot_iq3_xxs_q8_1PKvPK10block_q8_1RKiEEEvS4_S4_PT_PS8_iiii.uses_flat_scratch, 0
	.set _ZL9moe_vec_qIN3c108BFloat16ELi256ELi8E13block_iq3_xxsLi1EXadL_ZL20vec_dot_iq3_xxs_q8_1PKvPK10block_q8_1RKiEEEvS4_S4_PT_PS8_iiii.has_dyn_sized_stack, 0
	.set _ZL9moe_vec_qIN3c108BFloat16ELi256ELi8E13block_iq3_xxsLi1EXadL_ZL20vec_dot_iq3_xxs_q8_1PKvPK10block_q8_1RKiEEEvS4_S4_PT_PS8_iiii.has_recursion, 0
	.set _ZL9moe_vec_qIN3c108BFloat16ELi256ELi8E13block_iq3_xxsLi1EXadL_ZL20vec_dot_iq3_xxs_q8_1PKvPK10block_q8_1RKiEEEvS4_S4_PT_PS8_iiii.has_indirect_call, 0
	.section	.AMDGPU.csdata,"",@progbits
; Kernel info:
; codeLenInByte = 1768
; TotalNumSgprs: 24
; NumVgprs: 33
; ScratchSize: 0
; MemoryBound: 0
; FloatMode: 240
; IeeeMode: 1
; LDSByteSize: 0 bytes/workgroup (compile time only)
; SGPRBlocks: 2
; VGPRBlocks: 8
; NumSGPRsForWavesPerEU: 24
; NumVGPRsForWavesPerEU: 33
; Occupancy: 7
; WaveLimiterHint : 1
; COMPUTE_PGM_RSRC2:SCRATCH_EN: 0
; COMPUTE_PGM_RSRC2:USER_SGPR: 6
; COMPUTE_PGM_RSRC2:TRAP_HANDLER: 0
; COMPUTE_PGM_RSRC2:TGID_X_EN: 1
; COMPUTE_PGM_RSRC2:TGID_Y_EN: 0
; COMPUTE_PGM_RSRC2:TGID_Z_EN: 1
; COMPUTE_PGM_RSRC2:TIDIG_COMP_CNT: 1
	.section	.text._ZL9moe_vec_qIN3c108BFloat16ELi256ELi8E11block_iq1_sLi1EXadL_ZL18vec_dot_iq1_s_q8_1PKvPK10block_q8_1RKiEEEvS4_S4_PT_PS8_iiii,"axG",@progbits,_ZL9moe_vec_qIN3c108BFloat16ELi256ELi8E11block_iq1_sLi1EXadL_ZL18vec_dot_iq1_s_q8_1PKvPK10block_q8_1RKiEEEvS4_S4_PT_PS8_iiii,comdat
	.globl	_ZL9moe_vec_qIN3c108BFloat16ELi256ELi8E11block_iq1_sLi1EXadL_ZL18vec_dot_iq1_s_q8_1PKvPK10block_q8_1RKiEEEvS4_S4_PT_PS8_iiii ; -- Begin function _ZL9moe_vec_qIN3c108BFloat16ELi256ELi8E11block_iq1_sLi1EXadL_ZL18vec_dot_iq1_s_q8_1PKvPK10block_q8_1RKiEEEvS4_S4_PT_PS8_iiii
	.p2align	8
	.type	_ZL9moe_vec_qIN3c108BFloat16ELi256ELi8E11block_iq1_sLi1EXadL_ZL18vec_dot_iq1_s_q8_1PKvPK10block_q8_1RKiEEEvS4_S4_PT_PS8_iiii,@function
_ZL9moe_vec_qIN3c108BFloat16ELi256ELi8E11block_iq1_sLi1EXadL_ZL18vec_dot_iq1_s_q8_1PKvPK10block_q8_1RKiEEEvS4_S4_PT_PS8_iiii: ; @_ZL9moe_vec_qIN3c108BFloat16ELi256ELi8E11block_iq1_sLi1EXadL_ZL18vec_dot_iq1_s_q8_1PKvPK10block_q8_1RKiEEEvS4_S4_PT_PS8_iiii
; %bb.0:
	s_mov_b32 s8, s7
	s_load_dword s7, s[4:5], 0x3c
	s_load_dwordx4 s[0:3], s[4:5], 0x20
	s_waitcnt lgkmcnt(0)
	s_lshr_b32 s7, s7, 16
	s_mul_i32 s6, s6, s7
	v_add_u32_e32 v9, s6, v1
	v_cmp_gt_u32_e32 vcc, s2, v9
	s_and_saveexec_b64 s[6:7], vcc
	s_cbranch_execz .LBB288_7
; %bb.1:
	s_load_dwordx2 s[6:7], s[4:5], 0x10
	s_ashr_i32 s9, s1, 31
	s_lshr_b32 s9, s9, 24
	s_add_i32 s1, s1, s9
	s_ashr_i32 s12, s1, 8
	v_lshrrev_b32_e32 v10, 3, v0
	v_cmp_gt_u32_e32 vcc, s12, v10
	v_mov_b32_e32 v11, 0
	s_and_saveexec_b64 s[10:11], vcc
	s_cbranch_execz .LBB288_5
; %bb.2:
	s_load_dwordx2 s[14:15], s[4:5], 0x18
	v_cvt_f32_u32_e32 v1, s0
	s_mov_b32 s9, 0
	s_lshl_b64 s[16:17], s[8:9], 2
	v_mul_lo_u32 v12, v9, s12
	v_rcp_iflag_f32_e32 v1, v1
	s_waitcnt lgkmcnt(0)
	s_add_u32 s14, s14, s16
	s_addc_u32 s15, s15, s17
	s_load_dword s1, s[14:15], 0x0
	s_load_dwordx4 s[16:19], s[4:5], 0x0
	v_mul_f32_e32 v1, 0x4f7ffffe, v1
	s_mul_i32 s4, s12, s2
	v_cvt_u32_f32_e32 v1, v1
	s_waitcnt lgkmcnt(0)
	s_mul_i32 s1, s4, s1
	s_mul_hi_i32 s5, s1, 50
	s_mul_i32 s1, s1, 50
	s_add_u32 s4, s16, s1
	s_addc_u32 s5, s17, s5
	s_sub_i32 s1, 0, s0
	v_readfirstlane_b32 s13, v1
	s_mul_i32 s1, s1, s13
	s_mul_hi_u32 s1, s13, s1
	s_add_i32 s13, s13, s1
	s_mul_hi_u32 s1, s8, s13
	s_mul_i32 s13, s1, s0
	s_sub_i32 s13, s8, s13
	s_add_i32 s14, s1, 1
	s_sub_i32 s15, s13, s0
	s_cmp_ge_u32 s13, s0
	s_cselect_b32 s1, s14, s1
	s_cselect_b32 s13, s15, s13
	s_add_i32 s14, s1, 1
	s_cmp_ge_u32 s13, s0
	s_cselect_b32 s0, s14, s1
	s_mul_i32 s0, s0, s3
	s_mov_b32 s1, s9
	s_lshl_b64 s[0:1], s[0:1], 2
	s_add_u32 s0, s18, s0
	s_addc_u32 s1, s19, s1
	v_and_b32_e32 v1, 7, v0
	v_mad_u64_u32 v[5:6], s[0:1], v1, 36, s[0:1]
	v_lshlrev_b32_e32 v2, 1, v1
	v_mov_b32_e32 v11, 0
	v_lshlrev_b32_e32 v13, 3, v10
	s_mov_b64 s[0:1], 0
	v_lshlrev_b32_e32 v14, 1, v2
	v_lshlrev_b32_e32 v15, 1, v1
	s_movk_i32 s3, 0x700
.LBB288_3:                              ; =>This Inner Loop Header: Depth=1
	v_add_u32_e32 v1, v12, v10
	v_mad_i64_i32 v[7:8], s[14:15], v1, 50, s[4:5]
	v_mad_i64_i32 v[21:22], s[14:15], v13, 36, v[5:6]
	v_add_co_u32_e32 v1, vcc, v7, v14
	v_addc_co_u32_e32 v2, vcc, 0, v8, vcc
	v_add_co_u32_e32 v3, vcc, v7, v15
	v_addc_co_u32_e32 v4, vcc, 0, v8, vcc
	global_load_dword v17, v[1:2], off offset:2
	global_load_ushort v16, v[3:4], off offset:34
	s_nop 0
	global_load_dwordx4 v[1:4], v[21:22], off
	global_load_ushort v23, v[7:8], off
	s_getpc_b64 s[14:15]
	s_add_u32 s14, s14, _ZL13iq1s_grid_gpu@rel32@lo+4
	s_addc_u32 s15, s15, _ZL13iq1s_grid_gpu@rel32@hi+12
	v_add_u32_e32 v10, 8, v10
	v_cmp_le_u32_e32 vcc, s12, v10
	v_add_u32_e32 v13, 64, v13
	s_or_b64 s[0:1], vcc, s[0:1]
	s_waitcnt vmcnt(3)
	v_and_b32_e32 v7, 0xff, v17
	s_waitcnt vmcnt(2)
	v_lshlrev_b32_e32 v8, 8, v16
	v_bfe_u32 v18, v17, 8, 8
	v_lshlrev_b32_e32 v19, 5, v16
	v_bfe_u32 v20, v17, 16, 8
	v_lshlrev_b32_e32 v24, 2, v16
	v_lshrrev_b32_e32 v17, 24, v17
	v_lshrrev_b32_e32 v25, 1, v16
	v_and_or_b32 v7, v8, s3, v7
	v_and_or_b32 v8, v19, s3, v18
	;; [unrolled: 1-line block ×4, first 2 shown]
	v_lshlrev_b32_e32 v7, 3, v7
	global_load_dwordx4 v[17:20], v[21:22], off offset:16
	v_lshlrev_b32_e32 v8, 3, v8
	v_lshlrev_b32_e32 v24, 3, v24
	;; [unrolled: 1-line block ×3, first 2 shown]
	global_load_dword v26, v7, s[14:15]
	global_load_dword v27, v8, s[14:15]
	;; [unrolled: 1-line block ×4, first 2 shown]
	global_load_dword v30, v[21:22], off offset:32
	s_waitcnt vmcnt(4)
	v_and_b32_e32 v7, 0xf0f0f0f, v26
	v_lshrrev_b32_e32 v8, 4, v26
	v_and_b32_e32 v8, 0xf0f0f0f, v8
	v_dot4_i32_i8 v2, v7, v2, 0
	v_dot4_i32_i8 v2, v8, v3, v2
	s_waitcnt vmcnt(3)
	v_and_b32_e32 v3, 0xf0f0f0f, v27
	v_dot4_i32_i8 v2, v3, v4, v2
	v_lshrrev_b32_e32 v4, 4, v27
	v_and_b32_e32 v4, 0xf0f0f0f, v4
	v_dot4_i32_i8 v2, v4, v17, v2
	s_waitcnt vmcnt(2)
	v_and_b32_e32 v4, 0xf0f0f0f, v28
	v_lshrrev_b32_e32 v7, 4, v28
	v_dot4_i32_i8 v2, v4, v18, v2
	v_and_b32_e32 v7, 0xf0f0f0f, v7
	v_dot4_i32_i8 v2, v7, v19, v2
	s_waitcnt vmcnt(1)
	v_and_b32_e32 v7, 0xf0f0f0f, v29
	v_dot4_i32_i8 v2, v7, v20, v2
	v_and_b32_e32 v7, 0x8000, v16
	v_lshrrev_b32_e32 v17, 4, v29
	v_cvt_f32_u32_e32 v7, v7
	v_and_b32_e32 v17, 0xf0f0f0f, v17
	v_cvt_f32_f16_sdwa v4, v1 dst_sel:DWORD dst_unused:UNUSED_PAD src0_sel:WORD_1
	s_waitcnt vmcnt(0)
	v_dot4_i32_i8 v2, v17, v30, v2
	v_cvt_f32_f16_e32 v8, v23
	v_cvt_f32_i32_e32 v2, v2
	v_mov_b32_e32 v3, 0xbf600000
	v_lshrrev_b32_e32 v16, 11, v16
	v_and_or_b32 v16, v16, 14, 1
	v_fmac_f32_e32 v3, 0xb7000000, v7
	v_cvt_f32_ubyte0_e32 v16, v16
	v_mul_f32_e32 v3, v3, v4
	v_mul_f32_e32 v8, v16, v8
	v_fma_mix_f32 v1, v2, v1, v3 op_sel_hi:[0,1,0]
	v_fmac_f32_e32 v11, v8, v1
	s_andn2_b64 exec, exec, s[0:1]
	s_cbranch_execnz .LBB288_3
; %bb.4:
	s_or_b64 exec, exec, s[0:1]
.LBB288_5:
	s_or_b64 exec, exec, s[10:11]
	v_mbcnt_lo_u32_b32 v1, -1, 0
	v_mbcnt_hi_u32_b32 v2, -1, v1
	v_and_b32_e32 v1, 64, v2
	v_add_u32_e32 v3, 64, v1
	v_xor_b32_e32 v1, 32, v2
	v_cmp_lt_i32_e32 vcc, v1, v3
	v_cndmask_b32_e32 v1, v2, v1, vcc
	v_lshlrev_b32_e32 v1, 2, v1
	ds_bpermute_b32 v1, v1, v11
	v_xor_b32_e32 v4, 16, v2
	v_cmp_lt_i32_e32 vcc, v4, v3
	v_cndmask_b32_e32 v4, v2, v4, vcc
	v_lshlrev_b32_e32 v4, 2, v4
	s_waitcnt lgkmcnt(0)
	v_add_f32_e32 v1, v11, v1
	ds_bpermute_b32 v4, v4, v1
	v_xor_b32_e32 v5, 8, v2
	v_cmp_lt_i32_e32 vcc, v5, v3
	s_waitcnt lgkmcnt(0)
	v_add_f32_e32 v1, v1, v4
	v_cndmask_b32_e32 v4, v2, v5, vcc
	v_lshlrev_b32_e32 v4, 2, v4
	ds_bpermute_b32 v4, v4, v1
	v_xor_b32_e32 v5, 4, v2
	v_cmp_lt_i32_e32 vcc, v5, v3
	s_waitcnt lgkmcnt(0)
	v_add_f32_e32 v1, v1, v4
	v_cndmask_b32_e32 v4, v2, v5, vcc
	v_lshlrev_b32_e32 v4, 2, v4
	;; [unrolled: 7-line block ×3, first 2 shown]
	ds_bpermute_b32 v4, v4, v1
	v_xor_b32_e32 v5, 1, v2
	v_cmp_lt_i32_e32 vcc, v5, v3
	v_cndmask_b32_e32 v2, v2, v5, vcc
	v_lshlrev_b32_e32 v2, 2, v2
	s_waitcnt lgkmcnt(0)
	v_add_f32_e32 v1, v1, v4
	ds_bpermute_b32 v2, v2, v1
	v_cmp_eq_u32_e32 vcc, 0, v0
	s_and_b64 exec, exec, vcc
	s_cbranch_execz .LBB288_7
; %bb.6:
	s_waitcnt lgkmcnt(0)
	v_add_f32_e32 v0, v1, v2
	v_bfe_u32 v1, v0, 16, 1
	s_movk_i32 s0, 0x7fff
	v_add3_u32 v1, v0, v1, s0
	v_cmp_o_f32_e32 vcc, v0, v0
	v_mov_b32_e32 v0, 0x7fc0
	s_mul_i32 s0, s2, s8
	v_cndmask_b32_sdwa v2, v0, v1, vcc dst_sel:DWORD dst_unused:UNUSED_PAD src0_sel:DWORD src1_sel:WORD_1
	v_add_u32_e32 v0, s0, v9
	v_mov_b32_e32 v1, 0
	v_lshlrev_b64 v[0:1], 1, v[0:1]
	v_mov_b32_e32 v3, s7
	v_add_co_u32_e32 v0, vcc, s6, v0
	v_addc_co_u32_e32 v1, vcc, v3, v1, vcc
	global_store_short v[0:1], v2, off
.LBB288_7:
	s_endpgm
	.section	.rodata,"a",@progbits
	.p2align	6, 0x0
	.amdhsa_kernel _ZL9moe_vec_qIN3c108BFloat16ELi256ELi8E11block_iq1_sLi1EXadL_ZL18vec_dot_iq1_s_q8_1PKvPK10block_q8_1RKiEEEvS4_S4_PT_PS8_iiii
		.amdhsa_group_segment_fixed_size 0
		.amdhsa_private_segment_fixed_size 0
		.amdhsa_kernarg_size 304
		.amdhsa_user_sgpr_count 6
		.amdhsa_user_sgpr_private_segment_buffer 1
		.amdhsa_user_sgpr_dispatch_ptr 0
		.amdhsa_user_sgpr_queue_ptr 0
		.amdhsa_user_sgpr_kernarg_segment_ptr 1
		.amdhsa_user_sgpr_dispatch_id 0
		.amdhsa_user_sgpr_flat_scratch_init 0
		.amdhsa_user_sgpr_private_segment_size 0
		.amdhsa_uses_dynamic_stack 0
		.amdhsa_system_sgpr_private_segment_wavefront_offset 0
		.amdhsa_system_sgpr_workgroup_id_x 1
		.amdhsa_system_sgpr_workgroup_id_y 0
		.amdhsa_system_sgpr_workgroup_id_z 1
		.amdhsa_system_sgpr_workgroup_info 0
		.amdhsa_system_vgpr_workitem_id 1
		.amdhsa_next_free_vgpr 31
		.amdhsa_next_free_sgpr 20
		.amdhsa_reserve_vcc 1
		.amdhsa_reserve_flat_scratch 0
		.amdhsa_float_round_mode_32 0
		.amdhsa_float_round_mode_16_64 0
		.amdhsa_float_denorm_mode_32 3
		.amdhsa_float_denorm_mode_16_64 3
		.amdhsa_dx10_clamp 1
		.amdhsa_ieee_mode 1
		.amdhsa_fp16_overflow 0
		.amdhsa_exception_fp_ieee_invalid_op 0
		.amdhsa_exception_fp_denorm_src 0
		.amdhsa_exception_fp_ieee_div_zero 0
		.amdhsa_exception_fp_ieee_overflow 0
		.amdhsa_exception_fp_ieee_underflow 0
		.amdhsa_exception_fp_ieee_inexact 0
		.amdhsa_exception_int_div_zero 0
	.end_amdhsa_kernel
	.section	.text._ZL9moe_vec_qIN3c108BFloat16ELi256ELi8E11block_iq1_sLi1EXadL_ZL18vec_dot_iq1_s_q8_1PKvPK10block_q8_1RKiEEEvS4_S4_PT_PS8_iiii,"axG",@progbits,_ZL9moe_vec_qIN3c108BFloat16ELi256ELi8E11block_iq1_sLi1EXadL_ZL18vec_dot_iq1_s_q8_1PKvPK10block_q8_1RKiEEEvS4_S4_PT_PS8_iiii,comdat
.Lfunc_end288:
	.size	_ZL9moe_vec_qIN3c108BFloat16ELi256ELi8E11block_iq1_sLi1EXadL_ZL18vec_dot_iq1_s_q8_1PKvPK10block_q8_1RKiEEEvS4_S4_PT_PS8_iiii, .Lfunc_end288-_ZL9moe_vec_qIN3c108BFloat16ELi256ELi8E11block_iq1_sLi1EXadL_ZL18vec_dot_iq1_s_q8_1PKvPK10block_q8_1RKiEEEvS4_S4_PT_PS8_iiii
                                        ; -- End function
	.set _ZL9moe_vec_qIN3c108BFloat16ELi256ELi8E11block_iq1_sLi1EXadL_ZL18vec_dot_iq1_s_q8_1PKvPK10block_q8_1RKiEEEvS4_S4_PT_PS8_iiii.num_vgpr, 31
	.set _ZL9moe_vec_qIN3c108BFloat16ELi256ELi8E11block_iq1_sLi1EXadL_ZL18vec_dot_iq1_s_q8_1PKvPK10block_q8_1RKiEEEvS4_S4_PT_PS8_iiii.num_agpr, 0
	.set _ZL9moe_vec_qIN3c108BFloat16ELi256ELi8E11block_iq1_sLi1EXadL_ZL18vec_dot_iq1_s_q8_1PKvPK10block_q8_1RKiEEEvS4_S4_PT_PS8_iiii.numbered_sgpr, 20
	.set _ZL9moe_vec_qIN3c108BFloat16ELi256ELi8E11block_iq1_sLi1EXadL_ZL18vec_dot_iq1_s_q8_1PKvPK10block_q8_1RKiEEEvS4_S4_PT_PS8_iiii.num_named_barrier, 0
	.set _ZL9moe_vec_qIN3c108BFloat16ELi256ELi8E11block_iq1_sLi1EXadL_ZL18vec_dot_iq1_s_q8_1PKvPK10block_q8_1RKiEEEvS4_S4_PT_PS8_iiii.private_seg_size, 0
	.set _ZL9moe_vec_qIN3c108BFloat16ELi256ELi8E11block_iq1_sLi1EXadL_ZL18vec_dot_iq1_s_q8_1PKvPK10block_q8_1RKiEEEvS4_S4_PT_PS8_iiii.uses_vcc, 1
	.set _ZL9moe_vec_qIN3c108BFloat16ELi256ELi8E11block_iq1_sLi1EXadL_ZL18vec_dot_iq1_s_q8_1PKvPK10block_q8_1RKiEEEvS4_S4_PT_PS8_iiii.uses_flat_scratch, 0
	.set _ZL9moe_vec_qIN3c108BFloat16ELi256ELi8E11block_iq1_sLi1EXadL_ZL18vec_dot_iq1_s_q8_1PKvPK10block_q8_1RKiEEEvS4_S4_PT_PS8_iiii.has_dyn_sized_stack, 0
	.set _ZL9moe_vec_qIN3c108BFloat16ELi256ELi8E11block_iq1_sLi1EXadL_ZL18vec_dot_iq1_s_q8_1PKvPK10block_q8_1RKiEEEvS4_S4_PT_PS8_iiii.has_recursion, 0
	.set _ZL9moe_vec_qIN3c108BFloat16ELi256ELi8E11block_iq1_sLi1EXadL_ZL18vec_dot_iq1_s_q8_1PKvPK10block_q8_1RKiEEEvS4_S4_PT_PS8_iiii.has_indirect_call, 0
	.section	.AMDGPU.csdata,"",@progbits
; Kernel info:
; codeLenInByte = 1144
; TotalNumSgprs: 24
; NumVgprs: 31
; ScratchSize: 0
; MemoryBound: 0
; FloatMode: 240
; IeeeMode: 1
; LDSByteSize: 0 bytes/workgroup (compile time only)
; SGPRBlocks: 2
; VGPRBlocks: 7
; NumSGPRsForWavesPerEU: 24
; NumVGPRsForWavesPerEU: 31
; Occupancy: 8
; WaveLimiterHint : 1
; COMPUTE_PGM_RSRC2:SCRATCH_EN: 0
; COMPUTE_PGM_RSRC2:USER_SGPR: 6
; COMPUTE_PGM_RSRC2:TRAP_HANDLER: 0
; COMPUTE_PGM_RSRC2:TGID_X_EN: 1
; COMPUTE_PGM_RSRC2:TGID_Y_EN: 0
; COMPUTE_PGM_RSRC2:TGID_Z_EN: 1
; COMPUTE_PGM_RSRC2:TIDIG_COMP_CNT: 1
	.section	.text._ZL9moe_vec_qIN3c108BFloat16ELi32ELi4E12block_iq4_nlLi2EXadL_ZL19vec_dot_iq4_nl_q8_1PKvPK10block_q8_1RKiEEEvS4_S4_PT_PS8_iiii,"axG",@progbits,_ZL9moe_vec_qIN3c108BFloat16ELi32ELi4E12block_iq4_nlLi2EXadL_ZL19vec_dot_iq4_nl_q8_1PKvPK10block_q8_1RKiEEEvS4_S4_PT_PS8_iiii,comdat
	.globl	_ZL9moe_vec_qIN3c108BFloat16ELi32ELi4E12block_iq4_nlLi2EXadL_ZL19vec_dot_iq4_nl_q8_1PKvPK10block_q8_1RKiEEEvS4_S4_PT_PS8_iiii ; -- Begin function _ZL9moe_vec_qIN3c108BFloat16ELi32ELi4E12block_iq4_nlLi2EXadL_ZL19vec_dot_iq4_nl_q8_1PKvPK10block_q8_1RKiEEEvS4_S4_PT_PS8_iiii
	.p2align	8
	.type	_ZL9moe_vec_qIN3c108BFloat16ELi32ELi4E12block_iq4_nlLi2EXadL_ZL19vec_dot_iq4_nl_q8_1PKvPK10block_q8_1RKiEEEvS4_S4_PT_PS8_iiii,@function
_ZL9moe_vec_qIN3c108BFloat16ELi32ELi4E12block_iq4_nlLi2EXadL_ZL19vec_dot_iq4_nl_q8_1PKvPK10block_q8_1RKiEEEvS4_S4_PT_PS8_iiii: ; @_ZL9moe_vec_qIN3c108BFloat16ELi32ELi4E12block_iq4_nlLi2EXadL_ZL19vec_dot_iq4_nl_q8_1PKvPK10block_q8_1RKiEEEvS4_S4_PT_PS8_iiii
; %bb.0:
	s_mov_b32 s8, s7
	s_load_dword s7, s[4:5], 0x3c
	s_load_dwordx4 s[0:3], s[4:5], 0x20
	s_waitcnt lgkmcnt(0)
	s_lshr_b32 s7, s7, 16
	s_mul_i32 s6, s6, s7
	v_add_u32_e32 v3, s6, v1
	v_cmp_gt_u32_e32 vcc, s2, v3
	s_and_saveexec_b64 s[6:7], vcc
	s_cbranch_execz .LBB289_7
; %bb.1:
	v_cvt_f32_u32_e32 v1, s0
	s_load_dwordx2 s[6:7], s[4:5], 0x10
	s_ashr_i32 s9, s1, 31
	s_lshr_b32 s9, s9, 27
	v_rcp_iflag_f32_e32 v1, v1
	s_add_i32 s1, s1, s9
	v_lshrrev_b32_e32 v4, 1, v0
	s_ashr_i32 s16, s1, 5
	v_mul_f32_e32 v1, 0x4f7ffffe, v1
	v_cvt_u32_f32_e32 v1, v1
	v_cmp_gt_u32_e32 vcc, s16, v4
	v_mov_b32_e32 v5, 0
	v_readfirstlane_b32 s1, v1
	s_and_saveexec_b64 s[10:11], vcc
	s_cbranch_execz .LBB289_5
; %bb.2:
	s_sub_i32 s12, 0, s0
	s_mul_i32 s17, s12, s1
	s_load_dwordx4 s[12:15], s[4:5], 0x0
	s_load_dwordx2 s[18:19], s[4:5], 0x18
	s_mov_b32 s9, 0
	s_mul_hi_u32 s4, s1, s17
	s_add_i32 s1, s1, s4
	s_lshl_b64 s[4:5], s[8:9], 2
	s_waitcnt lgkmcnt(0)
	s_add_u32 s4, s18, s4
	s_mul_hi_u32 s1, s8, s1
	s_addc_u32 s5, s19, s5
	s_load_dword s4, s[4:5], 0x0
	s_mul_i32 s5, s1, s0
	s_sub_i32 s5, s8, s5
	s_add_i32 s17, s1, 1
	s_sub_i32 s18, s5, s0
	s_cmp_ge_u32 s5, s0
	s_cselect_b32 s1, s17, s1
	s_cselect_b32 s5, s18, s5
	s_add_i32 s17, s1, 1
	s_cmp_ge_u32 s5, s0
	s_mul_i32 s0, s16, s2
	s_waitcnt lgkmcnt(0)
	s_mul_i32 s0, s0, s4
	s_cselect_b32 s5, s17, s1
	s_mul_hi_i32 s1, s0, 18
	s_mul_i32 s0, s0, 18
	s_add_u32 s0, s12, s0
	s_mul_i32 s4, s5, s3
	s_mov_b32 s5, s9
	v_mul_lo_u32 v6, v3, s16
	v_lshlrev_b32_e32 v1, 1, v0
	s_addc_u32 s1, s13, s1
	s_lshl_b64 s[4:5], s[4:5], 2
	v_and_b32_e32 v1, 2, v1
	s_add_u32 s4, s14, s4
	v_lshlrev_b32_e32 v2, 1, v1
	s_addc_u32 s5, s15, s5
	v_mov_b32_e32 v5, 0
	s_mov_b64 s[12:13], 0
	v_lshlrev_b32_e32 v7, 1, v2
	v_lshlrev_b32_e32 v8, 2, v1
	s_getpc_b64 s[14:15]
	s_add_u32 s14, s14, _ZL13kvalues_iq4nl@rel32@lo+4
	s_addc_u32 s15, s15, _ZL13kvalues_iq4nl@rel32@hi+12
.LBB289_3:                              ; =>This Inner Loop Header: Depth=1
	v_add_u32_e32 v1, v6, v4
	v_mad_i64_i32 v[1:2], s[18:19], v1, 18, s[0:1]
	v_add_co_u32_e32 v9, vcc, v1, v7
	v_addc_co_u32_e32 v10, vcc, 0, v2, vcc
	global_load_dwordx2 v[9:10], v[9:10], off offset:2
	s_waitcnt vmcnt(0)
	v_and_b32_e32 v12, 15, v9
	v_bfe_u32 v13, v9, 8, 4
	global_load_ubyte v15, v12, s[14:15]
	global_load_ubyte v16, v13, s[14:15]
	v_bfe_u32 v11, v9, 24, 4
	v_bfe_u32 v14, v9, 16, 4
	;; [unrolled: 1-line block ×3, first 2 shown]
	s_waitcnt vmcnt(0)
	v_lshl_or_b32 v12, v16, 8, v15
	global_load_ubyte v15, v11, s[14:15]
	global_load_ubyte v16, v14, s[14:15]
	s_waitcnt vmcnt(1)
	v_lshlrev_b32_e32 v11, 24, v15
	s_waitcnt vmcnt(0)
	v_lshlrev_b32_e32 v14, 16, v16
	v_or3_b32 v17, v12, v14, v11
	v_and_b32_e32 v11, 15, v10
	v_bfe_u32 v12, v10, 8, 4
	global_load_ubyte v14, v11, s[14:15]
	global_load_ubyte v15, v12, s[14:15]
	v_bfe_u32 v12, v10, 16, 4
	s_waitcnt vmcnt(0)
	v_lshl_or_b32 v11, v15, 8, v14
	global_load_ubyte v14, v13, s[14:15]
	global_load_ubyte v15, v12, s[14:15]
	s_waitcnt vmcnt(1)
	v_lshlrev_b32_e32 v12, 24, v14
	s_waitcnt vmcnt(0)
	v_lshlrev_b32_e32 v13, 16, v15
	v_or3_b32 v18, v11, v13, v12
	v_mad_i64_i32 v[11:12], s[18:19], v4, 36, s[4:5]
	v_add_u32_e32 v4, 32, v4
	v_add_co_u32_e32 v13, vcc, v11, v8
	v_addc_co_u32_e32 v14, vcc, 0, v12, vcc
	global_load_dwordx2 v[15:16], v[13:14], off offset:4
	v_cmp_le_u32_e32 vcc, s16, v4
	s_or_b64 s[12:13], vcc, s[12:13]
	s_waitcnt vmcnt(0)
	v_dot4_i32_i8 v15, v17, v15, 0
	v_dot4_i32_i8 v15, v18, v16, v15
	v_bfe_u32 v16, v9, 12, 4
	v_bfe_u32 v17, v9, 4, 4
	global_load_ubyte v16, v16, s[14:15]
	v_lshrrev_b32_e32 v18, 28, v10
	global_load_ubyte v17, v17, s[14:15]
	s_waitcnt vmcnt(0)
	v_lshl_or_b32 v16, v16, 8, v17
	v_lshrrev_b32_e32 v17, 28, v9
	v_bfe_u32 v9, v9, 20, 4
	global_load_ubyte v17, v17, s[14:15]
	s_nop 0
	global_load_ubyte v9, v9, s[14:15]
	s_waitcnt vmcnt(1)
	v_lshlrev_b32_e32 v17, 24, v17
	s_waitcnt vmcnt(0)
	v_lshlrev_b32_e32 v9, 16, v9
	v_or3_b32 v16, v16, v9, v17
	v_bfe_u32 v9, v10, 12, 4
	v_bfe_u32 v17, v10, 20, 4
	;; [unrolled: 1-line block ×3, first 2 shown]
	global_load_ubyte v19, v9, s[14:15]
	global_load_ubyte v20, v10, s[14:15]
	s_waitcnt vmcnt(0)
	v_lshl_or_b32 v9, v19, 8, v20
	global_load_ubyte v10, v18, s[14:15]
	global_load_ubyte v19, v17, s[14:15]
	s_waitcnt vmcnt(1)
	v_lshlrev_b32_e32 v10, 24, v10
	s_waitcnt vmcnt(0)
	v_lshlrev_b32_e32 v17, 16, v19
	v_or3_b32 v17, v9, v17, v10
	global_load_dword v18, v[11:12], off
	global_load_dwordx2 v[9:10], v[13:14], off offset:20
	global_load_ushort v19, v[1:2], off
	s_waitcnt vmcnt(2)
	v_cvt_f32_f16_e32 v1, v18
	s_waitcnt vmcnt(1)
	v_dot4_i32_i8 v9, v16, v9, 0
	v_dot4_i32_i8 v9, v17, v10, v9
	s_waitcnt vmcnt(0)
	v_cvt_f32_f16_e32 v2, v19
	v_add_u32_e32 v9, v9, v15
	v_cvt_f32_i32_e32 v9, v9
	v_mul_f32_e32 v1, v2, v1
	v_fmac_f32_e32 v5, v1, v9
	s_andn2_b64 exec, exec, s[12:13]
	s_cbranch_execnz .LBB289_3
; %bb.4:
	s_or_b64 exec, exec, s[12:13]
.LBB289_5:
	s_or_b64 exec, exec, s[10:11]
	v_mbcnt_lo_u32_b32 v1, -1, 0
	v_mbcnt_hi_u32_b32 v2, -1, v1
	v_and_b32_e32 v1, 64, v2
	v_add_u32_e32 v4, 64, v1
	v_xor_b32_e32 v1, 32, v2
	v_cmp_lt_i32_e32 vcc, v1, v4
	v_cndmask_b32_e32 v1, v2, v1, vcc
	v_lshlrev_b32_e32 v1, 2, v1
	ds_bpermute_b32 v1, v1, v5
	v_xor_b32_e32 v6, 16, v2
	v_cmp_lt_i32_e32 vcc, v6, v4
	s_waitcnt lgkmcnt(0)
	v_add_f32_e32 v1, v5, v1
	v_cndmask_b32_e32 v5, v2, v6, vcc
	v_lshlrev_b32_e32 v5, 2, v5
	ds_bpermute_b32 v5, v5, v1
	v_xor_b32_e32 v6, 8, v2
	v_cmp_lt_i32_e32 vcc, v6, v4
	s_waitcnt lgkmcnt(0)
	v_add_f32_e32 v1, v1, v5
	;; [unrolled: 7-line block ×4, first 2 shown]
	v_cndmask_b32_e32 v5, v2, v6, vcc
	v_lshlrev_b32_e32 v5, 2, v5
	ds_bpermute_b32 v5, v5, v1
	v_xor_b32_e32 v6, 1, v2
	v_cmp_lt_i32_e32 vcc, v6, v4
	v_cndmask_b32_e32 v2, v2, v6, vcc
	v_lshlrev_b32_e32 v2, 2, v2
	s_waitcnt lgkmcnt(0)
	v_add_f32_e32 v1, v1, v5
	ds_bpermute_b32 v2, v2, v1
	v_cmp_eq_u32_e32 vcc, 0, v0
	s_and_b64 exec, exec, vcc
	s_cbranch_execz .LBB289_7
; %bb.6:
	s_waitcnt lgkmcnt(0)
	v_add_f32_e32 v0, v1, v2
	v_bfe_u32 v1, v0, 16, 1
	s_movk_i32 s0, 0x7fff
	v_add3_u32 v1, v0, v1, s0
	v_cmp_o_f32_e32 vcc, v0, v0
	v_mov_b32_e32 v0, 0x7fc0
	s_mul_i32 s0, s2, s8
	v_cndmask_b32_sdwa v2, v0, v1, vcc dst_sel:DWORD dst_unused:UNUSED_PAD src0_sel:DWORD src1_sel:WORD_1
	v_add_u32_e32 v0, s0, v3
	v_mov_b32_e32 v1, 0
	v_lshlrev_b64 v[0:1], 1, v[0:1]
	v_mov_b32_e32 v3, s7
	v_add_co_u32_e32 v0, vcc, s6, v0
	v_addc_co_u32_e32 v1, vcc, v3, v1, vcc
	global_store_short v[0:1], v2, off
.LBB289_7:
	s_endpgm
	.section	.rodata,"a",@progbits
	.p2align	6, 0x0
	.amdhsa_kernel _ZL9moe_vec_qIN3c108BFloat16ELi32ELi4E12block_iq4_nlLi2EXadL_ZL19vec_dot_iq4_nl_q8_1PKvPK10block_q8_1RKiEEEvS4_S4_PT_PS8_iiii
		.amdhsa_group_segment_fixed_size 0
		.amdhsa_private_segment_fixed_size 0
		.amdhsa_kernarg_size 304
		.amdhsa_user_sgpr_count 6
		.amdhsa_user_sgpr_private_segment_buffer 1
		.amdhsa_user_sgpr_dispatch_ptr 0
		.amdhsa_user_sgpr_queue_ptr 0
		.amdhsa_user_sgpr_kernarg_segment_ptr 1
		.amdhsa_user_sgpr_dispatch_id 0
		.amdhsa_user_sgpr_flat_scratch_init 0
		.amdhsa_user_sgpr_private_segment_size 0
		.amdhsa_uses_dynamic_stack 0
		.amdhsa_system_sgpr_private_segment_wavefront_offset 0
		.amdhsa_system_sgpr_workgroup_id_x 1
		.amdhsa_system_sgpr_workgroup_id_y 0
		.amdhsa_system_sgpr_workgroup_id_z 1
		.amdhsa_system_sgpr_workgroup_info 0
		.amdhsa_system_vgpr_workitem_id 1
		.amdhsa_next_free_vgpr 21
		.amdhsa_next_free_sgpr 20
		.amdhsa_reserve_vcc 1
		.amdhsa_reserve_flat_scratch 0
		.amdhsa_float_round_mode_32 0
		.amdhsa_float_round_mode_16_64 0
		.amdhsa_float_denorm_mode_32 3
		.amdhsa_float_denorm_mode_16_64 3
		.amdhsa_dx10_clamp 1
		.amdhsa_ieee_mode 1
		.amdhsa_fp16_overflow 0
		.amdhsa_exception_fp_ieee_invalid_op 0
		.amdhsa_exception_fp_denorm_src 0
		.amdhsa_exception_fp_ieee_div_zero 0
		.amdhsa_exception_fp_ieee_overflow 0
		.amdhsa_exception_fp_ieee_underflow 0
		.amdhsa_exception_fp_ieee_inexact 0
		.amdhsa_exception_int_div_zero 0
	.end_amdhsa_kernel
	.section	.text._ZL9moe_vec_qIN3c108BFloat16ELi32ELi4E12block_iq4_nlLi2EXadL_ZL19vec_dot_iq4_nl_q8_1PKvPK10block_q8_1RKiEEEvS4_S4_PT_PS8_iiii,"axG",@progbits,_ZL9moe_vec_qIN3c108BFloat16ELi32ELi4E12block_iq4_nlLi2EXadL_ZL19vec_dot_iq4_nl_q8_1PKvPK10block_q8_1RKiEEEvS4_S4_PT_PS8_iiii,comdat
.Lfunc_end289:
	.size	_ZL9moe_vec_qIN3c108BFloat16ELi32ELi4E12block_iq4_nlLi2EXadL_ZL19vec_dot_iq4_nl_q8_1PKvPK10block_q8_1RKiEEEvS4_S4_PT_PS8_iiii, .Lfunc_end289-_ZL9moe_vec_qIN3c108BFloat16ELi32ELi4E12block_iq4_nlLi2EXadL_ZL19vec_dot_iq4_nl_q8_1PKvPK10block_q8_1RKiEEEvS4_S4_PT_PS8_iiii
                                        ; -- End function
	.set _ZL9moe_vec_qIN3c108BFloat16ELi32ELi4E12block_iq4_nlLi2EXadL_ZL19vec_dot_iq4_nl_q8_1PKvPK10block_q8_1RKiEEEvS4_S4_PT_PS8_iiii.num_vgpr, 21
	.set _ZL9moe_vec_qIN3c108BFloat16ELi32ELi4E12block_iq4_nlLi2EXadL_ZL19vec_dot_iq4_nl_q8_1PKvPK10block_q8_1RKiEEEvS4_S4_PT_PS8_iiii.num_agpr, 0
	.set _ZL9moe_vec_qIN3c108BFloat16ELi32ELi4E12block_iq4_nlLi2EXadL_ZL19vec_dot_iq4_nl_q8_1PKvPK10block_q8_1RKiEEEvS4_S4_PT_PS8_iiii.numbered_sgpr, 20
	.set _ZL9moe_vec_qIN3c108BFloat16ELi32ELi4E12block_iq4_nlLi2EXadL_ZL19vec_dot_iq4_nl_q8_1PKvPK10block_q8_1RKiEEEvS4_S4_PT_PS8_iiii.num_named_barrier, 0
	.set _ZL9moe_vec_qIN3c108BFloat16ELi32ELi4E12block_iq4_nlLi2EXadL_ZL19vec_dot_iq4_nl_q8_1PKvPK10block_q8_1RKiEEEvS4_S4_PT_PS8_iiii.private_seg_size, 0
	.set _ZL9moe_vec_qIN3c108BFloat16ELi32ELi4E12block_iq4_nlLi2EXadL_ZL19vec_dot_iq4_nl_q8_1PKvPK10block_q8_1RKiEEEvS4_S4_PT_PS8_iiii.uses_vcc, 1
	.set _ZL9moe_vec_qIN3c108BFloat16ELi32ELi4E12block_iq4_nlLi2EXadL_ZL19vec_dot_iq4_nl_q8_1PKvPK10block_q8_1RKiEEEvS4_S4_PT_PS8_iiii.uses_flat_scratch, 0
	.set _ZL9moe_vec_qIN3c108BFloat16ELi32ELi4E12block_iq4_nlLi2EXadL_ZL19vec_dot_iq4_nl_q8_1PKvPK10block_q8_1RKiEEEvS4_S4_PT_PS8_iiii.has_dyn_sized_stack, 0
	.set _ZL9moe_vec_qIN3c108BFloat16ELi32ELi4E12block_iq4_nlLi2EXadL_ZL19vec_dot_iq4_nl_q8_1PKvPK10block_q8_1RKiEEEvS4_S4_PT_PS8_iiii.has_recursion, 0
	.set _ZL9moe_vec_qIN3c108BFloat16ELi32ELi4E12block_iq4_nlLi2EXadL_ZL19vec_dot_iq4_nl_q8_1PKvPK10block_q8_1RKiEEEvS4_S4_PT_PS8_iiii.has_indirect_call, 0
	.section	.AMDGPU.csdata,"",@progbits
; Kernel info:
; codeLenInByte = 1204
; TotalNumSgprs: 24
; NumVgprs: 21
; ScratchSize: 0
; MemoryBound: 0
; FloatMode: 240
; IeeeMode: 1
; LDSByteSize: 0 bytes/workgroup (compile time only)
; SGPRBlocks: 2
; VGPRBlocks: 5
; NumSGPRsForWavesPerEU: 24
; NumVGPRsForWavesPerEU: 21
; Occupancy: 10
; WaveLimiterHint : 1
; COMPUTE_PGM_RSRC2:SCRATCH_EN: 0
; COMPUTE_PGM_RSRC2:USER_SGPR: 6
; COMPUTE_PGM_RSRC2:TRAP_HANDLER: 0
; COMPUTE_PGM_RSRC2:TGID_X_EN: 1
; COMPUTE_PGM_RSRC2:TGID_Y_EN: 0
; COMPUTE_PGM_RSRC2:TGID_Z_EN: 1
; COMPUTE_PGM_RSRC2:TIDIG_COMP_CNT: 1
	.section	.text._ZL9moe_vec_qIN3c108BFloat16ELi256ELi8E11block_iq3_sLi1EXadL_ZL18vec_dot_iq3_s_q8_1PKvPK10block_q8_1RKiEEEvS4_S4_PT_PS8_iiii,"axG",@progbits,_ZL9moe_vec_qIN3c108BFloat16ELi256ELi8E11block_iq3_sLi1EXadL_ZL18vec_dot_iq3_s_q8_1PKvPK10block_q8_1RKiEEEvS4_S4_PT_PS8_iiii,comdat
	.globl	_ZL9moe_vec_qIN3c108BFloat16ELi256ELi8E11block_iq3_sLi1EXadL_ZL18vec_dot_iq3_s_q8_1PKvPK10block_q8_1RKiEEEvS4_S4_PT_PS8_iiii ; -- Begin function _ZL9moe_vec_qIN3c108BFloat16ELi256ELi8E11block_iq3_sLi1EXadL_ZL18vec_dot_iq3_s_q8_1PKvPK10block_q8_1RKiEEEvS4_S4_PT_PS8_iiii
	.p2align	8
	.type	_ZL9moe_vec_qIN3c108BFloat16ELi256ELi8E11block_iq3_sLi1EXadL_ZL18vec_dot_iq3_s_q8_1PKvPK10block_q8_1RKiEEEvS4_S4_PT_PS8_iiii,@function
_ZL9moe_vec_qIN3c108BFloat16ELi256ELi8E11block_iq3_sLi1EXadL_ZL18vec_dot_iq3_s_q8_1PKvPK10block_q8_1RKiEEEvS4_S4_PT_PS8_iiii: ; @_ZL9moe_vec_qIN3c108BFloat16ELi256ELi8E11block_iq3_sLi1EXadL_ZL18vec_dot_iq3_s_q8_1PKvPK10block_q8_1RKiEEEvS4_S4_PT_PS8_iiii
; %bb.0:
	s_load_dword s0, s[4:5], 0x3c
	s_load_dwordx4 s[8:11], s[4:5], 0x20
	s_waitcnt lgkmcnt(0)
	s_lshr_b32 s0, s0, 16
	s_mul_i32 s6, s6, s0
	v_add_u32_e32 v19, s6, v1
	v_cmp_gt_u32_e32 vcc, s10, v19
	s_and_saveexec_b64 s[0:1], vcc
	s_cbranch_execz .LBB290_9
; %bb.1:
	s_mov_b32 s12, s7
	s_load_dwordx2 s[6:7], s[4:5], 0x10
	s_ashr_i32 s0, s9, 31
	s_lshr_b32 s0, s0, 24
	s_add_i32 s0, s9, s0
	s_ashr_i32 s16, s0, 8
	v_lshrrev_b32_e32 v20, 3, v0
	v_cmp_gt_u32_e32 vcc, s16, v20
	v_mov_b32_e32 v21, 0
	s_and_saveexec_b64 s[14:15], vcc
	s_cbranch_execz .LBB290_7
; %bb.2:
	s_load_dwordx2 s[18:19], s[4:5], 0x18
	s_load_dwordx4 s[0:3], s[4:5], 0x0
	v_cvt_f32_u32_e32 v1, s8
	s_mov_b32 s13, 0
	s_lshl_b64 s[4:5], s[12:13], 2
	s_waitcnt lgkmcnt(0)
	s_add_u32 s4, s18, s4
	s_addc_u32 s5, s19, s5
	v_rcp_iflag_f32_e32 v1, v1
	s_load_dword s4, s[4:5], 0x0
	s_mul_i32 s5, s16, s10
	v_and_b32_e32 v23, 7, v0
	v_mul_f32_e32 v1, 0x4f7ffffe, v1
	v_cvt_u32_f32_e32 v1, v1
	s_waitcnt lgkmcnt(0)
	s_mul_i32 s4, s5, s4
	s_mul_hi_i32 s5, s4, 0x6e
	s_mulk_i32 s4, 0x6e
	s_add_u32 s0, s0, s4
	s_addc_u32 s1, s1, s5
	s_sub_i32 s4, 0, s8
	v_readfirstlane_b32 s5, v1
	s_mul_i32 s4, s4, s5
	s_mul_hi_u32 s4, s5, s4
	s_add_i32 s5, s5, s4
	s_mul_hi_u32 s4, s12, s5
	s_mul_i32 s5, s4, s8
	s_sub_i32 s5, s12, s5
	s_add_i32 s9, s4, 1
	s_sub_i32 s18, s5, s8
	s_cmp_ge_u32 s5, s8
	s_cselect_b32 s4, s9, s4
	s_cselect_b32 s5, s18, s5
	s_add_i32 s9, s4, 1
	s_cmp_ge_u32 s5, s8
	s_cselect_b32 s4, s9, s4
	s_mul_i32 s4, s4, s11
	s_mov_b32 s5, s13
	s_lshl_b64 s[4:5], s[4:5], 2
	s_add_u32 s2, s2, s4
	v_lshlrev_b32_e32 v3, 2, v0
	s_addc_u32 s3, s3, s5
	v_and_b32_e32 v25, 4, v3
	v_lshlrev_b32_e32 v3, 2, v23
	v_mad_u64_u32 v[1:2], s[2:3], v23, 36, s[2:3]
	v_mov_b32_e32 v4, s1
	v_add_co_u32_e32 v3, vcc, s0, v3
	v_addc_co_u32_e32 v4, vcc, 0, v4, vcc
	s_movk_i32 s2, 0x4a
	v_add_co_u32_e32 v3, vcc, s2, v3
	v_mul_lo_u32 v22, v19, s16
	v_lshlrev_b32_e32 v5, 3, v23
	v_addc_co_u32_e32 v4, vcc, 0, v4, vcc
	v_mov_b32_e32 v6, s1
	v_add_co_u32_e32 v5, vcc, s0, v5
	v_addc_co_u32_e32 v6, vcc, 0, v6, vcc
	v_add_co_u32_e32 v5, vcc, 2, v5
	v_mov_b32_e32 v8, s1
	s_movk_i32 s17, 0x6e
	v_mov_b32_e32 v21, 0
	v_bfe_u32 v24, v0, 1, 2
	v_add_u32_e32 v26, v20, v22
	v_addc_co_u32_e32 v6, vcc, 0, v6, vcc
	s_mov_b64 s[8:9], 0
	s_movk_i32 s11, 0x100
	s_mov_b32 s13, 0x1010101
	s_mov_b32 s18, 0x1000000
	;; [unrolled: 1-line block ×3, first 2 shown]
	v_mov_b32_e32 v7, s0
	v_mov_b32_e32 v27, 0xff0000
	;; [unrolled: 1-line block ×4, first 2 shown]
.LBB290_3:                              ; =>This Loop Header: Depth=1
                                        ;     Child Loop BB290_4 Depth 2
	v_add_u32_e32 v9, v20, v22
	v_mad_i64_i32 v[9:10], s[0:1], v9, s17, v[7:8]
	v_mad_i64_i32 v[13:14], s[0:1], v26, s17, v[3:4]
	v_add_co_u32_e32 v11, vcc, v9, v23
	v_addc_co_u32_e32 v12, vcc, 0, v10, vcc
	global_load_ubyte v31, v[11:12], off offset:66
	v_lshlrev_b32_e32 v11, 3, v20
	v_mad_i64_i32 v[11:12], s[0:1], v11, 36, v[1:2]
	v_mad_i64_i32 v[15:16], s[0:1], v26, s17, v[5:6]
	v_add_co_u32_e32 v17, vcc, 4, v11
	v_addc_co_u32_e32 v18, vcc, 0, v12, vcc
	s_mov_b32 s20, 7
	v_mov_b32_e32 v30, 0
.LBB290_4:                              ;   Parent Loop BB290_3 Depth=1
                                        ; =>  This Inner Loop Header: Depth=2
	global_load_ushort v32, v[15:16], off
	global_load_ubyte v34, v[13:14], off
	s_add_i32 s2, s20, 1
	s_waitcnt vmcnt(2)
	v_lshlrev_b32_e32 v33, s20, v31
	v_lshlrev_b32_e32 v35, s2, v31
	s_getpc_b64 s[0:1]
	s_add_u32 s0, s0, _ZL10iq3xs_grid@rel32@lo+4
	s_addc_u32 s1, s1, _ZL10iq3xs_grid@rel32@hi+12
	v_add_co_u32_e64 v15, s[2:3], 2, v15
	s_add_i32 s20, s20, -2
	s_cmp_lg_u32 s20, -1
	s_waitcnt vmcnt(1)
	v_and_b32_e32 v36, 0xff, v32
	v_lshrrev_b16_e32 v32, 8, v32
	v_and_or_b32 v35, v35, s11, v36
	v_and_or_b32 v32, v33, s11, v32
	v_lshlrev_b32_e32 v33, 2, v35
	v_lshlrev_b32_e32 v32, 2, v32
	global_load_dword v35, v33, s[0:1]
	global_load_dword v36, v32, s[0:1]
	s_nop 0
	global_load_dwordx2 v[32:33], v[17:18], off
	s_waitcnt vmcnt(3)
	v_and_b32_e32 v37, 15, v34
	v_lshrrev_b16_e32 v34, 4, v34
	v_and_b32_e32 v37, 0xffff, v37
	v_mul_lo_u32 v34, v34, s13
	v_mul_lo_u32 v37, v37, s13
	v_add_co_u32_e32 v17, vcc, 8, v17
	v_add_co_u32_e64 v13, s[0:1], 1, v13
	v_not_b32_e32 v34, v34
	v_addc_co_u32_e32 v18, vcc, 0, v18, vcc
	v_addc_co_u32_e64 v14, vcc, 0, v14, s[0:1]
	v_addc_co_u32_e64 v16, vcc, 0, v16, s[2:3]
	v_not_b32_e32 v37, v37
	v_and_b32_e32 v38, 0x8040201, v34
	v_and_b32_e32 v39, 0x40000, v34
	;; [unrolled: 1-line block ×8, first 2 shown]
	v_cmp_gt_u32_e32 vcc, s18, v38
	v_cmp_eq_u32_e64 s[2:3], 0, v40
	v_cmp_eq_u32_e64 s[4:5], 0, v34
	;; [unrolled: 1-line block ×3, first 2 shown]
	v_cndmask_b32_e64 v34, 0, -1, vcc
	v_cndmask_b32_e64 v39, 0, v28, s[2:3]
	v_cndmask_b32_e64 v40, 0, v29, s[4:5]
	v_cmp_gt_u32_e32 vcc, s18, v41
	v_cmp_eq_u32_e64 s[2:3], 0, v43
	v_cmp_eq_u32_e64 s[4:5], 0, v37
	v_cndmask_b32_e64 v38, 0, v27, s[0:1]
	v_cmp_eq_u32_e64 s[0:1], 0, v42
	v_cndmask_b32_e64 v37, 0, -1, vcc
	v_cndmask_b32_e64 v42, 0, v28, s[2:3]
	v_cndmask_b32_e64 v43, 0, v29, s[4:5]
	;; [unrolled: 1-line block ×3, first 2 shown]
	v_lshlrev_b32_e32 v37, 24, v37
	v_or_b32_e32 v45, v42, v43
	v_lshlrev_b32_e32 v34, 24, v34
	v_or_b32_e32 v44, v39, v40
	v_or3_b32 v45, v45, v41, v37
	v_or3_b32 v44, v44, v38, v34
	s_waitcnt vmcnt(2)
	v_xor_b32_e32 v35, v45, v35
	s_waitcnt vmcnt(1)
	v_xor_b32_e32 v36, v44, v36
	v_sub_u32_e32 v37, v35, v37
	v_sub_u32_e32 v41, v35, v41
	;; [unrolled: 1-line block ×8, first 2 shown]
	v_and_b32_e32 v37, 0xff000000, v37
	v_and_b32_e32 v40, 0xff00, v42
	v_perm_b32 v35, v41, v35, s19
	v_and_b32_e32 v34, 0xff000000, v34
	v_and_b32_e32 v39, 0xff00, v39
	v_perm_b32 v36, v38, v36, s19
	v_or3_b32 v35, v35, v37, v40
	v_or3_b32 v34, v36, v34, v39
	s_waitcnt vmcnt(0)
	v_dot4_i32_i8 v30, v35, v32, v30
	v_dot4_i32_i8 v30, v34, v33, v30
	s_cbranch_scc1 .LBB290_4
; %bb.5:                                ;   in Loop: Header=BB290_3 Depth=1
	global_load_ushort v13, v[9:10], off
	v_add_co_u32_e32 v9, vcc, v9, v24
	v_addc_co_u32_e32 v10, vcc, 0, v10, vcc
	global_load_dword v14, v[11:12], off
	global_load_ubyte v15, v[9:10], off offset:106
	v_cvt_f32_i32_e32 v9, v30
	v_add_u32_e32 v20, 8, v20
	v_cmp_le_u32_e32 vcc, s16, v20
	s_or_b64 s[8:9], vcc, s[8:9]
	v_add_u32_e32 v26, 8, v26
	s_waitcnt vmcnt(2)
	v_cvt_f32_f16_e32 v10, v13
	s_waitcnt vmcnt(1)
	v_cvt_f32_f16_e32 v11, v14
	s_waitcnt vmcnt(0)
	v_bfe_u32 v12, v15, v25, 4
	v_cvt_f32_ubyte0_e32 v12, v12
	v_add_f32_e32 v12, 0.5, v12
	v_mul_f32_e32 v10, v12, v10
	v_mul_f32_e32 v10, v10, v11
	v_mul_f32_e32 v10, 0.5, v10
	v_fmac_f32_e32 v21, v10, v9
	s_andn2_b64 exec, exec, s[8:9]
	s_cbranch_execnz .LBB290_3
; %bb.6:
	s_or_b64 exec, exec, s[8:9]
.LBB290_7:
	s_or_b64 exec, exec, s[14:15]
	v_mbcnt_lo_u32_b32 v1, -1, 0
	v_mbcnt_hi_u32_b32 v2, -1, v1
	v_and_b32_e32 v1, 64, v2
	v_add_u32_e32 v3, 64, v1
	v_xor_b32_e32 v1, 32, v2
	v_cmp_lt_i32_e32 vcc, v1, v3
	v_cndmask_b32_e32 v1, v2, v1, vcc
	v_lshlrev_b32_e32 v1, 2, v1
	ds_bpermute_b32 v1, v1, v21
	v_xor_b32_e32 v4, 16, v2
	v_cmp_lt_i32_e32 vcc, v4, v3
	v_cndmask_b32_e32 v4, v2, v4, vcc
	v_lshlrev_b32_e32 v4, 2, v4
	s_waitcnt lgkmcnt(0)
	v_add_f32_e32 v1, v21, v1
	ds_bpermute_b32 v4, v4, v1
	v_xor_b32_e32 v5, 8, v2
	v_cmp_lt_i32_e32 vcc, v5, v3
	s_waitcnt lgkmcnt(0)
	v_add_f32_e32 v1, v1, v4
	v_cndmask_b32_e32 v4, v2, v5, vcc
	v_lshlrev_b32_e32 v4, 2, v4
	ds_bpermute_b32 v4, v4, v1
	v_xor_b32_e32 v5, 4, v2
	v_cmp_lt_i32_e32 vcc, v5, v3
	s_waitcnt lgkmcnt(0)
	v_add_f32_e32 v1, v1, v4
	v_cndmask_b32_e32 v4, v2, v5, vcc
	v_lshlrev_b32_e32 v4, 2, v4
	;; [unrolled: 7-line block ×3, first 2 shown]
	ds_bpermute_b32 v4, v4, v1
	v_xor_b32_e32 v5, 1, v2
	v_cmp_lt_i32_e32 vcc, v5, v3
	v_cndmask_b32_e32 v2, v2, v5, vcc
	v_lshlrev_b32_e32 v2, 2, v2
	s_waitcnt lgkmcnt(0)
	v_add_f32_e32 v1, v1, v4
	ds_bpermute_b32 v2, v2, v1
	v_cmp_eq_u32_e32 vcc, 0, v0
	s_and_b64 exec, exec, vcc
	s_cbranch_execz .LBB290_9
; %bb.8:
	s_waitcnt lgkmcnt(0)
	v_add_f32_e32 v0, v1, v2
	v_bfe_u32 v1, v0, 16, 1
	s_movk_i32 s0, 0x7fff
	v_add3_u32 v1, v0, v1, s0
	v_cmp_o_f32_e32 vcc, v0, v0
	v_mov_b32_e32 v0, 0x7fc0
	s_mul_i32 s0, s10, s12
	v_cndmask_b32_sdwa v2, v0, v1, vcc dst_sel:DWORD dst_unused:UNUSED_PAD src0_sel:DWORD src1_sel:WORD_1
	v_add_u32_e32 v0, s0, v19
	v_mov_b32_e32 v1, 0
	v_lshlrev_b64 v[0:1], 1, v[0:1]
	v_mov_b32_e32 v3, s7
	v_add_co_u32_e32 v0, vcc, s6, v0
	v_addc_co_u32_e32 v1, vcc, v3, v1, vcc
	global_store_short v[0:1], v2, off
.LBB290_9:
	s_endpgm
	.section	.rodata,"a",@progbits
	.p2align	6, 0x0
	.amdhsa_kernel _ZL9moe_vec_qIN3c108BFloat16ELi256ELi8E11block_iq3_sLi1EXadL_ZL18vec_dot_iq3_s_q8_1PKvPK10block_q8_1RKiEEEvS4_S4_PT_PS8_iiii
		.amdhsa_group_segment_fixed_size 0
		.amdhsa_private_segment_fixed_size 0
		.amdhsa_kernarg_size 304
		.amdhsa_user_sgpr_count 6
		.amdhsa_user_sgpr_private_segment_buffer 1
		.amdhsa_user_sgpr_dispatch_ptr 0
		.amdhsa_user_sgpr_queue_ptr 0
		.amdhsa_user_sgpr_kernarg_segment_ptr 1
		.amdhsa_user_sgpr_dispatch_id 0
		.amdhsa_user_sgpr_flat_scratch_init 0
		.amdhsa_user_sgpr_private_segment_size 0
		.amdhsa_uses_dynamic_stack 0
		.amdhsa_system_sgpr_private_segment_wavefront_offset 0
		.amdhsa_system_sgpr_workgroup_id_x 1
		.amdhsa_system_sgpr_workgroup_id_y 0
		.amdhsa_system_sgpr_workgroup_id_z 1
		.amdhsa_system_sgpr_workgroup_info 0
		.amdhsa_system_vgpr_workitem_id 1
		.amdhsa_next_free_vgpr 46
		.amdhsa_next_free_sgpr 21
		.amdhsa_reserve_vcc 1
		.amdhsa_reserve_flat_scratch 0
		.amdhsa_float_round_mode_32 0
		.amdhsa_float_round_mode_16_64 0
		.amdhsa_float_denorm_mode_32 3
		.amdhsa_float_denorm_mode_16_64 3
		.amdhsa_dx10_clamp 1
		.amdhsa_ieee_mode 1
		.amdhsa_fp16_overflow 0
		.amdhsa_exception_fp_ieee_invalid_op 0
		.amdhsa_exception_fp_denorm_src 0
		.amdhsa_exception_fp_ieee_div_zero 0
		.amdhsa_exception_fp_ieee_overflow 0
		.amdhsa_exception_fp_ieee_underflow 0
		.amdhsa_exception_fp_ieee_inexact 0
		.amdhsa_exception_int_div_zero 0
	.end_amdhsa_kernel
	.section	.text._ZL9moe_vec_qIN3c108BFloat16ELi256ELi8E11block_iq3_sLi1EXadL_ZL18vec_dot_iq3_s_q8_1PKvPK10block_q8_1RKiEEEvS4_S4_PT_PS8_iiii,"axG",@progbits,_ZL9moe_vec_qIN3c108BFloat16ELi256ELi8E11block_iq3_sLi1EXadL_ZL18vec_dot_iq3_s_q8_1PKvPK10block_q8_1RKiEEEvS4_S4_PT_PS8_iiii,comdat
.Lfunc_end290:
	.size	_ZL9moe_vec_qIN3c108BFloat16ELi256ELi8E11block_iq3_sLi1EXadL_ZL18vec_dot_iq3_s_q8_1PKvPK10block_q8_1RKiEEEvS4_S4_PT_PS8_iiii, .Lfunc_end290-_ZL9moe_vec_qIN3c108BFloat16ELi256ELi8E11block_iq3_sLi1EXadL_ZL18vec_dot_iq3_s_q8_1PKvPK10block_q8_1RKiEEEvS4_S4_PT_PS8_iiii
                                        ; -- End function
	.set _ZL9moe_vec_qIN3c108BFloat16ELi256ELi8E11block_iq3_sLi1EXadL_ZL18vec_dot_iq3_s_q8_1PKvPK10block_q8_1RKiEEEvS4_S4_PT_PS8_iiii.num_vgpr, 46
	.set _ZL9moe_vec_qIN3c108BFloat16ELi256ELi8E11block_iq3_sLi1EXadL_ZL18vec_dot_iq3_s_q8_1PKvPK10block_q8_1RKiEEEvS4_S4_PT_PS8_iiii.num_agpr, 0
	.set _ZL9moe_vec_qIN3c108BFloat16ELi256ELi8E11block_iq3_sLi1EXadL_ZL18vec_dot_iq3_s_q8_1PKvPK10block_q8_1RKiEEEvS4_S4_PT_PS8_iiii.numbered_sgpr, 21
	.set _ZL9moe_vec_qIN3c108BFloat16ELi256ELi8E11block_iq3_sLi1EXadL_ZL18vec_dot_iq3_s_q8_1PKvPK10block_q8_1RKiEEEvS4_S4_PT_PS8_iiii.num_named_barrier, 0
	.set _ZL9moe_vec_qIN3c108BFloat16ELi256ELi8E11block_iq3_sLi1EXadL_ZL18vec_dot_iq3_s_q8_1PKvPK10block_q8_1RKiEEEvS4_S4_PT_PS8_iiii.private_seg_size, 0
	.set _ZL9moe_vec_qIN3c108BFloat16ELi256ELi8E11block_iq3_sLi1EXadL_ZL18vec_dot_iq3_s_q8_1PKvPK10block_q8_1RKiEEEvS4_S4_PT_PS8_iiii.uses_vcc, 1
	.set _ZL9moe_vec_qIN3c108BFloat16ELi256ELi8E11block_iq3_sLi1EXadL_ZL18vec_dot_iq3_s_q8_1PKvPK10block_q8_1RKiEEEvS4_S4_PT_PS8_iiii.uses_flat_scratch, 0
	.set _ZL9moe_vec_qIN3c108BFloat16ELi256ELi8E11block_iq3_sLi1EXadL_ZL18vec_dot_iq3_s_q8_1PKvPK10block_q8_1RKiEEEvS4_S4_PT_PS8_iiii.has_dyn_sized_stack, 0
	.set _ZL9moe_vec_qIN3c108BFloat16ELi256ELi8E11block_iq3_sLi1EXadL_ZL18vec_dot_iq3_s_q8_1PKvPK10block_q8_1RKiEEEvS4_S4_PT_PS8_iiii.has_recursion, 0
	.set _ZL9moe_vec_qIN3c108BFloat16ELi256ELi8E11block_iq3_sLi1EXadL_ZL18vec_dot_iq3_s_q8_1PKvPK10block_q8_1RKiEEEvS4_S4_PT_PS8_iiii.has_indirect_call, 0
	.section	.AMDGPU.csdata,"",@progbits
; Kernel info:
; codeLenInByte = 1496
; TotalNumSgprs: 25
; NumVgprs: 46
; ScratchSize: 0
; MemoryBound: 0
; FloatMode: 240
; IeeeMode: 1
; LDSByteSize: 0 bytes/workgroup (compile time only)
; SGPRBlocks: 3
; VGPRBlocks: 11
; NumSGPRsForWavesPerEU: 25
; NumVGPRsForWavesPerEU: 46
; Occupancy: 5
; WaveLimiterHint : 1
; COMPUTE_PGM_RSRC2:SCRATCH_EN: 0
; COMPUTE_PGM_RSRC2:USER_SGPR: 6
; COMPUTE_PGM_RSRC2:TRAP_HANDLER: 0
; COMPUTE_PGM_RSRC2:TGID_X_EN: 1
; COMPUTE_PGM_RSRC2:TGID_Y_EN: 0
; COMPUTE_PGM_RSRC2:TGID_Z_EN: 1
; COMPUTE_PGM_RSRC2:TIDIG_COMP_CNT: 1
	.section	.text._ZL9moe_vec_qIN3c108BFloat16ELi256ELi8E11block_iq2_sLi1EXadL_ZL18vec_dot_iq2_s_q8_1PKvPK10block_q8_1RKiEEEvS4_S4_PT_PS8_iiii,"axG",@progbits,_ZL9moe_vec_qIN3c108BFloat16ELi256ELi8E11block_iq2_sLi1EXadL_ZL18vec_dot_iq2_s_q8_1PKvPK10block_q8_1RKiEEEvS4_S4_PT_PS8_iiii,comdat
	.globl	_ZL9moe_vec_qIN3c108BFloat16ELi256ELi8E11block_iq2_sLi1EXadL_ZL18vec_dot_iq2_s_q8_1PKvPK10block_q8_1RKiEEEvS4_S4_PT_PS8_iiii ; -- Begin function _ZL9moe_vec_qIN3c108BFloat16ELi256ELi8E11block_iq2_sLi1EXadL_ZL18vec_dot_iq2_s_q8_1PKvPK10block_q8_1RKiEEEvS4_S4_PT_PS8_iiii
	.p2align	8
	.type	_ZL9moe_vec_qIN3c108BFloat16ELi256ELi8E11block_iq2_sLi1EXadL_ZL18vec_dot_iq2_s_q8_1PKvPK10block_q8_1RKiEEEvS4_S4_PT_PS8_iiii,@function
_ZL9moe_vec_qIN3c108BFloat16ELi256ELi8E11block_iq2_sLi1EXadL_ZL18vec_dot_iq2_s_q8_1PKvPK10block_q8_1RKiEEEvS4_S4_PT_PS8_iiii: ; @_ZL9moe_vec_qIN3c108BFloat16ELi256ELi8E11block_iq2_sLi1EXadL_ZL18vec_dot_iq2_s_q8_1PKvPK10block_q8_1RKiEEEvS4_S4_PT_PS8_iiii
; %bb.0:
	s_mov_b32 s8, s7
	s_load_dword s7, s[4:5], 0x3c
	s_load_dwordx4 s[0:3], s[4:5], 0x20
	s_waitcnt lgkmcnt(0)
	s_lshr_b32 s7, s7, 16
	s_mul_i32 s6, s6, s7
	v_add_u32_e32 v11, s6, v1
	v_cmp_gt_u32_e32 vcc, s2, v11
	s_and_saveexec_b64 s[6:7], vcc
	s_cbranch_execz .LBB291_7
; %bb.1:
	s_load_dwordx2 s[6:7], s[4:5], 0x10
	s_ashr_i32 s9, s1, 31
	s_lshr_b32 s9, s9, 24
	s_add_i32 s1, s1, s9
	s_ashr_i32 s12, s1, 8
	v_lshrrev_b32_e32 v12, 3, v0
	v_cmp_gt_u32_e32 vcc, s12, v12
	v_mov_b32_e32 v13, 0
	s_and_saveexec_b64 s[10:11], vcc
	s_cbranch_execz .LBB291_5
; %bb.2:
	s_load_dwordx2 s[14:15], s[4:5], 0x18
	v_cvt_f32_u32_e32 v1, s0
	s_mov_b32 s9, 0
	s_lshl_b64 s[16:17], s[8:9], 2
	v_and_b32_e32 v15, 7, v0
	s_waitcnt lgkmcnt(0)
	s_add_u32 s14, s14, s16
	v_rcp_iflag_f32_e32 v1, v1
	s_addc_u32 s15, s15, s17
	s_load_dword s1, s[14:15], 0x0
	s_load_dwordx4 s[16:19], s[4:5], 0x0
	s_mul_i32 s4, s12, s2
	v_mul_f32_e32 v1, 0x4f7ffffe, v1
	v_cvt_u32_f32_e32 v1, v1
	s_waitcnt lgkmcnt(0)
	s_mul_i32 s1, s4, s1
	s_mul_hi_i32 s4, s1, 0x52
	s_mulk_i32 s1, 0x52
	s_add_u32 s14, s16, s1
	s_addc_u32 s15, s17, s4
	s_sub_i32 s1, 0, s0
	v_readfirstlane_b32 s4, v1
	s_mul_i32 s1, s1, s4
	s_mul_hi_u32 s1, s4, s1
	s_add_i32 s4, s4, s1
	s_mul_hi_u32 s1, s8, s4
	s_mul_i32 s4, s1, s0
	s_sub_i32 s4, s8, s4
	s_add_i32 s5, s1, 1
	s_sub_i32 s16, s4, s0
	s_cmp_ge_u32 s4, s0
	s_cselect_b32 s1, s5, s1
	s_cselect_b32 s4, s16, s4
	s_add_i32 s5, s1, 1
	s_cmp_ge_u32 s4, s0
	s_cselect_b32 s0, s5, s1
	s_mul_i32 s0, s0, s3
	s_mov_b32 s1, s9
	s_lshl_b64 s[0:1], s[0:1], 2
	s_add_u32 s0, s18, s0
	s_addc_u32 s1, s19, s1
	v_mul_lo_u32 v14, v11, s12
	v_mad_u64_u32 v[1:2], s[0:1], v15, 36, s[0:1]
	v_mov_b32_e32 v3, s14
	s_movk_i32 s13, 0x52
	v_mov_b32_e32 v13, 0
	v_lshlrev_b32_e32 v16, 2, v15
	v_lshlrev_b32_e32 v17, 3, v12
	s_mov_b64 s[4:5], 0
	v_mov_b32_e32 v4, s15
	s_movk_i32 s3, 0x300
	s_mov_b32 s9, 0x1010101
	s_mov_b32 s14, 0x1000000
	v_mov_b32_e32 v18, 0xff0000
	v_mov_b32_e32 v19, 0xff00
	;; [unrolled: 1-line block ×3, first 2 shown]
	s_mov_b32 s15, 0xc060c00
	v_mov_b32_e32 v21, 4
.LBB291_3:                              ; =>This Inner Loop Header: Depth=1
	v_add_u32_e32 v7, v14, v12
	v_mad_i64_i32 v[7:8], s[16:17], v7, s13, v[3:4]
	s_getpc_b64 s[0:1]
	s_add_u32 s0, s0, _ZL9iq2s_grid@rel32@lo+4
	s_addc_u32 s1, s1, _ZL9iq2s_grid@rel32@hi+12
	v_mad_i64_i32 v[5:6], s[16:17], v17, 36, v[1:2]
	v_add_co_u32_e32 v9, vcc, v7, v16
	v_addc_co_u32_e32 v10, vcc, 0, v8, vcc
	v_add_co_u32_e32 v24, vcc, v7, v15
	v_addc_co_u32_e32 v25, vcc, 0, v8, vcc
	global_load_ushort v23, v[7:8], off
	global_load_dword v26, v[9:10], off offset:2
	global_load_ubyte v27, v[24:25], off offset:66
	global_load_ubyte v22, v[24:25], off offset:74
	global_load_dword v28, v[9:10], off offset:34
	v_add_u32_e32 v12, 8, v12
	v_add_u32_e32 v17, 64, v17
	s_waitcnt vmcnt(4)
	v_cvt_f32_f16_e32 v23, v23
	s_waitcnt vmcnt(3)
	v_and_b32_e32 v7, 0xff, v26
	s_waitcnt vmcnt(2)
	v_lshlrev_b32_e32 v8, 8, v27
	v_bfe_u32 v9, v26, 8, 8
	v_lshlrev_b32_e32 v10, 6, v27
	s_waitcnt vmcnt(0)
	v_lshrrev_b16_e32 v25, 4, v28
	v_lshrrev_b32_e32 v30, 8, v28
	v_bfe_u32 v29, v28, 8, 4
	v_bfe_u32 v31, v26, 16, 8
	v_lshlrev_b32_e32 v32, 4, v27
	v_lshrrev_b32_e32 v26, 24, v26
	v_lshlrev_b32_e32 v27, 2, v27
	v_and_or_b32 v7, v8, s3, v7
	v_and_or_b32 v8, v10, s3, v9
	v_and_b32_e32 v9, 15, v25
	v_lshrrev_b16_e32 v10, 4, v30
	v_bfe_u32 v33, v28, 16, 4
	v_bfe_u32 v35, v28, 24, 4
	v_mul_lo_u32 v25, v29, s9
	v_and_or_b32 v29, v32, s3, v31
	v_and_or_b32 v26, v27, s3, v26
	v_and_b32_e32 v9, 0xffff, v9
	v_lshlrev_b32_e32 v7, 3, v7
	v_lshlrev_b32_e32 v8, 3, v8
	v_and_b32_e32 v10, 15, v10
	v_mul_lo_u32 v36, v33, s9
	v_mul_lo_u32 v27, v35, s9
	v_lshlrev_b32_e32 v29, 3, v29
	v_lshlrev_b32_e32 v26, 3, v26
	v_mul_lo_u32 v35, v9, s9
	v_and_b32_e32 v37, 0xffff, v10
	global_load_dwordx2 v[30:31], v7, s[0:1]
	global_load_dwordx2 v[32:33], v8, s[0:1]
	;; [unrolled: 1-line block ×3, first 2 shown]
	s_nop 0
	global_load_dwordx2 v[7:8], v26, s[0:1]
	v_and_b32_e32 v24, 15, v28
	v_bfe_u32 v34, v28, 20, 4
	v_mul_lo_u32 v24, v24, s9
	v_mul_lo_u32 v34, v34, s9
	v_not_b32_e32 v26, v36
	v_not_b32_e32 v25, v25
	;; [unrolled: 1-line block ×4, first 2 shown]
	v_and_b32_e32 v34, 0x8040201, v24
	v_and_b32_e32 v36, 0x40000, v24
	v_cmp_gt_u32_e32 vcc, s14, v34
	v_and_b32_e32 v38, 0x200, v24
	v_cndmask_b32_e64 v34, 0, -1, vcc
	v_cmp_eq_u32_e32 vcc, 0, v36
	v_and_b32_e32 v24, 1, v24
	v_cndmask_b32_e32 v36, 0, v18, vcc
	v_cmp_eq_u32_e32 vcc, 0, v38
	v_and_b32_e32 v39, 0x8040201, v25
	v_cndmask_b32_e32 v38, 0, v19, vcc
	;; [unrolled: 3-line block ×3, first 2 shown]
	v_cmp_gt_u32_e32 vcc, s14, v39
	v_and_b32_e32 v41, 0x200, v25
	v_cndmask_b32_e64 v39, 0, -1, vcc
	v_cmp_eq_u32_e32 vcc, 0, v40
	v_and_b32_e32 v42, 1, v25
	v_cndmask_b32_e32 v24, 0, v18, vcc
	v_cmp_eq_u32_e32 vcc, 0, v41
	v_and_b32_e32 v49, 0x8040201, v26
	v_cndmask_b32_e32 v25, 0, v19, vcc
	v_cmp_eq_u32_e32 vcc, 0, v42
	v_and_b32_e32 v43, 0x40000, v26
	v_and_b32_e32 v44, 0x200, v26
	;; [unrolled: 1-line block ×4, first 2 shown]
	v_cndmask_b32_e32 v26, 0, v20, vcc
	v_cmp_gt_u32_e32 vcc, s14, v49
	v_cndmask_b32_e64 v40, 0, -1, vcc
	v_cmp_gt_u32_e32 vcc, s14, v46
	v_lshrrev_b16_sdwa v28, v21, v28 dst_sel:DWORD dst_unused:UNUSED_PAD src0_sel:DWORD src1_sel:BYTE_3
	v_cndmask_b32_e64 v41, 0, -1, vcc
	v_cmp_eq_u32_e32 vcc, 0, v43
	v_mul_lo_u32 v28, v28, s9
	v_cndmask_b32_e32 v42, 0, v18, vcc
	v_cmp_eq_u32_e32 vcc, 0, v44
	v_and_b32_e32 v47, 0x40000, v29
	v_cndmask_b32_e32 v43, 0, v19, vcc
	v_cmp_eq_u32_e32 vcc, 0, v45
	v_and_b32_e32 v48, 0x200, v29
	v_cndmask_b32_e32 v44, 0, v20, vcc
	v_cmp_eq_u32_e32 vcc, 0, v47
	v_not_b32_e32 v27, v27
	v_and_b32_e32 v29, 1, v29
	v_cndmask_b32_e32 v45, 0, v18, vcc
	v_cmp_eq_u32_e32 vcc, 0, v48
	v_not_b32_e32 v28, v28
	v_and_b32_e32 v50, 0x40000, v27
	v_and_b32_e32 v51, 0x200, v27
	;; [unrolled: 1-line block ×4, first 2 shown]
	v_cndmask_b32_e32 v46, 0, v19, vcc
	v_cmp_eq_u32_e32 vcc, 0, v29
	v_and_b32_e32 v53, 0x40000, v28
	v_and_b32_e32 v54, 0x200, v28
	;; [unrolled: 1-line block ×4, first 2 shown]
	v_cndmask_b32_e32 v47, 0, v20, vcc
	v_cmp_gt_u32_e32 vcc, s14, v27
	v_cndmask_b32_e64 v48, 0, -1, vcc
	v_cmp_gt_u32_e32 vcc, s14, v28
	v_cndmask_b32_e64 v49, 0, -1, vcc
	v_cmp_eq_u32_e32 vcc, 0, v50
	v_cndmask_b32_e32 v50, 0, v18, vcc
	v_cmp_eq_u32_e32 vcc, 0, v51
	v_cndmask_b32_e32 v51, 0, v19, vcc
	;; [unrolled: 2-line block ×3, first 2 shown]
	v_cmp_eq_u32_e32 vcc, 0, v53
	v_mul_lo_u32 v37, v37, s9
	v_not_b32_e32 v35, v35
	v_cndmask_b32_e32 v27, 0, v18, vcc
	v_cmp_eq_u32_e32 vcc, 0, v54
	v_cndmask_b32_e32 v28, 0, v19, vcc
	v_cmp_eq_u32_e32 vcc, 0, v55
	v_and_b32_e32 v53, 0x8040201, v35
	v_cndmask_b32_e32 v29, 0, v20, vcc
	v_and_b32_e32 v54, 0x40000, v35
	v_cmp_gt_u32_e32 vcc, s14, v53
	v_and_b32_e32 v55, 0x200, v35
	v_cndmask_b32_e64 v53, 0, -1, vcc
	v_cmp_eq_u32_e32 vcc, 0, v54
	v_and_b32_e32 v35, 1, v35
	v_not_b32_e32 v37, v37
	v_cndmask_b32_e32 v54, 0, v18, vcc
	v_cmp_eq_u32_e32 vcc, 0, v55
	v_cndmask_b32_e32 v55, 0, v19, vcc
	v_cmp_eq_u32_e32 vcc, 0, v35
	v_and_b32_e32 v59, 0x8040201, v37
	v_cndmask_b32_e32 v35, 0, v20, vcc
	v_and_b32_e32 v60, 0x40000, v37
	v_and_b32_e32 v61, 0x200, v37
	;; [unrolled: 1-line block ×3, first 2 shown]
	v_cmp_gt_u32_e64 s[0:1], s14, v59
	v_lshlrev_b32_e32 v53, 24, v53
	v_cmp_eq_u32_e32 vcc, 0, v37
	v_or_b32_e32 v37, v55, v35
	v_cndmask_b32_e64 v59, 0, -1, s[0:1]
	v_cmp_eq_u32_e64 s[0:1], 0, v60
	v_lshlrev_b32_e32 v34, 24, v34
	v_or_b32_e32 v57, v38, v56
	v_cndmask_b32_e64 v60, 0, v18, s[0:1]
	v_cmp_eq_u32_e64 s[0:1], 0, v61
	v_or3_b32 v37, v37, v54, v53
	v_lshlrev_b32_e32 v39, 24, v39
	v_or_b32_e32 v58, v25, v26
	v_or3_b32 v57, v57, v36, v34
	v_cndmask_b32_e64 v61, 0, v19, s[0:1]
	s_waitcnt vmcnt(3)
	v_xor_b32_e32 v31, v37, v31
	v_cndmask_b32_e32 v37, 0, v20, vcc
	v_or3_b32 v58, v58, v24, v39
	v_xor_b32_e32 v30, v57, v30
	v_lshlrev_b32_e32 v57, 24, v59
	v_or_b32_e32 v59, v61, v37
	v_lshlrev_b32_e32 v40, 24, v40
	v_or3_b32 v59, v59, v60, v57
	s_waitcnt vmcnt(2)
	v_xor_b32_e32 v58, v58, v32
	v_or_b32_e32 v32, v43, v44
	v_lshlrev_b32_e32 v41, 24, v41
	v_xor_b32_e32 v59, v59, v33
	v_or_b32_e32 v33, v46, v47
	v_or3_b32 v32, v32, v42, v40
	v_lshlrev_b32_e32 v48, 24, v48
	v_or3_b32 v33, v33, v45, v41
	s_waitcnt vmcnt(1)
	v_xor_b32_e32 v9, v32, v9
	v_or_b32_e32 v32, v51, v52
	v_lshlrev_b32_e32 v49, 24, v49
	v_xor_b32_e32 v10, v33, v10
	v_or_b32_e32 v33, v28, v29
	v_or3_b32 v32, v32, v50, v48
	v_or3_b32 v33, v33, v27, v49
	s_waitcnt vmcnt(0)
	v_xor_b32_e32 v32, v32, v7
	v_xor_b32_e32 v62, v33, v8
	v_sub_u32_e32 v40, v9, v40
	v_sub_u32_e32 v42, v9, v42
	;; [unrolled: 1-line block ×8, first 2 shown]
	global_load_dwordx4 v[7:10], v[5:6], off offset:16
	v_sub_u32_e32 v48, v32, v48
	v_sub_u32_e32 v50, v32, v50
	;; [unrolled: 1-line block ×12, first 2 shown]
	global_load_dwordx4 v[30:33], v[5:6], off
	global_load_dword v63, v[5:6], off offset:32
	v_sub_u32_e32 v6, v58, v24
	v_sub_u32_e32 v24, v58, v25
	;; [unrolled: 1-line block ×3, first 2 shown]
	v_perm_b32 v42, v42, v44, s15
	v_and_b32_e32 v40, 0xff000000, v40
	v_and_b32_e32 v43, 0xff00, v43
	v_perm_b32 v36, v36, v56, s15
	v_perm_b32 v6, v6, v25, s15
	v_and_b32_e32 v25, 0xff000000, v34
	v_and_b32_e32 v34, 0xff00, v38
	v_sub_u32_e32 v5, v58, v39
	v_perm_b32 v44, v45, v47, s15
	v_and_b32_e32 v41, 0xff000000, v41
	v_and_b32_e32 v45, 0xff00, v46
	v_perm_b32 v46, v50, v52, s15
	v_perm_b32 v35, v54, v35, s15
	v_and_b32_e32 v38, 0xff000000, v53
	v_and_b32_e32 v50, 0xff00, v55
	v_or3_b32 v40, v42, v40, v43
	v_or3_b32 v25, v36, v25, v34
	v_sub_u32_e32 v39, v59, v60
	v_sub_u32_e32 v37, v59, v37
	v_sub_u32_e32 v49, v62, v49
	v_sub_u32_e32 v27, v62, v27
	v_sub_u32_e32 v28, v62, v28
	v_sub_u32_e32 v29, v62, v29
	v_and_b32_e32 v47, 0xff000000, v48
	v_and_b32_e32 v48, 0xff00, v51
	v_and_b32_e32 v5, 0xff000000, v5
	v_and_b32_e32 v24, 0xff00, v24
	v_or3_b32 v41, v44, v41, v45
	v_or3_b32 v34, v35, v38, v50
	v_perm_b32 v37, v39, v37, s15
	v_perm_b32 v27, v27, v29, s15
	v_and_b32_e32 v29, 0xff000000, v49
	v_and_b32_e32 v28, 0xff00, v28
	v_or3_b32 v42, v46, v47, v48
	v_or3_b32 v5, v6, v5, v24
	;; [unrolled: 1-line block ×3, first 2 shown]
	v_lshrrev_b16_e32 v58, 4, v22
	v_and_b32_e32 v22, 15, v22
	v_cvt_f32_ubyte0_e32 v58, v58
	v_cvt_f32_ubyte0_e32 v22, v22
	v_add_f32_e32 v58, 0.5, v58
	v_add_f32_e32 v22, 0.5, v22
	v_cmp_le_u32_e32 vcc, s12, v12
	s_or_b64 s[4:5], vcc, s[4:5]
	s_waitcnt vmcnt(2)
	v_dot4_i32_i8 v8, v40, v8, 0
	v_dot4_i32_i8 v8, v41, v9, v8
	;; [unrolled: 1-line block ×3, first 2 shown]
	s_waitcnt vmcnt(1)
	v_cvt_f32_f16_e32 v26, v30
	v_sub_u32_e32 v30, v59, v57
	v_sub_u32_e32 v57, v59, v61
	v_dot4_i32_i8 v25, v25, v31, 0
	v_and_b32_e32 v30, 0xff000000, v30
	v_and_b32_e32 v39, 0xff00, v57
	v_dot4_i32_i8 v9, v34, v32, v25
	v_or3_b32 v6, v37, v30, v39
	v_dot4_i32_i8 v5, v5, v33, v9
	v_dot4_i32_i8 v5, v6, v7, v5
	s_waitcnt vmcnt(0)
	v_dot4_i32_i8 v6, v24, v63, v8
	v_cvt_f32_i32_e32 v6, v6
	v_cvt_f32_i32_e32 v5, v5
	v_mul_f32_e32 v7, v23, v26
	v_mul_f32_e32 v7, 0x3e800000, v7
	;; [unrolled: 1-line block ×3, first 2 shown]
	v_fmac_f32_e32 v6, v22, v5
	v_fmac_f32_e32 v13, v7, v6
	s_andn2_b64 exec, exec, s[4:5]
	s_cbranch_execnz .LBB291_3
; %bb.4:
	s_or_b64 exec, exec, s[4:5]
.LBB291_5:
	s_or_b64 exec, exec, s[10:11]
	v_mbcnt_lo_u32_b32 v1, -1, 0
	v_mbcnt_hi_u32_b32 v2, -1, v1
	v_and_b32_e32 v1, 64, v2
	v_add_u32_e32 v3, 64, v1
	v_xor_b32_e32 v1, 32, v2
	v_cmp_lt_i32_e32 vcc, v1, v3
	v_cndmask_b32_e32 v1, v2, v1, vcc
	v_lshlrev_b32_e32 v1, 2, v1
	ds_bpermute_b32 v1, v1, v13
	v_xor_b32_e32 v4, 16, v2
	v_cmp_lt_i32_e32 vcc, v4, v3
	v_cndmask_b32_e32 v4, v2, v4, vcc
	v_lshlrev_b32_e32 v4, 2, v4
	s_waitcnt lgkmcnt(0)
	v_add_f32_e32 v1, v13, v1
	ds_bpermute_b32 v4, v4, v1
	v_xor_b32_e32 v5, 8, v2
	v_cmp_lt_i32_e32 vcc, v5, v3
	s_waitcnt lgkmcnt(0)
	v_add_f32_e32 v1, v1, v4
	v_cndmask_b32_e32 v4, v2, v5, vcc
	v_lshlrev_b32_e32 v4, 2, v4
	ds_bpermute_b32 v4, v4, v1
	v_xor_b32_e32 v5, 4, v2
	v_cmp_lt_i32_e32 vcc, v5, v3
	s_waitcnt lgkmcnt(0)
	v_add_f32_e32 v1, v1, v4
	v_cndmask_b32_e32 v4, v2, v5, vcc
	v_lshlrev_b32_e32 v4, 2, v4
	;; [unrolled: 7-line block ×3, first 2 shown]
	ds_bpermute_b32 v4, v4, v1
	v_xor_b32_e32 v5, 1, v2
	v_cmp_lt_i32_e32 vcc, v5, v3
	v_cndmask_b32_e32 v2, v2, v5, vcc
	v_lshlrev_b32_e32 v2, 2, v2
	s_waitcnt lgkmcnt(0)
	v_add_f32_e32 v1, v1, v4
	ds_bpermute_b32 v2, v2, v1
	v_cmp_eq_u32_e32 vcc, 0, v0
	s_and_b64 exec, exec, vcc
	s_cbranch_execz .LBB291_7
; %bb.6:
	s_waitcnt lgkmcnt(0)
	v_add_f32_e32 v0, v1, v2
	v_bfe_u32 v1, v0, 16, 1
	s_movk_i32 s0, 0x7fff
	v_add3_u32 v1, v0, v1, s0
	v_cmp_o_f32_e32 vcc, v0, v0
	v_mov_b32_e32 v0, 0x7fc0
	s_mul_i32 s0, s2, s8
	v_cndmask_b32_sdwa v2, v0, v1, vcc dst_sel:DWORD dst_unused:UNUSED_PAD src0_sel:DWORD src1_sel:WORD_1
	v_add_u32_e32 v0, s0, v11
	v_mov_b32_e32 v1, 0
	v_lshlrev_b64 v[0:1], 1, v[0:1]
	v_mov_b32_e32 v3, s7
	v_add_co_u32_e32 v0, vcc, s6, v0
	v_addc_co_u32_e32 v1, vcc, v3, v1, vcc
	global_store_short v[0:1], v2, off
.LBB291_7:
	s_endpgm
	.section	.rodata,"a",@progbits
	.p2align	6, 0x0
	.amdhsa_kernel _ZL9moe_vec_qIN3c108BFloat16ELi256ELi8E11block_iq2_sLi1EXadL_ZL18vec_dot_iq2_s_q8_1PKvPK10block_q8_1RKiEEEvS4_S4_PT_PS8_iiii
		.amdhsa_group_segment_fixed_size 0
		.amdhsa_private_segment_fixed_size 0
		.amdhsa_kernarg_size 304
		.amdhsa_user_sgpr_count 6
		.amdhsa_user_sgpr_private_segment_buffer 1
		.amdhsa_user_sgpr_dispatch_ptr 0
		.amdhsa_user_sgpr_queue_ptr 0
		.amdhsa_user_sgpr_kernarg_segment_ptr 1
		.amdhsa_user_sgpr_dispatch_id 0
		.amdhsa_user_sgpr_flat_scratch_init 0
		.amdhsa_user_sgpr_private_segment_size 0
		.amdhsa_uses_dynamic_stack 0
		.amdhsa_system_sgpr_private_segment_wavefront_offset 0
		.amdhsa_system_sgpr_workgroup_id_x 1
		.amdhsa_system_sgpr_workgroup_id_y 0
		.amdhsa_system_sgpr_workgroup_id_z 1
		.amdhsa_system_sgpr_workgroup_info 0
		.amdhsa_system_vgpr_workitem_id 1
		.amdhsa_next_free_vgpr 64
		.amdhsa_next_free_sgpr 20
		.amdhsa_reserve_vcc 1
		.amdhsa_reserve_flat_scratch 0
		.amdhsa_float_round_mode_32 0
		.amdhsa_float_round_mode_16_64 0
		.amdhsa_float_denorm_mode_32 3
		.amdhsa_float_denorm_mode_16_64 3
		.amdhsa_dx10_clamp 1
		.amdhsa_ieee_mode 1
		.amdhsa_fp16_overflow 0
		.amdhsa_exception_fp_ieee_invalid_op 0
		.amdhsa_exception_fp_denorm_src 0
		.amdhsa_exception_fp_ieee_div_zero 0
		.amdhsa_exception_fp_ieee_overflow 0
		.amdhsa_exception_fp_ieee_underflow 0
		.amdhsa_exception_fp_ieee_inexact 0
		.amdhsa_exception_int_div_zero 0
	.end_amdhsa_kernel
	.section	.text._ZL9moe_vec_qIN3c108BFloat16ELi256ELi8E11block_iq2_sLi1EXadL_ZL18vec_dot_iq2_s_q8_1PKvPK10block_q8_1RKiEEEvS4_S4_PT_PS8_iiii,"axG",@progbits,_ZL9moe_vec_qIN3c108BFloat16ELi256ELi8E11block_iq2_sLi1EXadL_ZL18vec_dot_iq2_s_q8_1PKvPK10block_q8_1RKiEEEvS4_S4_PT_PS8_iiii,comdat
.Lfunc_end291:
	.size	_ZL9moe_vec_qIN3c108BFloat16ELi256ELi8E11block_iq2_sLi1EXadL_ZL18vec_dot_iq2_s_q8_1PKvPK10block_q8_1RKiEEEvS4_S4_PT_PS8_iiii, .Lfunc_end291-_ZL9moe_vec_qIN3c108BFloat16ELi256ELi8E11block_iq2_sLi1EXadL_ZL18vec_dot_iq2_s_q8_1PKvPK10block_q8_1RKiEEEvS4_S4_PT_PS8_iiii
                                        ; -- End function
	.set _ZL9moe_vec_qIN3c108BFloat16ELi256ELi8E11block_iq2_sLi1EXadL_ZL18vec_dot_iq2_s_q8_1PKvPK10block_q8_1RKiEEEvS4_S4_PT_PS8_iiii.num_vgpr, 64
	.set _ZL9moe_vec_qIN3c108BFloat16ELi256ELi8E11block_iq2_sLi1EXadL_ZL18vec_dot_iq2_s_q8_1PKvPK10block_q8_1RKiEEEvS4_S4_PT_PS8_iiii.num_agpr, 0
	.set _ZL9moe_vec_qIN3c108BFloat16ELi256ELi8E11block_iq2_sLi1EXadL_ZL18vec_dot_iq2_s_q8_1PKvPK10block_q8_1RKiEEEvS4_S4_PT_PS8_iiii.numbered_sgpr, 20
	.set _ZL9moe_vec_qIN3c108BFloat16ELi256ELi8E11block_iq2_sLi1EXadL_ZL18vec_dot_iq2_s_q8_1PKvPK10block_q8_1RKiEEEvS4_S4_PT_PS8_iiii.num_named_barrier, 0
	.set _ZL9moe_vec_qIN3c108BFloat16ELi256ELi8E11block_iq2_sLi1EXadL_ZL18vec_dot_iq2_s_q8_1PKvPK10block_q8_1RKiEEEvS4_S4_PT_PS8_iiii.private_seg_size, 0
	.set _ZL9moe_vec_qIN3c108BFloat16ELi256ELi8E11block_iq2_sLi1EXadL_ZL18vec_dot_iq2_s_q8_1PKvPK10block_q8_1RKiEEEvS4_S4_PT_PS8_iiii.uses_vcc, 1
	.set _ZL9moe_vec_qIN3c108BFloat16ELi256ELi8E11block_iq2_sLi1EXadL_ZL18vec_dot_iq2_s_q8_1PKvPK10block_q8_1RKiEEEvS4_S4_PT_PS8_iiii.uses_flat_scratch, 0
	.set _ZL9moe_vec_qIN3c108BFloat16ELi256ELi8E11block_iq2_sLi1EXadL_ZL18vec_dot_iq2_s_q8_1PKvPK10block_q8_1RKiEEEvS4_S4_PT_PS8_iiii.has_dyn_sized_stack, 0
	.set _ZL9moe_vec_qIN3c108BFloat16ELi256ELi8E11block_iq2_sLi1EXadL_ZL18vec_dot_iq2_s_q8_1PKvPK10block_q8_1RKiEEEvS4_S4_PT_PS8_iiii.has_recursion, 0
	.set _ZL9moe_vec_qIN3c108BFloat16ELi256ELi8E11block_iq2_sLi1EXadL_ZL18vec_dot_iq2_s_q8_1PKvPK10block_q8_1RKiEEEvS4_S4_PT_PS8_iiii.has_indirect_call, 0
	.section	.AMDGPU.csdata,"",@progbits
; Kernel info:
; codeLenInByte = 2392
; TotalNumSgprs: 24
; NumVgprs: 64
; ScratchSize: 0
; MemoryBound: 0
; FloatMode: 240
; IeeeMode: 1
; LDSByteSize: 0 bytes/workgroup (compile time only)
; SGPRBlocks: 2
; VGPRBlocks: 15
; NumSGPRsForWavesPerEU: 24
; NumVGPRsForWavesPerEU: 64
; Occupancy: 4
; WaveLimiterHint : 1
; COMPUTE_PGM_RSRC2:SCRATCH_EN: 0
; COMPUTE_PGM_RSRC2:USER_SGPR: 6
; COMPUTE_PGM_RSRC2:TRAP_HANDLER: 0
; COMPUTE_PGM_RSRC2:TGID_X_EN: 1
; COMPUTE_PGM_RSRC2:TGID_Y_EN: 0
; COMPUTE_PGM_RSRC2:TGID_Z_EN: 1
; COMPUTE_PGM_RSRC2:TIDIG_COMP_CNT: 1
	.section	.text._ZL9moe_vec_qIN3c108BFloat16ELi256ELi8E12block_iq4_xsLi1EXadL_ZL19vec_dot_iq4_xs_q8_1PKvPK10block_q8_1RKiEEEvS4_S4_PT_PS8_iiii,"axG",@progbits,_ZL9moe_vec_qIN3c108BFloat16ELi256ELi8E12block_iq4_xsLi1EXadL_ZL19vec_dot_iq4_xs_q8_1PKvPK10block_q8_1RKiEEEvS4_S4_PT_PS8_iiii,comdat
	.globl	_ZL9moe_vec_qIN3c108BFloat16ELi256ELi8E12block_iq4_xsLi1EXadL_ZL19vec_dot_iq4_xs_q8_1PKvPK10block_q8_1RKiEEEvS4_S4_PT_PS8_iiii ; -- Begin function _ZL9moe_vec_qIN3c108BFloat16ELi256ELi8E12block_iq4_xsLi1EXadL_ZL19vec_dot_iq4_xs_q8_1PKvPK10block_q8_1RKiEEEvS4_S4_PT_PS8_iiii
	.p2align	8
	.type	_ZL9moe_vec_qIN3c108BFloat16ELi256ELi8E12block_iq4_xsLi1EXadL_ZL19vec_dot_iq4_xs_q8_1PKvPK10block_q8_1RKiEEEvS4_S4_PT_PS8_iiii,@function
_ZL9moe_vec_qIN3c108BFloat16ELi256ELi8E12block_iq4_xsLi1EXadL_ZL19vec_dot_iq4_xs_q8_1PKvPK10block_q8_1RKiEEEvS4_S4_PT_PS8_iiii: ; @_ZL9moe_vec_qIN3c108BFloat16ELi256ELi8E12block_iq4_xsLi1EXadL_ZL19vec_dot_iq4_xs_q8_1PKvPK10block_q8_1RKiEEEvS4_S4_PT_PS8_iiii
; %bb.0:
	s_mov_b32 s8, s7
	s_load_dword s7, s[4:5], 0x3c
	s_load_dwordx4 s[0:3], s[4:5], 0x20
	s_waitcnt lgkmcnt(0)
	s_lshr_b32 s7, s7, 16
	s_mul_i32 s6, s6, s7
	v_add_u32_e32 v9, s6, v1
	v_cmp_gt_u32_e32 vcc, s2, v9
	s_and_saveexec_b64 s[6:7], vcc
	s_cbranch_execz .LBB292_7
; %bb.1:
	s_load_dwordx2 s[6:7], s[4:5], 0x10
	s_ashr_i32 s9, s1, 31
	s_lshr_b32 s9, s9, 24
	s_add_i32 s1, s1, s9
	s_ashr_i32 s12, s1, 8
	v_lshrrev_b32_e32 v10, 3, v0
	v_cmp_gt_u32_e32 vcc, s12, v10
	v_mov_b32_e32 v11, 0
	s_and_saveexec_b64 s[10:11], vcc
	s_cbranch_execz .LBB292_5
; %bb.2:
	s_load_dwordx2 s[14:15], s[4:5], 0x18
	s_load_dwordx4 s[16:19], s[4:5], 0x0
	v_cvt_f32_u32_e32 v1, s0
	s_mov_b32 s9, 0
	s_lshl_b64 s[4:5], s[8:9], 2
	s_waitcnt lgkmcnt(0)
	s_add_u32 s4, s14, s4
	s_addc_u32 s5, s15, s5
	v_rcp_iflag_f32_e32 v1, v1
	s_load_dword s1, s[4:5], 0x0
	s_mul_i32 s5, s12, s2
	v_and_b32_e32 v3, 7, v0
	v_mul_f32_e32 v1, 0x4f7ffffe, v1
	v_cvt_u32_f32_e32 v1, v1
	s_waitcnt lgkmcnt(0)
	s_mul_i32 s1, s5, s1
	s_mul_hi_i32 s5, s1, 0x88
	s_mulk_i32 s1, 0x88
	s_add_u32 s14, s16, s1
	s_addc_u32 s15, s17, s5
	s_sub_i32 s1, 0, s0
	v_readfirstlane_b32 s5, v1
	s_mul_i32 s1, s1, s5
	s_mul_hi_u32 s1, s5, s1
	s_add_i32 s5, s5, s1
	s_mul_hi_u32 s1, s8, s5
	s_mul_i32 s5, s1, s0
	s_sub_i32 s5, s8, s5
	s_add_i32 s13, s1, 1
	s_sub_i32 s16, s5, s0
	s_cmp_ge_u32 s5, s0
	s_cselect_b32 s1, s13, s1
	s_cselect_b32 s5, s16, s5
	s_add_i32 s13, s1, 1
	s_cmp_ge_u32 s5, s0
	s_cselect_b32 s0, s13, s1
	s_mul_i32 s0, s0, s3
	s_mov_b32 s1, s9
	s_lshl_b64 s[0:1], s[0:1], 2
	s_add_u32 s0, s18, s0
	s_addc_u32 s1, s19, s1
	v_mad_u64_u32 v[1:2], s[0:1], v3, 36, s[0:1]
	v_lshlrev_b32_e32 v4, 2, v0
	v_lshlrev_b32_e32 v5, 2, v3
	v_and_b32_e32 v12, 4, v4
	v_lshlrev_b32_e32 v13, 1, v3
	v_mov_b32_e32 v3, s14
	s_movk_i32 s4, 0x88
	v_mov_b32_e32 v11, 0
	v_lshlrev_b32_e32 v14, 3, v10
	s_mov_b64 s[0:1], 0
	v_mov_b32_e32 v4, s15
	v_lshlrev_b32_e32 v15, 2, v5
.LBB292_3:                              ; =>This Inner Loop Header: Depth=1
	v_mul_lo_u32 v5, v9, s12
	v_bfe_u32 v16, v0, 1, 2
	v_add_u32_e32 v5, v5, v10
	v_mad_i64_i32 v[5:6], s[14:15], v5, s4, v[3:4]
	s_getpc_b64 s[14:15]
	s_add_u32 s14, s14, _ZL13kvalues_iq4nl@rel32@lo+4
	s_addc_u32 s15, s15, _ZL13kvalues_iq4nl@rel32@hi+12
	v_add_u32_e32 v10, 8, v10
	v_add_co_u32_e32 v7, vcc, v5, v15
	v_addc_co_u32_e32 v8, vcc, 0, v6, vcc
	v_add_co_u32_e32 v20, vcc, v5, v16
	v_addc_co_u32_e32 v21, vcc, 0, v6, vcc
	global_load_dwordx4 v[16:19], v[7:8], off offset:8
	global_load_ubyte v22, v[20:21], off offset:4
	global_load_dword v47, v[5:6], off
	v_cmp_le_u32_e32 vcc, s12, v10
	s_or_b64 s[0:1], vcc, s[0:1]
	s_waitcnt vmcnt(2)
	v_and_b32_e32 v7, 15, v16
	v_bfe_u32 v8, v16, 8, 4
	s_waitcnt vmcnt(0)
	v_lshrrev_b32_sdwa v6, v13, v47 dst_sel:DWORD dst_unused:UNUSED_PAD src0_sel:DWORD src1_sel:WORD_1
	v_bfe_u32 v20, v16, 16, 4
	v_bfe_u32 v21, v16, 12, 4
	;; [unrolled: 1-line block ×3, first 2 shown]
	v_lshrrev_b32_e32 v24, 28, v16
	v_bfe_u32 v5, v22, v12, 4
	v_lshlrev_b32_e32 v6, 4, v6
	v_bfe_u32 v25, v16, 24, 4
	v_bfe_u32 v16, v16, 4, 4
	v_and_or_b32 v22, v6, 48, v5
	global_load_ubyte v5, v7, s[14:15]
	global_load_ubyte v6, v8, s[14:15]
	s_nop 0
	global_load_ubyte v7, v16, s[14:15]
	global_load_ubyte v8, v21, s[14:15]
	s_nop 0
	global_load_ubyte v20, v20, s[14:15]
	s_nop 0
	;; [unrolled: 2-line block ×4, first 2 shown]
	global_load_ubyte v24, v25, s[14:15]
	v_and_b32_e32 v26, 15, v17
	v_bfe_u32 v27, v17, 8, 4
	v_bfe_u32 v28, v17, 16, 4
	v_bfe_u32 v29, v17, 12, 4
	v_bfe_u32 v30, v17, 20, 4
	v_lshrrev_b32_e32 v31, 28, v17
	v_bfe_u32 v32, v17, 24, 4
	v_bfe_u32 v17, v17, 4, 4
	v_and_b32_e32 v33, 15, v18
	v_bfe_u32 v34, v18, 8, 4
	v_bfe_u32 v35, v18, 16, 4
	v_bfe_u32 v36, v18, 12, 4
	v_bfe_u32 v37, v18, 20, 4
	v_lshrrev_b32_e32 v38, 28, v18
	v_bfe_u32 v39, v18, 24, 4
	v_bfe_u32 v18, v18, 4, 4
	;; [unrolled: 8-line block ×3, first 2 shown]
	v_subrev_u32_e32 v22, 32, v22
	v_cvt_f32_i32_e32 v22, v22
	s_waitcnt vmcnt(6)
	v_lshl_or_b32 v5, v6, 8, v5
	s_waitcnt vmcnt(4)
	v_lshl_or_b32 v25, v8, 8, v7
	global_load_ubyte v6, v26, s[14:15]
	global_load_ubyte v7, v27, s[14:15]
	;; [unrolled: 1-line block ×4, first 2 shown]
	s_nop 0
	global_load_ubyte v26, v28, s[14:15]
	global_load_ubyte v27, v30, s[14:15]
	s_nop 0
	global_load_ubyte v28, v31, s[14:15]
	global_load_ubyte v29, v32, s[14:15]
	s_waitcnt vmcnt(11)
	v_lshlrev_b32_e32 v20, 16, v20
	s_waitcnt vmcnt(8)
	v_lshlrev_b32_e32 v24, 24, v24
	v_or3_b32 v20, v5, v20, v24
	s_waitcnt vmcnt(6)
	v_lshl_or_b32 v30, v7, 8, v6
	s_waitcnt vmcnt(4)
	v_lshl_or_b32 v31, v8, 8, v16
	global_load_ubyte v6, v33, s[14:15]
	global_load_ubyte v7, v34, s[14:15]
	;; [unrolled: 1-line block ×3, first 2 shown]
	s_nop 0
	global_load_ubyte v18, v18, s[14:15]
	s_nop 0
	global_load_ubyte v32, v35, s[14:15]
	global_load_ubyte v33, v37, s[14:15]
	;; [unrolled: 1-line block ×3, first 2 shown]
	s_nop 0
	global_load_ubyte v35, v39, s[14:15]
	v_mad_i64_i32 v[16:17], s[16:17], v14, 36, v[1:2]
	s_waitcnt vmcnt(8)
	v_lshlrev_b32_e32 v29, 24, v29
	v_lshlrev_b32_e32 v26, 16, v26
	;; [unrolled: 1-line block ×4, first 2 shown]
	v_or3_b32 v26, v30, v26, v29
	v_or3_b32 v27, v31, v27, v28
	v_add_u32_e32 v14, 64, v14
	s_waitcnt vmcnt(6)
	v_lshl_or_b32 v36, v7, 8, v6
	s_waitcnt vmcnt(4)
	v_lshl_or_b32 v37, v8, 8, v18
	global_load_dwordx4 v[5:8], v[16:17], off
	global_load_ubyte v18, v40, s[14:15]
	global_load_ubyte v24, v41, s[14:15]
	;; [unrolled: 1-line block ×4, first 2 shown]
	s_nop 0
	global_load_ubyte v40, v42, s[14:15]
	global_load_ubyte v41, v44, s[14:15]
	s_nop 0
	global_load_ubyte v42, v45, s[14:15]
	global_load_ubyte v43, v46, s[14:15]
	v_lshlrev_b32_e32 v19, 16, v21
	global_load_dword v44, v[16:17], off offset:32
	s_waitcnt vmcnt(10)
	v_lshlrev_b32_e32 v35, 24, v35
	v_lshlrev_b32_e32 v32, 16, v32
	;; [unrolled: 1-line block ×4, first 2 shown]
	v_or3_b32 v28, v36, v32, v35
	v_or3_b32 v29, v37, v33, v34
	s_waitcnt vmcnt(9)
	v_dot4_i32_i8 v6, v20, v6, 0
	v_dot4_i32_i8 v6, v26, v7, v6
	s_waitcnt vmcnt(7)
	v_lshl_or_b32 v24, v24, 8, v18
	v_lshlrev_b32_e32 v18, 24, v23
	v_or3_b32 v21, v25, v19, v18
	global_load_dwordx4 v[16:19], v[16:17], off offset:16
	s_waitcnt vmcnt(6)
	v_lshl_or_b32 v23, v39, 8, v38
	s_waitcnt vmcnt(5)
	v_lshlrev_b32_e32 v39, 16, v40
	s_waitcnt vmcnt(2)
	v_lshlrev_b32_e32 v38, 24, v43
	v_lshlrev_b32_e32 v40, 24, v42
	v_lshlrev_b32_e32 v41, 16, v41
	v_or3_b32 v24, v24, v39, v38
	v_or3_b32 v23, v23, v41, v40
	v_dot4_i32_i8 v6, v28, v8, v6
	v_cvt_f32_f16_e32 v25, v47
	v_cvt_f32_f16_e32 v5, v5
	s_waitcnt vmcnt(0)
	v_dot4_i32_i8 v17, v21, v17, 0
	v_dot4_i32_i8 v7, v27, v18, v17
	;; [unrolled: 1-line block ×5, first 2 shown]
	v_add_u32_e32 v6, v7, v6
	v_cvt_f32_i32_e32 v6, v6
	v_mul_f32_e32 v7, v25, v22
	v_mul_f32_e32 v5, v7, v5
	v_fmac_f32_e32 v11, v5, v6
	s_andn2_b64 exec, exec, s[0:1]
	s_cbranch_execnz .LBB292_3
; %bb.4:
	s_or_b64 exec, exec, s[0:1]
.LBB292_5:
	s_or_b64 exec, exec, s[10:11]
	v_mbcnt_lo_u32_b32 v1, -1, 0
	v_mbcnt_hi_u32_b32 v2, -1, v1
	v_and_b32_e32 v1, 64, v2
	v_add_u32_e32 v3, 64, v1
	v_xor_b32_e32 v1, 32, v2
	v_cmp_lt_i32_e32 vcc, v1, v3
	v_cndmask_b32_e32 v1, v2, v1, vcc
	v_lshlrev_b32_e32 v1, 2, v1
	ds_bpermute_b32 v1, v1, v11
	v_xor_b32_e32 v4, 16, v2
	v_cmp_lt_i32_e32 vcc, v4, v3
	v_cndmask_b32_e32 v4, v2, v4, vcc
	v_lshlrev_b32_e32 v4, 2, v4
	s_waitcnt lgkmcnt(0)
	v_add_f32_e32 v1, v11, v1
	ds_bpermute_b32 v4, v4, v1
	v_xor_b32_e32 v5, 8, v2
	v_cmp_lt_i32_e32 vcc, v5, v3
	s_waitcnt lgkmcnt(0)
	v_add_f32_e32 v1, v1, v4
	v_cndmask_b32_e32 v4, v2, v5, vcc
	v_lshlrev_b32_e32 v4, 2, v4
	ds_bpermute_b32 v4, v4, v1
	v_xor_b32_e32 v5, 4, v2
	v_cmp_lt_i32_e32 vcc, v5, v3
	s_waitcnt lgkmcnt(0)
	v_add_f32_e32 v1, v1, v4
	v_cndmask_b32_e32 v4, v2, v5, vcc
	v_lshlrev_b32_e32 v4, 2, v4
	;; [unrolled: 7-line block ×3, first 2 shown]
	ds_bpermute_b32 v4, v4, v1
	v_xor_b32_e32 v5, 1, v2
	v_cmp_lt_i32_e32 vcc, v5, v3
	v_cndmask_b32_e32 v2, v2, v5, vcc
	v_lshlrev_b32_e32 v2, 2, v2
	s_waitcnt lgkmcnt(0)
	v_add_f32_e32 v1, v1, v4
	ds_bpermute_b32 v2, v2, v1
	v_cmp_eq_u32_e32 vcc, 0, v0
	s_and_b64 exec, exec, vcc
	s_cbranch_execz .LBB292_7
; %bb.6:
	s_waitcnt lgkmcnt(0)
	v_add_f32_e32 v0, v1, v2
	v_bfe_u32 v1, v0, 16, 1
	s_movk_i32 s0, 0x7fff
	v_add3_u32 v1, v0, v1, s0
	v_cmp_o_f32_e32 vcc, v0, v0
	v_mov_b32_e32 v0, 0x7fc0
	s_mul_i32 s0, s2, s8
	v_cndmask_b32_sdwa v2, v0, v1, vcc dst_sel:DWORD dst_unused:UNUSED_PAD src0_sel:DWORD src1_sel:WORD_1
	v_add_u32_e32 v0, s0, v9
	v_mov_b32_e32 v1, 0
	v_lshlrev_b64 v[0:1], 1, v[0:1]
	v_mov_b32_e32 v3, s7
	v_add_co_u32_e32 v0, vcc, s6, v0
	v_addc_co_u32_e32 v1, vcc, v3, v1, vcc
	global_store_short v[0:1], v2, off
.LBB292_7:
	s_endpgm
	.section	.rodata,"a",@progbits
	.p2align	6, 0x0
	.amdhsa_kernel _ZL9moe_vec_qIN3c108BFloat16ELi256ELi8E12block_iq4_xsLi1EXadL_ZL19vec_dot_iq4_xs_q8_1PKvPK10block_q8_1RKiEEEvS4_S4_PT_PS8_iiii
		.amdhsa_group_segment_fixed_size 0
		.amdhsa_private_segment_fixed_size 0
		.amdhsa_kernarg_size 304
		.amdhsa_user_sgpr_count 6
		.amdhsa_user_sgpr_private_segment_buffer 1
		.amdhsa_user_sgpr_dispatch_ptr 0
		.amdhsa_user_sgpr_queue_ptr 0
		.amdhsa_user_sgpr_kernarg_segment_ptr 1
		.amdhsa_user_sgpr_dispatch_id 0
		.amdhsa_user_sgpr_flat_scratch_init 0
		.amdhsa_user_sgpr_private_segment_size 0
		.amdhsa_uses_dynamic_stack 0
		.amdhsa_system_sgpr_private_segment_wavefront_offset 0
		.amdhsa_system_sgpr_workgroup_id_x 1
		.amdhsa_system_sgpr_workgroup_id_y 0
		.amdhsa_system_sgpr_workgroup_id_z 1
		.amdhsa_system_sgpr_workgroup_info 0
		.amdhsa_system_vgpr_workitem_id 1
		.amdhsa_next_free_vgpr 48
		.amdhsa_next_free_sgpr 20
		.amdhsa_reserve_vcc 1
		.amdhsa_reserve_flat_scratch 0
		.amdhsa_float_round_mode_32 0
		.amdhsa_float_round_mode_16_64 0
		.amdhsa_float_denorm_mode_32 3
		.amdhsa_float_denorm_mode_16_64 3
		.amdhsa_dx10_clamp 1
		.amdhsa_ieee_mode 1
		.amdhsa_fp16_overflow 0
		.amdhsa_exception_fp_ieee_invalid_op 0
		.amdhsa_exception_fp_denorm_src 0
		.amdhsa_exception_fp_ieee_div_zero 0
		.amdhsa_exception_fp_ieee_overflow 0
		.amdhsa_exception_fp_ieee_underflow 0
		.amdhsa_exception_fp_ieee_inexact 0
		.amdhsa_exception_int_div_zero 0
	.end_amdhsa_kernel
	.section	.text._ZL9moe_vec_qIN3c108BFloat16ELi256ELi8E12block_iq4_xsLi1EXadL_ZL19vec_dot_iq4_xs_q8_1PKvPK10block_q8_1RKiEEEvS4_S4_PT_PS8_iiii,"axG",@progbits,_ZL9moe_vec_qIN3c108BFloat16ELi256ELi8E12block_iq4_xsLi1EXadL_ZL19vec_dot_iq4_xs_q8_1PKvPK10block_q8_1RKiEEEvS4_S4_PT_PS8_iiii,comdat
.Lfunc_end292:
	.size	_ZL9moe_vec_qIN3c108BFloat16ELi256ELi8E12block_iq4_xsLi1EXadL_ZL19vec_dot_iq4_xs_q8_1PKvPK10block_q8_1RKiEEEvS4_S4_PT_PS8_iiii, .Lfunc_end292-_ZL9moe_vec_qIN3c108BFloat16ELi256ELi8E12block_iq4_xsLi1EXadL_ZL19vec_dot_iq4_xs_q8_1PKvPK10block_q8_1RKiEEEvS4_S4_PT_PS8_iiii
                                        ; -- End function
	.set _ZL9moe_vec_qIN3c108BFloat16ELi256ELi8E12block_iq4_xsLi1EXadL_ZL19vec_dot_iq4_xs_q8_1PKvPK10block_q8_1RKiEEEvS4_S4_PT_PS8_iiii.num_vgpr, 48
	.set _ZL9moe_vec_qIN3c108BFloat16ELi256ELi8E12block_iq4_xsLi1EXadL_ZL19vec_dot_iq4_xs_q8_1PKvPK10block_q8_1RKiEEEvS4_S4_PT_PS8_iiii.num_agpr, 0
	.set _ZL9moe_vec_qIN3c108BFloat16ELi256ELi8E12block_iq4_xsLi1EXadL_ZL19vec_dot_iq4_xs_q8_1PKvPK10block_q8_1RKiEEEvS4_S4_PT_PS8_iiii.numbered_sgpr, 20
	.set _ZL9moe_vec_qIN3c108BFloat16ELi256ELi8E12block_iq4_xsLi1EXadL_ZL19vec_dot_iq4_xs_q8_1PKvPK10block_q8_1RKiEEEvS4_S4_PT_PS8_iiii.num_named_barrier, 0
	.set _ZL9moe_vec_qIN3c108BFloat16ELi256ELi8E12block_iq4_xsLi1EXadL_ZL19vec_dot_iq4_xs_q8_1PKvPK10block_q8_1RKiEEEvS4_S4_PT_PS8_iiii.private_seg_size, 0
	.set _ZL9moe_vec_qIN3c108BFloat16ELi256ELi8E12block_iq4_xsLi1EXadL_ZL19vec_dot_iq4_xs_q8_1PKvPK10block_q8_1RKiEEEvS4_S4_PT_PS8_iiii.uses_vcc, 1
	.set _ZL9moe_vec_qIN3c108BFloat16ELi256ELi8E12block_iq4_xsLi1EXadL_ZL19vec_dot_iq4_xs_q8_1PKvPK10block_q8_1RKiEEEvS4_S4_PT_PS8_iiii.uses_flat_scratch, 0
	.set _ZL9moe_vec_qIN3c108BFloat16ELi256ELi8E12block_iq4_xsLi1EXadL_ZL19vec_dot_iq4_xs_q8_1PKvPK10block_q8_1RKiEEEvS4_S4_PT_PS8_iiii.has_dyn_sized_stack, 0
	.set _ZL9moe_vec_qIN3c108BFloat16ELi256ELi8E12block_iq4_xsLi1EXadL_ZL19vec_dot_iq4_xs_q8_1PKvPK10block_q8_1RKiEEEvS4_S4_PT_PS8_iiii.has_recursion, 0
	.set _ZL9moe_vec_qIN3c108BFloat16ELi256ELi8E12block_iq4_xsLi1EXadL_ZL19vec_dot_iq4_xs_q8_1PKvPK10block_q8_1RKiEEEvS4_S4_PT_PS8_iiii.has_indirect_call, 0
	.section	.AMDGPU.csdata,"",@progbits
; Kernel info:
; codeLenInByte = 1712
; TotalNumSgprs: 24
; NumVgprs: 48
; ScratchSize: 0
; MemoryBound: 0
; FloatMode: 240
; IeeeMode: 1
; LDSByteSize: 0 bytes/workgroup (compile time only)
; SGPRBlocks: 2
; VGPRBlocks: 11
; NumSGPRsForWavesPerEU: 24
; NumVGPRsForWavesPerEU: 48
; Occupancy: 5
; WaveLimiterHint : 1
; COMPUTE_PGM_RSRC2:SCRATCH_EN: 0
; COMPUTE_PGM_RSRC2:USER_SGPR: 6
; COMPUTE_PGM_RSRC2:TRAP_HANDLER: 0
; COMPUTE_PGM_RSRC2:TGID_X_EN: 1
; COMPUTE_PGM_RSRC2:TGID_Y_EN: 0
; COMPUTE_PGM_RSRC2:TGID_Z_EN: 1
; COMPUTE_PGM_RSRC2:TIDIG_COMP_CNT: 1
	.section	.text._ZL9moe_vec_qIN3c108BFloat16ELi256ELi8E11block_iq1_mLi1EXadL_ZL18vec_dot_iq1_m_q8_1PKvPK10block_q8_1RKiEEEvS4_S4_PT_PS8_iiii,"axG",@progbits,_ZL9moe_vec_qIN3c108BFloat16ELi256ELi8E11block_iq1_mLi1EXadL_ZL18vec_dot_iq1_m_q8_1PKvPK10block_q8_1RKiEEEvS4_S4_PT_PS8_iiii,comdat
	.globl	_ZL9moe_vec_qIN3c108BFloat16ELi256ELi8E11block_iq1_mLi1EXadL_ZL18vec_dot_iq1_m_q8_1PKvPK10block_q8_1RKiEEEvS4_S4_PT_PS8_iiii ; -- Begin function _ZL9moe_vec_qIN3c108BFloat16ELi256ELi8E11block_iq1_mLi1EXadL_ZL18vec_dot_iq1_m_q8_1PKvPK10block_q8_1RKiEEEvS4_S4_PT_PS8_iiii
	.p2align	8
	.type	_ZL9moe_vec_qIN3c108BFloat16ELi256ELi8E11block_iq1_mLi1EXadL_ZL18vec_dot_iq1_m_q8_1PKvPK10block_q8_1RKiEEEvS4_S4_PT_PS8_iiii,@function
_ZL9moe_vec_qIN3c108BFloat16ELi256ELi8E11block_iq1_mLi1EXadL_ZL18vec_dot_iq1_m_q8_1PKvPK10block_q8_1RKiEEEvS4_S4_PT_PS8_iiii: ; @_ZL9moe_vec_qIN3c108BFloat16ELi256ELi8E11block_iq1_mLi1EXadL_ZL18vec_dot_iq1_m_q8_1PKvPK10block_q8_1RKiEEEvS4_S4_PT_PS8_iiii
; %bb.0:
	s_mov_b32 s8, s7
	s_load_dword s7, s[4:5], 0x3c
	s_load_dwordx4 s[0:3], s[4:5], 0x20
	s_waitcnt lgkmcnt(0)
	s_lshr_b32 s7, s7, 16
	s_mul_i32 s6, s6, s7
	v_add_u32_e32 v13, s6, v1
	v_cmp_gt_u32_e32 vcc, s2, v13
	s_and_saveexec_b64 s[6:7], vcc
	s_cbranch_execz .LBB293_7
; %bb.1:
	s_load_dwordx2 s[6:7], s[4:5], 0x10
	s_ashr_i32 s9, s1, 31
	s_lshr_b32 s9, s9, 24
	s_add_i32 s1, s1, s9
	s_ashr_i32 s14, s1, 8
	v_lshrrev_b32_e32 v14, 3, v0
	v_cmp_gt_u32_e32 vcc, s14, v14
	v_mov_b32_e32 v15, 0
	s_and_saveexec_b64 s[10:11], vcc
	s_cbranch_execz .LBB293_5
; %bb.2:
	s_load_dwordx2 s[12:13], s[4:5], 0x18
	v_cvt_f32_u32_e32 v1, s0
	s_mov_b32 s9, 0
	s_lshl_b64 s[16:17], s[8:9], 2
	v_mul_lo_u32 v16, v13, s14
	v_rcp_iflag_f32_e32 v1, v1
	s_waitcnt lgkmcnt(0)
	s_add_u32 s12, s12, s16
	s_addc_u32 s13, s13, s17
	s_load_dword s1, s[12:13], 0x0
	s_load_dwordx4 s[16:19], s[4:5], 0x0
	v_mul_f32_e32 v1, 0x4f7ffffe, v1
	s_mul_i32 s4, s14, s2
	v_cvt_u32_f32_e32 v1, v1
	s_waitcnt lgkmcnt(0)
	s_mul_i32 s1, s4, s1
	s_mul_hi_i32 s5, s1, 56
	s_mul_i32 s1, s1, 56
	s_add_u32 s4, s16, s1
	s_addc_u32 s5, s17, s5
	s_sub_i32 s1, 0, s0
	v_readfirstlane_b32 s12, v1
	s_mul_i32 s1, s1, s12
	s_mul_hi_u32 s1, s12, s1
	s_add_i32 s12, s12, s1
	s_mul_hi_u32 s1, s8, s12
	s_mul_i32 s12, s1, s0
	s_sub_i32 s12, s8, s12
	s_add_i32 s13, s1, 1
	s_sub_i32 s15, s12, s0
	s_cmp_ge_u32 s12, s0
	s_cselect_b32 s1, s13, s1
	s_cselect_b32 s12, s15, s12
	s_add_i32 s13, s1, 1
	s_cmp_ge_u32 s12, s0
	s_cselect_b32 s0, s13, s1
	s_mul_i32 s0, s0, s3
	s_mov_b32 s1, s9
	s_lshl_b64 s[0:1], s[0:1], 2
	s_add_u32 s0, s18, s0
	s_addc_u32 s1, s19, s1
	v_and_b32_e32 v1, 7, v0
	v_mad_u64_u32 v[9:10], s[0:1], v1, 36, s[0:1]
	v_and_b32_e32 v3, 1, v0
	v_bfe_u32 v2, v0, 1, 2
	v_cmp_eq_u32_e32 vcc, 1, v3
	v_mov_b32_e32 v15, 0
	v_lshlrev_b32_e32 v17, 1, v1
	v_cndmask_b32_e64 v18, 0, 6, vcc
	v_lshlrev_b32_e32 v19, 3, v14
	s_mov_b64 s[0:1], 0
	v_lshlrev_b32_e32 v20, 2, v1
	s_mov_b32 s3, 0x1010101
	s_mov_b32 s9, 0x8000c
	s_movk_i32 s15, 0xf0
	v_lshlrev_b32_e32 v21, 1, v2
	s_movk_i32 s16, 0x700
	v_mov_b32_e32 v22, 4
	v_mov_b32_e32 v23, 8
.LBB293_3:                              ; =>This Inner Loop Header: Depth=1
	v_add_u32_e32 v1, v16, v14
	v_mad_i64_i32 v[11:12], s[12:13], v1, 56, s[4:5]
	v_mad_i64_i32 v[27:28], s[12:13], v19, 36, v[9:10]
	v_add_co_u32_e32 v1, vcc, v11, v20
	v_addc_co_u32_e32 v2, vcc, 0, v12, vcc
	v_add_co_u32_e32 v3, vcc, v11, v17
	v_addc_co_u32_e32 v4, vcc, 0, v12, vcc
	global_load_dword v26, v[1:2], off
	global_load_ushort v24, v[3:4], off offset:32
	s_nop 0
	global_load_dwordx4 v[1:4], v[27:28], off offset:16
	global_load_dword v25, v[27:28], off offset:32
	global_load_dwordx4 v[5:8], v[27:28], off
	v_add_co_u32_e32 v27, vcc, v11, v21
	v_addc_co_u32_e32 v28, vcc, 0, v12, vcc
	global_load_dwordx2 v[11:12], v[11:12], off offset:48
	s_nop 0
	global_load_ushort v27, v[27:28], off offset:48
	v_mov_b32_e32 v29, 0xbf600000
	s_getpc_b64 s[12:13]
	s_add_u32 s12, s12, _ZL13iq1s_grid_gpu@rel32@lo+4
	s_addc_u32 s13, s13, _ZL13iq1s_grid_gpu@rel32@hi+12
	v_mov_b32_e32 v30, 0xbf600000
	v_add_u32_e32 v14, 8, v14
	v_cmp_le_u32_e32 vcc, s14, v14
	v_add_u32_e32 v19, 64, v19
	s_or_b64 s[0:1], vcc, s[0:1]
	s_waitcnt vmcnt(6)
	v_and_b32_e32 v28, 0xff, v26
	s_waitcnt vmcnt(5)
	v_lshlrev_b32_e32 v31, 8, v24
	v_bfe_u32 v32, v26, 8, 8
	v_lshlrev_b32_e32 v33, 4, v24
	v_and_or_b32 v28, v31, s16, v28
	v_bfe_u32 v31, v26, 16, 8
	v_and_or_b32 v32, v33, s16, v32
	v_lshlrev_b32_sdwa v33, v23, v24 dst_sel:DWORD dst_unused:UNUSED_PAD src0_sel:DWORD src1_sel:BYTE_1
	v_and_or_b32 v31, v33, s16, v31
	v_and_b32_sdwa v33, v24, v23 dst_sel:DWORD dst_unused:UNUSED_PAD src0_sel:BYTE_1 src1_sel:DWORD
	v_cvt_f32_ubyte0_e32 v33, v33
	v_fmac_f32_e32 v29, 0xbd000000, v33
	v_lshrrev_b32_sdwa v33, v22, v24 dst_sel:DWORD dst_unused:UNUSED_PAD src0_sel:DWORD src1_sel:BYTE_1
	v_alignbit_b32 v26, v33, v26, 24
	v_lshlrev_b32_e32 v28, 3, v28
	v_and_b32_e32 v26, 0x7ff, v26
	global_load_dword v28, v28, s[12:13]
	v_lshlrev_b32_e32 v31, 3, v31
	v_lshlrev_b32_e32 v32, 3, v32
	;; [unrolled: 1-line block ×3, first 2 shown]
	global_load_dword v31, v31, s[12:13]
	s_nop 0
	global_load_dword v26, v26, s[12:13]
	s_nop 0
	global_load_dword v32, v32, s[12:13]
	v_and_b32_e32 v33, 8, v33
	v_cvt_f32_ubyte0_e32 v33, v33
	v_fmac_f32_e32 v30, 0xbd000000, v33
	s_waitcnt vmcnt(8)
	v_dot4_i32_i8 v33, v2, s3, 0
	v_dot4_i32_i8 v33, v3, s3, v33
	v_cvt_f32_i32_e32 v33, v33
	s_waitcnt vmcnt(5)
	v_pk_lshrrev_b16 v11, s9, v11
	s_waitcnt vmcnt(4)
	v_lshrrev_b32_e32 v27, v18, v27
	v_pk_lshrrev_b16 v12, 4, v12
	v_fma_f32 v29, v29, v33, 0
	v_dot4_i32_i8 v33, v4, s3, 0
	v_dot4_i32_i8 v33, v25, s3, v33
	v_cvt_f32_i32_e32 v33, v33
	v_and_b32_e32 v12, 0xf0000f00, v12
	v_cvt_f32_f16_e32 v5, v5
	v_fmac_f32_e32 v29, v30, v33
	v_and_b32_e32 v33, 8, v24
	v_bfe_u32 v24, v24, 4, 4
	v_mov_b32_e32 v30, 0xbf600000
	v_cvt_f32_ubyte0_e32 v33, v33
	v_and_b32_e32 v24, 8, v24
	v_fmac_f32_e32 v30, 0xbd000000, v33
	v_mov_b32_e32 v33, 0xbf600000
	v_cvt_f32_ubyte0_e32 v24, v24
	v_fmac_f32_e32 v33, 0xbd000000, v24
	v_dot4_i32_i8 v24, v6, s3, 0
	v_dot4_i32_i8 v24, v7, s3, v24
	v_cvt_f32_i32_e32 v24, v24
	v_fma_f32 v24, v30, v24, 0
	v_dot4_i32_i8 v30, v8, s3, 0
	v_dot4_i32_i8 v30, v1, s3, v30
	v_cvt_f32_i32_e32 v30, v30
	v_fmac_f32_e32 v24, v33, v30
	v_and_b32_sdwa v30, v11, s15 dst_sel:DWORD dst_unused:UNUSED_PAD src0_sel:WORD_1 src1_sel:DWORD
	v_or_b32_e32 v11, v30, v11
	v_lshlrev_b32_e32 v30, 1, v27
	v_and_b32_e32 v30, 14, v30
	v_or_b32_e32 v11, v11, v12
	v_or_b32_e32 v30, 1, v30
	v_or_b32_sdwa v11, v11, v12 dst_sel:DWORD dst_unused:UNUSED_PAD src0_sel:DWORD src1_sel:WORD_1
	v_cvt_f32_ubyte0_e32 v12, v30
	v_lshrrev_b32_e32 v27, 2, v27
	v_and_b32_e32 v27, 14, v27
	v_cvt_f32_f16_e32 v11, v11
	v_or_b32_e32 v27, 1, v27
	v_cvt_f32_ubyte0_e32 v27, v27
	s_waitcnt vmcnt(3)
	v_and_b32_e32 v30, 0xf0f0f0f, v28
	v_lshrrev_b32_e32 v28, 4, v28
	v_and_b32_e32 v28, 0xf0f0f0f, v28
	v_dot4_i32_i8 v6, v30, v6, 0
	v_dot4_i32_i8 v6, v28, v7, v6
	s_waitcnt vmcnt(0)
	v_and_b32_e32 v7, 0xf0f0f0f, v32
	v_dot4_i32_i8 v6, v7, v8, v6
	v_and_b32_e32 v7, 0xf0f0f0f, v31
	v_lshrrev_b32_e32 v8, 4, v31
	v_and_b32_e32 v8, 0xf0f0f0f, v8
	v_dot4_i32_i8 v2, v7, v2, 0
	v_and_b32_e32 v7, 0xf0f0f0f, v26
	v_lshrrev_b32_e32 v26, 4, v26
	v_dot4_i32_i8 v2, v8, v3, v2
	v_lshrrev_b32_e32 v28, 4, v32
	v_and_b32_e32 v8, 0xf0f0f0f, v26
	v_dot4_i32_i8 v2, v7, v4, v2
	v_and_b32_e32 v3, 0xf0f0f0f, v28
	v_dot4_i32_i8 v2, v8, v25, v2
	v_dot4_i32_i8 v1, v3, v1, v6
	v_cvt_f32_i32_e32 v2, v2
	v_cvt_f32_i32_e32 v1, v1
	v_mul_f32_e32 v3, v5, v11
	v_add_f32_e32 v2, v29, v2
	v_add_f32_e32 v1, v24, v1
	v_mul_f32_e32 v2, v2, v27
	v_fmac_f32_e32 v2, v1, v12
	v_fmac_f32_e32 v15, v3, v2
	s_andn2_b64 exec, exec, s[0:1]
	s_cbranch_execnz .LBB293_3
; %bb.4:
	s_or_b64 exec, exec, s[0:1]
.LBB293_5:
	s_or_b64 exec, exec, s[10:11]
	v_mbcnt_lo_u32_b32 v1, -1, 0
	v_mbcnt_hi_u32_b32 v2, -1, v1
	v_and_b32_e32 v1, 64, v2
	v_add_u32_e32 v3, 64, v1
	v_xor_b32_e32 v1, 32, v2
	v_cmp_lt_i32_e32 vcc, v1, v3
	v_cndmask_b32_e32 v1, v2, v1, vcc
	v_lshlrev_b32_e32 v1, 2, v1
	ds_bpermute_b32 v1, v1, v15
	v_xor_b32_e32 v4, 16, v2
	v_cmp_lt_i32_e32 vcc, v4, v3
	v_cndmask_b32_e32 v4, v2, v4, vcc
	v_lshlrev_b32_e32 v4, 2, v4
	s_waitcnt lgkmcnt(0)
	v_add_f32_e32 v1, v15, v1
	ds_bpermute_b32 v4, v4, v1
	v_xor_b32_e32 v5, 8, v2
	v_cmp_lt_i32_e32 vcc, v5, v3
	s_waitcnt lgkmcnt(0)
	v_add_f32_e32 v1, v1, v4
	v_cndmask_b32_e32 v4, v2, v5, vcc
	v_lshlrev_b32_e32 v4, 2, v4
	ds_bpermute_b32 v4, v4, v1
	v_xor_b32_e32 v5, 4, v2
	v_cmp_lt_i32_e32 vcc, v5, v3
	s_waitcnt lgkmcnt(0)
	v_add_f32_e32 v1, v1, v4
	v_cndmask_b32_e32 v4, v2, v5, vcc
	v_lshlrev_b32_e32 v4, 2, v4
	;; [unrolled: 7-line block ×3, first 2 shown]
	ds_bpermute_b32 v4, v4, v1
	v_xor_b32_e32 v5, 1, v2
	v_cmp_lt_i32_e32 vcc, v5, v3
	v_cndmask_b32_e32 v2, v2, v5, vcc
	v_lshlrev_b32_e32 v2, 2, v2
	s_waitcnt lgkmcnt(0)
	v_add_f32_e32 v1, v1, v4
	ds_bpermute_b32 v2, v2, v1
	v_cmp_eq_u32_e32 vcc, 0, v0
	s_and_b64 exec, exec, vcc
	s_cbranch_execz .LBB293_7
; %bb.6:
	s_waitcnt lgkmcnt(0)
	v_add_f32_e32 v0, v1, v2
	v_bfe_u32 v1, v0, 16, 1
	s_movk_i32 s0, 0x7fff
	v_add3_u32 v1, v0, v1, s0
	v_cmp_o_f32_e32 vcc, v0, v0
	v_mov_b32_e32 v0, 0x7fc0
	s_mul_i32 s0, s2, s8
	v_cndmask_b32_sdwa v2, v0, v1, vcc dst_sel:DWORD dst_unused:UNUSED_PAD src0_sel:DWORD src1_sel:WORD_1
	v_add_u32_e32 v0, s0, v13
	v_mov_b32_e32 v1, 0
	v_lshlrev_b64 v[0:1], 1, v[0:1]
	v_mov_b32_e32 v3, s7
	v_add_co_u32_e32 v0, vcc, s6, v0
	v_addc_co_u32_e32 v1, vcc, v3, v1, vcc
	global_store_short v[0:1], v2, off
.LBB293_7:
	s_endpgm
	.section	.rodata,"a",@progbits
	.p2align	6, 0x0
	.amdhsa_kernel _ZL9moe_vec_qIN3c108BFloat16ELi256ELi8E11block_iq1_mLi1EXadL_ZL18vec_dot_iq1_m_q8_1PKvPK10block_q8_1RKiEEEvS4_S4_PT_PS8_iiii
		.amdhsa_group_segment_fixed_size 0
		.amdhsa_private_segment_fixed_size 0
		.amdhsa_kernarg_size 304
		.amdhsa_user_sgpr_count 6
		.amdhsa_user_sgpr_private_segment_buffer 1
		.amdhsa_user_sgpr_dispatch_ptr 0
		.amdhsa_user_sgpr_queue_ptr 0
		.amdhsa_user_sgpr_kernarg_segment_ptr 1
		.amdhsa_user_sgpr_dispatch_id 0
		.amdhsa_user_sgpr_flat_scratch_init 0
		.amdhsa_user_sgpr_private_segment_size 0
		.amdhsa_uses_dynamic_stack 0
		.amdhsa_system_sgpr_private_segment_wavefront_offset 0
		.amdhsa_system_sgpr_workgroup_id_x 1
		.amdhsa_system_sgpr_workgroup_id_y 0
		.amdhsa_system_sgpr_workgroup_id_z 1
		.amdhsa_system_sgpr_workgroup_info 0
		.amdhsa_system_vgpr_workitem_id 1
		.amdhsa_next_free_vgpr 34
		.amdhsa_next_free_sgpr 20
		.amdhsa_reserve_vcc 1
		.amdhsa_reserve_flat_scratch 0
		.amdhsa_float_round_mode_32 0
		.amdhsa_float_round_mode_16_64 0
		.amdhsa_float_denorm_mode_32 3
		.amdhsa_float_denorm_mode_16_64 3
		.amdhsa_dx10_clamp 1
		.amdhsa_ieee_mode 1
		.amdhsa_fp16_overflow 0
		.amdhsa_exception_fp_ieee_invalid_op 0
		.amdhsa_exception_fp_denorm_src 0
		.amdhsa_exception_fp_ieee_div_zero 0
		.amdhsa_exception_fp_ieee_overflow 0
		.amdhsa_exception_fp_ieee_underflow 0
		.amdhsa_exception_fp_ieee_inexact 0
		.amdhsa_exception_int_div_zero 0
	.end_amdhsa_kernel
	.section	.text._ZL9moe_vec_qIN3c108BFloat16ELi256ELi8E11block_iq1_mLi1EXadL_ZL18vec_dot_iq1_m_q8_1PKvPK10block_q8_1RKiEEEvS4_S4_PT_PS8_iiii,"axG",@progbits,_ZL9moe_vec_qIN3c108BFloat16ELi256ELi8E11block_iq1_mLi1EXadL_ZL18vec_dot_iq1_m_q8_1PKvPK10block_q8_1RKiEEEvS4_S4_PT_PS8_iiii,comdat
.Lfunc_end293:
	.size	_ZL9moe_vec_qIN3c108BFloat16ELi256ELi8E11block_iq1_mLi1EXadL_ZL18vec_dot_iq1_m_q8_1PKvPK10block_q8_1RKiEEEvS4_S4_PT_PS8_iiii, .Lfunc_end293-_ZL9moe_vec_qIN3c108BFloat16ELi256ELi8E11block_iq1_mLi1EXadL_ZL18vec_dot_iq1_m_q8_1PKvPK10block_q8_1RKiEEEvS4_S4_PT_PS8_iiii
                                        ; -- End function
	.set _ZL9moe_vec_qIN3c108BFloat16ELi256ELi8E11block_iq1_mLi1EXadL_ZL18vec_dot_iq1_m_q8_1PKvPK10block_q8_1RKiEEEvS4_S4_PT_PS8_iiii.num_vgpr, 34
	.set _ZL9moe_vec_qIN3c108BFloat16ELi256ELi8E11block_iq1_mLi1EXadL_ZL18vec_dot_iq1_m_q8_1PKvPK10block_q8_1RKiEEEvS4_S4_PT_PS8_iiii.num_agpr, 0
	.set _ZL9moe_vec_qIN3c108BFloat16ELi256ELi8E11block_iq1_mLi1EXadL_ZL18vec_dot_iq1_m_q8_1PKvPK10block_q8_1RKiEEEvS4_S4_PT_PS8_iiii.numbered_sgpr, 20
	.set _ZL9moe_vec_qIN3c108BFloat16ELi256ELi8E11block_iq1_mLi1EXadL_ZL18vec_dot_iq1_m_q8_1PKvPK10block_q8_1RKiEEEvS4_S4_PT_PS8_iiii.num_named_barrier, 0
	.set _ZL9moe_vec_qIN3c108BFloat16ELi256ELi8E11block_iq1_mLi1EXadL_ZL18vec_dot_iq1_m_q8_1PKvPK10block_q8_1RKiEEEvS4_S4_PT_PS8_iiii.private_seg_size, 0
	.set _ZL9moe_vec_qIN3c108BFloat16ELi256ELi8E11block_iq1_mLi1EXadL_ZL18vec_dot_iq1_m_q8_1PKvPK10block_q8_1RKiEEEvS4_S4_PT_PS8_iiii.uses_vcc, 1
	.set _ZL9moe_vec_qIN3c108BFloat16ELi256ELi8E11block_iq1_mLi1EXadL_ZL18vec_dot_iq1_m_q8_1PKvPK10block_q8_1RKiEEEvS4_S4_PT_PS8_iiii.uses_flat_scratch, 0
	.set _ZL9moe_vec_qIN3c108BFloat16ELi256ELi8E11block_iq1_mLi1EXadL_ZL18vec_dot_iq1_m_q8_1PKvPK10block_q8_1RKiEEEvS4_S4_PT_PS8_iiii.has_dyn_sized_stack, 0
	.set _ZL9moe_vec_qIN3c108BFloat16ELi256ELi8E11block_iq1_mLi1EXadL_ZL18vec_dot_iq1_m_q8_1PKvPK10block_q8_1RKiEEEvS4_S4_PT_PS8_iiii.has_recursion, 0
	.set _ZL9moe_vec_qIN3c108BFloat16ELi256ELi8E11block_iq1_mLi1EXadL_ZL18vec_dot_iq1_m_q8_1PKvPK10block_q8_1RKiEEEvS4_S4_PT_PS8_iiii.has_indirect_call, 0
	.section	.AMDGPU.csdata,"",@progbits
; Kernel info:
; codeLenInByte = 1492
; TotalNumSgprs: 24
; NumVgprs: 34
; ScratchSize: 0
; MemoryBound: 0
; FloatMode: 240
; IeeeMode: 1
; LDSByteSize: 0 bytes/workgroup (compile time only)
; SGPRBlocks: 2
; VGPRBlocks: 8
; NumSGPRsForWavesPerEU: 24
; NumVGPRsForWavesPerEU: 34
; Occupancy: 7
; WaveLimiterHint : 1
; COMPUTE_PGM_RSRC2:SCRATCH_EN: 0
; COMPUTE_PGM_RSRC2:USER_SGPR: 6
; COMPUTE_PGM_RSRC2:TRAP_HANDLER: 0
; COMPUTE_PGM_RSRC2:TGID_X_EN: 1
; COMPUTE_PGM_RSRC2:TGID_Y_EN: 0
; COMPUTE_PGM_RSRC2:TGID_Z_EN: 1
; COMPUTE_PGM_RSRC2:TIDIG_COMP_CNT: 1
	.section	.AMDGPU.gpr_maximums,"",@progbits
	.set amdgpu.max_num_vgpr, 0
	.set amdgpu.max_num_agpr, 0
	.set amdgpu.max_num_sgpr, 0
	.section	.AMDGPU.csdata,"",@progbits
	.type	_ZL11iq2xxs_grid,@object        ; @_ZL11iq2xxs_grid
	.section	.rodata,"a",@progbits
	.p2align	4, 0x0
_ZL11iq2xxs_grid:
	.quad	578721382704613384              ; 0x808080808080808
	.quad	578721382704613419              ; 0x80808080808082b
	;; [unrolled: 1-line block ×132, first 2 shown]
	.quad	1803700481349388313             ; 0x1908080808080819
	.quad	1803700481349392648             ; 0x1908080808081908
	;; [unrolled: 1-line block ×124, first 2 shown]
	.size	_ZL11iq2xxs_grid, 2048

	.type	_ZL12ksigns_iq2xs,@object       ; @_ZL12ksigns_iq2xs
	.p2align	4, 0x0
_ZL12ksigns_iq2xs:
	.ascii	"\000\201\202\003\204\005\006\207\210\t\n\213\f\215\216\017\220\021\022\223\024\225\226\027\030\231\232\033\234\035\036\237\240!\"\243$\245\246'(\251\252+\254-.\2570\261\2623\26456\267\2709:\273<\275\276?\300AB\303D\305\306GH\311\312K\314MN\317P\321\322S\324UV\327\330YZ\333\\\335\336_`\341\342c\344ef\347\350ij\353l\355\356o\360qr\363t\365\366wx\371\372{\374}~\377"
	.size	_ZL12ksigns_iq2xs, 128

	.type	_ZL10iq2xs_grid,@object         ; @_ZL10iq2xs_grid
	.p2align	4, 0x0
_ZL10iq2xs_grid:
	.quad	578721382704613384              ; 0x808080808080808
	.quad	578721382704613419              ; 0x80808080808082b
	;; [unrolled: 1-line block ×254, first 2 shown]
	.quad	1803700481349388313             ; 0x1908080808080819
	.quad	1803700481349392648             ; 0x1908080808081908
	;; [unrolled: 1-line block ×258, first 2 shown]
	.size	_ZL10iq2xs_grid, 4096

	.type	_ZL11iq3xxs_grid,@object        ; @_ZL11iq3xxs_grid
	.p2align	4, 0x0
_ZL11iq3xxs_grid:
	.long	67372036                        ; 0x4040404
	.long	67372052                        ; 0x4040414
	.long	67372068                        ; 0x4040424
	.long	67374092                        ; 0x4040c0c
	.long	67374108                        ; 0x4040c1c
	.long	67374142                        ; 0x4040c3e
	.long	67376132                        ; 0x4041404
	.long	67376148                        ; 0x4041414
	.long	67378188                        ; 0x4041c0c
	.long	67380244                        ; 0x4042414
	.long	67386908                        ; 0x4043e1c
	.long	67386924                        ; 0x4043e2c
	.long	67896332                        ; 0x40c040c
	.long	67896348                        ; 0x40c041c
	.long	67898372                        ; 0x40c0c04
	.long	67898388                        ; 0x40c0c14
	.long	67900428                        ; 0x40c140c
	.long	67900460                        ; 0x40c142c
	.long	67902468                        ; 0x40c1c04
	.long	67902484                        ; 0x40c1c14
	.long	67904524                        ; 0x40c240c
	.long	67906596                        ; 0x40c2c24
	.long	67911172                        ; 0x40c3e04
	.long	68420612                        ; 0x4140404
	.long	68420628                        ; 0x4140414
	.long	68420644                        ; 0x4140424
	.long	68422668                        ; 0x4140c0c
	.long	68424708                        ; 0x4141404
	.long	68424724                        ; 0x4141414
	.long	68426764                        ; 0x4141c0c
	.long	68426780                        ; 0x4141c1c
	.long	68426814                        ; 0x4141c3e
	.long	68430860                        ; 0x4142c0c
	.long	68430910                        ; 0x4142c3e
	.long	68435500                        ; 0x4143e2c
	.long	68944908                        ; 0x41c040c
	.long	68944958                        ; 0x41c043e
	.long	68946948                        ; 0x41c0c04
	.long	68946964                        ; 0x41c0c14
	.long	68949036                        ; 0x41c142c
	.long	68959748                        ; 0x41c3e04
	.long	69471260                        ; 0x4240c1c
	.long	69475390                        ; 0x4241c3e
	.long	69477412                        ; 0x4242424
	.long	69479486                        ; 0x4242c3e
	.long	69484060                        ; 0x4243e1c
	.long	69484076                        ; 0x4243e2c
	.long	69993484                        ; 0x42c040c
	.long	69993534                        ; 0x42c043e
	.long	69999636                        ; 0x42c1c14
	.long	70003732                        ; 0x42c2c14
	.long	70523948                        ; 0x4341c2c
	.long	70530084                        ; 0x4343424
	.long	71175172                        ; 0x43e0c04
	.long	71175204                        ; 0x43e0c24
	.long	71175220                        ; 0x43e0c34
	.long	71181340                        ; 0x43e241c
	.long	71185420                        ; 0x43e340c
	.long	201589772                       ; 0xc04040c
	.long	201589788                       ; 0xc04041c
	;; [unrolled: 1-line block ×177, first 2 shown]
	.long	1040450588                      ; 0x3e04041c
	.long	1040450604                      ; 0x3e04042c
	;; [unrolled: 1-line block ×21, first 2 shown]
	.size	_ZL11iq3xxs_grid, 1024

	.type	_ZL13iq1s_grid_gpu,@object      ; @_ZL13iq1s_grid_gpu
	.p2align	4, 0x0
_ZL13iq1s_grid_gpu:
	.quad	0                               ; 0x0
	.quad	2                               ; 0x2
	.quad	257                             ; 0x101
	.quad	512                             ; 0x200
	;; [unrolled: 1-line block ×3, first 2 shown]
	.quad	65537                           ; 0x10001
	.quad	65793                           ; 0x10101
	.quad	131072                          ; 0x20000
	.quad	131074                          ; 0x20002
	;; [unrolled: 1-line block ×4, first 2 shown]
	.quad	16777473                        ; 0x1000101
	.quad	16842753                        ; 0x1010001
	.quad	16843008                        ; 0x1010100
	.quad	16843010                        ; 0x1010102
	.quad	16908545                        ; 0x1020101
	.quad	33554432                        ; 0x2000000
	.quad	33554434                        ; 0x2000002
	.quad	33554944                        ; 0x2000200
	.quad	33554946                        ; 0x2000202
	.quad	33620225                        ; 0x2010101
	.quad	33685504                        ; 0x2020000
	.quad	33685506                        ; 0x2020002
	.quad	33686016                        ; 0x2020200
	.quad	33686018                        ; 0x2020202
	.quad	272                             ; 0x110
	.quad	273                             ; 0x111
	.quad	65553                           ; 0x10011
	.quad	65808                           ; 0x10110
	;; [unrolled: 1-line block ×5, first 2 shown]
	.quad	131345                          ; 0x20111
	.quad	16777233                        ; 0x1000011
	.quad	16777490                        ; 0x1000112
	;; [unrolled: 1-line block ×15, first 2 shown]
	.quad	32                              ; 0x20
	.quad	34                              ; 0x22
	.quad	544                             ; 0x220
	.quad	546                             ; 0x222
	.quad	65825                           ; 0x10121
	.quad	131104                          ; 0x20020
	.quad	131106                          ; 0x20022
	;; [unrolled: 1-line block ×4, first 2 shown]
	.quad	16777505                        ; 0x1000121
	.quad	16842785                        ; 0x1010021
	;; [unrolled: 1-line block ×16, first 2 shown]
	.quad	69633                           ; 0x11001
	.quad	69888                           ; 0x11100
	;; [unrolled: 1-line block ×3, first 2 shown]
	.quad	135425                          ; 0x21101
	.quad	16781313                        ; 0x1001001
	.quad	16781825                        ; 0x1001201
	;; [unrolled: 1-line block ×9, first 2 shown]
	.quad	4113                            ; 0x1011
	.quad	4368                            ; 0x1110
	.quad	4369                            ; 0x1111
	.quad	4370                            ; 0x1112
	.quad	69905                           ; 0x11111
	.quad	70160                           ; 0x11210
	;; [unrolled: 1-line block ×3, first 2 shown]
	.quad	135697                          ; 0x21211
	.quad	16781328                        ; 0x1001010
	.quad	16781585                        ; 0x1001111
	;; [unrolled: 1-line block ×24, first 2 shown]
	.quad	69920                           ; 0x11120
	.quad	70177                           ; 0x11221
	.quad	16781345                        ; 0x1001021
	.quad	16781600                        ; 0x1001120
	;; [unrolled: 1-line block ×14, first 2 shown]
	.quad	8192                            ; 0x2000
	.quad	8194                            ; 0x2002
	;; [unrolled: 1-line block ×4, first 2 shown]
	.quad	73985                           ; 0x12101
	.quad	139264                          ; 0x22000
	.quad	139266                          ; 0x22002
	;; [unrolled: 1-line block ×4, first 2 shown]
	.quad	16785665                        ; 0x1002101
	.quad	16850945                        ; 0x1012001
	;; [unrolled: 1-line block ×13, first 2 shown]
	.quad	8465                            ; 0x2111
	.quad	73745                           ; 0x12011
	.quad	74000                           ; 0x12110
	;; [unrolled: 1-line block ×3, first 2 shown]
	.quad	139536                          ; 0x22110
	.quad	139537                          ; 0x22111
	.quad	16785425                        ; 0x1002011
	.quad	16850960                        ; 0x1012010
	;; [unrolled: 1-line block ×12, first 2 shown]
	.quad	8224                            ; 0x2020
	.quad	8226                            ; 0x2022
	;; [unrolled: 1-line block ×4, first 2 shown]
	.quad	74017                           ; 0x12121
	.quad	139296                          ; 0x22020
	.quad	139298                          ; 0x22022
	;; [unrolled: 1-line block ×4, first 2 shown]
	.quad	16785697                        ; 0x1002121
	.quad	16850977                        ; 0x1012021
	;; [unrolled: 1-line block ×15, first 2 shown]
	.quad	1114112                         ; 0x110000
	.quad	1114113                         ; 0x110001
	;; [unrolled: 1-line block ×6, first 2 shown]
	.quad	17825793                        ; 0x1100001
	.quad	17826048                        ; 0x1100100
	;; [unrolled: 1-line block ×14, first 2 shown]
	.quad	1048593                         ; 0x100011
	.quad	1048848                         ; 0x100110
	;; [unrolled: 1-line block ×11, first 2 shown]
	.quad	17826065                        ; 0x1100111
	.quad	17826322                        ; 0x1100212
	.quad	17891344                        ; 0x1110010
	.quad	17891345                        ; 0x1110011
	.quad	17891346                        ; 0x1110012
	.quad	17891600                        ; 0x1110110
	.quad	17891601                        ; 0x1110111
	.quad	17891602                        ; 0x1110112
	.quad	17891857                        ; 0x1110211
	.quad	17956880                        ; 0x1120010
	.quad	17957137                        ; 0x1120111
	.quad	34603280                        ; 0x2100110
	.quad	34668562                        ; 0x2110012
	.quad	34668817                        ; 0x2110111
	.quad	34734097                        ; 0x2120011
	.quad	34734352                        ; 0x2120110
	.quad	1114145                         ; 0x110021
	.quad	1114400                         ; 0x110120
	;; [unrolled: 1-line block ×4, first 2 shown]
	.quad	17825824                        ; 0x1100020
	.quad	17826082                        ; 0x1100122
	;; [unrolled: 1-line block ×14, first 2 shown]
	.quad	1052673                         ; 0x101001
	.quad	1052930                         ; 0x101102
	;; [unrolled: 1-line block ×9, first 2 shown]
	.quad	17829889                        ; 0x1101001
	.quad	17830145                        ; 0x1101101
	;; [unrolled: 1-line block ×25, first 2 shown]
	.quad	1052690                         ; 0x101012
	.quad	1052945                         ; 0x101111
	;; [unrolled: 1-line block ×13, first 2 shown]
	.quad	17829905                        ; 0x1101011
	.quad	17830160                        ; 0x1101110
	;; [unrolled: 1-line block ×32, first 2 shown]
	.quad	1052705                         ; 0x101021
	.quad	1052960                         ; 0x101120
	;; [unrolled: 1-line block ×10, first 2 shown]
	.quad	17829920                        ; 0x1101020
	.quad	17829922                        ; 0x1101022
	;; [unrolled: 1-line block ×23, first 2 shown]
	.quad	1122305                         ; 0x112001
	.quad	1122562                         ; 0x112102
	;; [unrolled: 1-line block ×3, first 2 shown]
	.quad	17833985                        ; 0x1102001
	.quad	17834240                        ; 0x1102100
	;; [unrolled: 1-line block ×17, first 2 shown]
	.quad	1122320                         ; 0x112010
	.quad	1122322                         ; 0x112012
	;; [unrolled: 1-line block ×6, first 2 shown]
	.quad	17834002                        ; 0x1102012
	.quad	17834256                        ; 0x1102110
	.quad	17834257                        ; 0x1102111
	.quad	17834512                        ; 0x1102210
	.quad	17899537                        ; 0x1112011
	.quad	17899792                        ; 0x1112110
	.quad	17899793                        ; 0x1112111
	.quad	17899794                        ; 0x1112112
	.quad	17900049                        ; 0x1112211
	.quad	17900050                        ; 0x1112212
	.quad	17965072                        ; 0x1122010
	.quad	17965329                        ; 0x1122111
	.quad	17965586                        ; 0x1122212
	.quad	34611729                        ; 0x2102211
	.quad	34676753                        ; 0x2112011
	.quad	34676754                        ; 0x2112012
	.quad	34677009                        ; 0x2112111
	.quad	34677264                        ; 0x2112210
	.quad	34742289                        ; 0x2122011
	.quad	34742546                        ; 0x2122112
	.quad	34742801                        ; 0x2122211
	.quad	1057313                         ; 0x102221
	.quad	1122594                         ; 0x112122
	;; [unrolled: 1-line block ×4, first 2 shown]
	.quad	17834272                        ; 0x1102120
	.quad	17834274                        ; 0x1102122
	;; [unrolled: 1-line block ×14, first 2 shown]
	.quad	2097152                         ; 0x200000
	.quad	2097154                         ; 0x200002
	;; [unrolled: 1-line block ×10, first 2 shown]
	.quad	18874625                        ; 0x1200101
	.quad	18939905                        ; 0x1210001
	;; [unrolled: 1-line block ×15, first 2 shown]
	.quad	2097425                         ; 0x200111
	.quad	2162705                         ; 0x210011
	;; [unrolled: 1-line block ×5, first 2 shown]
	.quad	18874386                        ; 0x1200012
	.quad	18874640                        ; 0x1200110
	;; [unrolled: 1-line block ×15, first 2 shown]
	.quad	2097185                         ; 0x200021
	.quad	2097696                         ; 0x200220
	;; [unrolled: 1-line block ×9, first 2 shown]
	.quad	18874657                        ; 0x1200121
	.quad	18939937                        ; 0x1210021
	;; [unrolled: 1-line block ×14, first 2 shown]
	.quad	2101505                         ; 0x201101
	.quad	2167040                         ; 0x211100
	;; [unrolled: 1-line block ×5, first 2 shown]
	.quad	18878720                        ; 0x1201100
	.quad	18878721                        ; 0x1201101
	;; [unrolled: 1-line block ×15, first 2 shown]
	.quad	2101777                         ; 0x201211
	.quad	2167057                         ; 0x211111
	;; [unrolled: 1-line block ×4, first 2 shown]
	.quad	18878480                        ; 0x1201010
	.quad	18878737                        ; 0x1201111
	;; [unrolled: 1-line block ×20, first 2 shown]
	.quad	2101537                         ; 0x201121
	.quad	2166816                         ; 0x211020
	;; [unrolled: 1-line block ×5, first 2 shown]
	.quad	18878497                        ; 0x1201021
	.quad	18879009                        ; 0x1201221
	;; [unrolled: 1-line block ×10, first 2 shown]
	.quad	2105344                         ; 0x202000
	.quad	2105346                         ; 0x202002
	;; [unrolled: 1-line block ×9, first 2 shown]
	.quad	18882817                        ; 0x1202101
	.quad	18948097                        ; 0x1212001
	;; [unrolled: 1-line block ×12, first 2 shown]
	.quad	2105873                         ; 0x202211
	.quad	2170897                         ; 0x212011
	;; [unrolled: 1-line block ×5, first 2 shown]
	.quad	18882834                        ; 0x1202112
	.quad	18883089                        ; 0x1202211
	;; [unrolled: 1-line block ×14, first 2 shown]
	.quad	2105376                         ; 0x202020
	.quad	2105378                         ; 0x202022
	;; [unrolled: 1-line block ×8, first 2 shown]
	.quad	18882849                        ; 0x1202121
	.quad	18948129                        ; 0x1212021
	;; [unrolled: 1-line block ×14, first 2 shown]
	.quad	268435713                       ; 0x10000101
	.quad	268500993                       ; 0x10010001
	;; [unrolled: 1-line block ×1419, first 2 shown]
	.size	_ZL13iq1s_grid_gpu, 16384

	.type	_ZL13kvalues_iq4nl,@object      ; @_ZL13kvalues_iq4nl
	.section	.rodata.cst16,"aM",@progbits,16
	.p2align	4, 0x0
_ZL13kvalues_iq4nl:
	.ascii	"\201\230\255\277\317\335\352\366\001\r\031&5EYq"
	.size	_ZL13kvalues_iq4nl, 16

	.type	_ZL10iq3xs_grid,@object         ; @_ZL10iq3xs_grid
	.section	.rodata,"a",@progbits
	.p2align	4, 0x0
_ZL10iq3xs_grid:
	.long	67372036                        ; 0x4040404
	.long	67372044                        ; 0x404040c
	;; [unrolled: 1-line block ×109, first 2 shown]
	.long	201589764                       ; 0xc040404
	.long	201589772                       ; 0xc04040c
	;; [unrolled: 1-line block ×368, first 2 shown]
	.long	1040450564                      ; 0x3e040404
	.long	1040450596                      ; 0x3e040424
	.long	1040450622                      ; 0x3e04043e
	.long	1040454660                      ; 0x3e041404
	.long	1040454676                      ; 0x3e041414
	.long	1040456756                      ; 0x3e041c34
	.long	1040458756                      ; 0x3e042404
	.long	1040460836                      ; 0x3e042c24
	.long	1040462868                      ; 0x3e043414
	.long	1040974868                      ; 0x3e0c0414
	.long	1040976908                      ; 0x3e0c0c0c
	.long	1040978980                      ; 0x3e0c1424
	.long	1040983068                      ; 0x3e0c241c
	.long	1040983084                      ; 0x3e0c242c
	.long	1041499148                      ; 0x3e14040c
	.long	1041499172                      ; 0x3e140424
	.long	1041501188                      ; 0x3e140c04
	.long	1041501236                      ; 0x3e140c34
	.long	1041503244                      ; 0x3e14140c
	.long	1041505284                      ; 0x3e141c04
	.long	1041509388                      ; 0x3e142c0c
	.long	1042023444                      ; 0x3e1c0414
	.long	1042029588                      ; 0x3e1c1c14
	.long	1042029612                      ; 0x3e1c1c2c
	.long	1042033692                      ; 0x3e1c2c1c
	.long	1042547724                      ; 0x3e24040c
	.long	1042547756                      ; 0x3e24042c
	.long	1042549788                      ; 0x3e240c1c
	.long	1042551812                      ; 0x3e241404
	.long	1042557956                      ; 0x3e242c04
	.long	1043076116                      ; 0x3e2c1414
	.long	1043080212                      ; 0x3e2c2414
	.long	1043596308                      ; 0x3e340414
	.long	1043602444                      ; 0x3e341c0c
	.long	1044251652                      ; 0x3e3e0404
	.size	_ZL10iq3xs_grid, 2048

	.type	_ZL9iq2s_grid,@object           ; @_ZL9iq2s_grid
	.p2align	4, 0x0
_ZL9iq2s_grid:
	.quad	578721382704613384              ; 0x808080808080808
	.quad	578721382704613419              ; 0x80808080808082b
	;; [unrolled: 1-line block ×471, first 2 shown]
	.quad	1803700481349388313             ; 0x1908080808080819
	.quad	1803700481349392648             ; 0x1908080808081908
	;; [unrolled: 1-line block ×553, first 2 shown]
	.size	_ZL9iq2s_grid, 8192

	.type	_ZL8ksigns64,@object            ; @_ZL8ksigns64
	.p2align	4, 0x0
_ZL8ksigns64:
	.quad	0                               ; 0x0
	.quad	-72057594037927681              ; 0xff000000000000ff
	.quad	-72057594037862656              ; 0xff0000000000ff00
	.quad	65535                           ; 0xffff
	.quad	-72057594021216256              ; 0xff00000000ff0000
	.quad	16711935                        ; 0xff00ff
	.quad	16776960                        ; 0xffff00
	.quad	-72057594021150721              ; 0xff00000000ffffff
	.quad	-72057589759737856              ; 0xff000000ff000000
	.quad	4278190335                      ; 0xff0000ff
	.quad	4278255360                      ; 0xff00ff00
	.quad	-72057589759672321              ; 0xff000000ff00ffff
	.quad	4294901760                      ; 0xffff0000
	.quad	-72057589743025921              ; 0xff000000ffff00ff
	.quad	-72057589742960896              ; 0xff000000ffffff00
	.quad	4294967295                      ; 0xffffffff
	.quad	-72056498821267456              ; 0xff0000ff00000000
	.quad	1095216660735                   ; 0xff000000ff
	.quad	1095216725760                   ; 0xff0000ff00
	.quad	-72056498821201921              ; 0xff0000ff0000ffff
	.quad	1095233372160                   ; 0xff00ff0000
	.quad	-72056498804555521              ; 0xff0000ff00ff00ff
	.quad	-72056498804490496              ; 0xff0000ff00ffff00
	.quad	1095233437695                   ; 0xff00ffffff
	.quad	1099494850560                   ; 0xffff000000
	.quad	-72056494543077121              ; 0xff0000ffff0000ff
	.quad	-72056494543012096              ; 0xff0000ffff00ff00
	.quad	1099494916095                   ; 0xffff00ffff
	.quad	-72056494526365696              ; 0xff0000ffffff0000
	.quad	1099511562495                   ; 0xffffff00ff
	.quad	1099511627520                   ; 0xffffffff00
	.quad	-72056494526300161              ; 0xff0000ffffffffff
	.quad	-71777218572845056              ; 0xff00ff0000000000
	.quad	280375465083135                 ; 0xff00000000ff
	.quad	280375465148160                 ; 0xff000000ff00
	.quad	-71777218572779521              ; 0xff00ff000000ffff
	.quad	280375481794560                 ; 0xff0000ff0000
	.quad	-71777218556133121              ; 0xff00ff0000ff00ff
	.quad	-71777218556068096              ; 0xff00ff0000ffff00
	.quad	280375481860095                 ; 0xff0000ffffff
	.quad	280379743272960                 ; 0xff00ff000000
	.quad	-71777214294654721              ; 0xff00ff00ff0000ff
	.quad	-71777214294589696              ; 0xff00ff00ff00ff00
	.quad	280379743338495                 ; 0xff00ff00ffff
	.quad	-71777214277943296              ; 0xff00ff00ffff0000
	.quad	280379759984895                 ; 0xff00ffff00ff
	.quad	280379760049920                 ; 0xff00ffffff00
	.quad	-71777214277877761              ; 0xff00ff00ffffffff
	.quad	281470681743360                 ; 0xffff00000000
	.quad	-71776123356184321              ; 0xff00ffff000000ff
	.quad	-71776123356119296              ; 0xff00ffff0000ff00
	.quad	281470681808895                 ; 0xffff0000ffff
	.quad	-71776123339472896              ; 0xff00ffff00ff0000
	.quad	281470698455295                 ; 0xffff00ff00ff
	.quad	281470698520320                 ; 0xffff00ffff00
	.quad	-71776123339407361              ; 0xff00ffff00ffffff
	.quad	-71776119077994496              ; 0xff00ffffff000000
	.quad	281474959933695                 ; 0xffffff0000ff
	.quad	281474959998720                 ; 0xffffff00ff00
	.quad	-71776119077928961              ; 0xff00ffffff00ffff
	.quad	281474976645120                 ; 0xffffffff0000
	.quad	-71776119061282561              ; 0xff00ffffffff00ff
	.quad	-71776119061217536              ; 0xff00ffffffffff00
	.quad	281474976710655                 ; 0xffffffffffff
	.quad	-281474976710656                ; 0xffff000000000000
	.quad	71776119061217535               ; 0xff0000000000ff
	.quad	71776119061282560               ; 0xff00000000ff00
	.quad	-281474976645121                ; 0xffff00000000ffff
	.quad	71776119077928960               ; 0xff000000ff0000
	.quad	-281474959998721                ; 0xffff000000ff00ff
	.quad	-281474959933696                ; 0xffff000000ffff00
	.quad	71776119077994495               ; 0xff000000ffffff
	.quad	71776123339407360               ; 0xff0000ff000000
	.quad	-281470698520321                ; 0xffff0000ff0000ff
	.quad	-281470698455296                ; 0xffff0000ff00ff00
	.quad	71776123339472895               ; 0xff0000ff00ffff
	.quad	-281470681808896                ; 0xffff0000ffff0000
	.quad	71776123356119295               ; 0xff0000ffff00ff
	.quad	71776123356184320               ; 0xff0000ffffff00
	.quad	-281470681743361                ; 0xffff0000ffffffff
	.quad	71777214277877760               ; 0xff00ff00000000
	.quad	-280379760049921                ; 0xffff00ff000000ff
	.quad	-280379759984896                ; 0xffff00ff0000ff00
	.quad	71777214277943295               ; 0xff00ff0000ffff
	.quad	-280379743338496                ; 0xffff00ff00ff0000
	.quad	71777214294589695               ; 0xff00ff00ff00ff
	.quad	71777214294654720               ; 0xff00ff00ffff00
	.quad	-280379743272961                ; 0xffff00ff00ffffff
	.quad	-280375481860096                ; 0xffff00ffff000000
	.quad	71777218556068095               ; 0xff00ffff0000ff
	.quad	71777218556133120               ; 0xff00ffff00ff00
	.quad	-280375481794561                ; 0xffff00ffff00ffff
	.quad	71777218572779520               ; 0xff00ffffff0000
	.quad	-280375465148161                ; 0xffff00ffffff00ff
	.quad	-280375465083136                ; 0xffff00ffffffff00
	.quad	71777218572845055               ; 0xff00ffffffffff
	.quad	72056494526300160               ; 0xffff0000000000
	.quad	-1099511627521                  ; 0xffffff00000000ff
	.quad	-1099511562496                  ; 0xffffff000000ff00
	.quad	72056494526365695               ; 0xffff000000ffff
	.quad	-1099494916096                  ; 0xffffff0000ff0000
	.quad	72056494543012095               ; 0xffff0000ff00ff
	.quad	72056494543077120               ; 0xffff0000ffff00
	.quad	-1099494850561                  ; 0xffffff0000ffffff
	.quad	-1095233437696                  ; 0xffffff00ff000000
	.quad	72056498804490495               ; 0xffff00ff0000ff
	.quad	72056498804555520               ; 0xffff00ff00ff00
	.quad	-1095233372161                  ; 0xffffff00ff00ffff
	.quad	72056498821201920               ; 0xffff00ffff0000
	.quad	-1095216725761                  ; 0xffffff00ffff00ff
	.quad	-1095216660736                  ; 0xffffff00ffffff00
	.quad	72056498821267455               ; 0xffff00ffffffff
	.quad	-4294967296                     ; 0xffffffff00000000
	.quad	72057589742960895               ; 0xffffff000000ff
	.quad	72057589743025920               ; 0xffffff0000ff00
	.quad	-4294901761                     ; 0xffffffff0000ffff
	.quad	72057589759672320               ; 0xffffff00ff0000
	.quad	-4278255361                     ; 0xffffffff00ff00ff
	.quad	-4278190336                     ; 0xffffffff00ffff00
	.quad	72057589759737855               ; 0xffffff00ffffff
	.quad	72057594021150720               ; 0xffffffff000000
	.quad	-16776961                       ; 0xffffffffff0000ff
	.quad	-16711936                       ; 0xffffffffff00ff00
	.quad	72057594021216255               ; 0xffffffff00ffff
	.quad	-65536                          ; 0xffffffffffff0000
	.quad	72057594037862655               ; 0xffffffffff00ff
	.quad	72057594037927680               ; 0xffffffffffff00
	.quad	-1                              ; 0xffffffffffffffff
	.size	_ZL8ksigns64, 1024

	.type	__hip_cuid_64e980448b789a8f,@object ; @__hip_cuid_64e980448b789a8f
	.section	.bss,"aw",@nobits
	.globl	__hip_cuid_64e980448b789a8f
__hip_cuid_64e980448b789a8f:
	.byte	0                               ; 0x0
	.size	__hip_cuid_64e980448b789a8f, 1

	.ident	"AMD clang version 22.0.0git (https://github.com/RadeonOpenCompute/llvm-project roc-7.2.4 26084 f58b06dce1f9c15707c5f808fd002e18c2accf7e)"
	.section	".note.GNU-stack","",@progbits
	.addrsig
	.addrsig_sym __hip_cuid_64e980448b789a8f
	.amdgpu_metadata
---
amdhsa.kernels:
  - .args:
      - .actual_access:  read_only
        .address_space:  global
        .offset:         0
        .size:           8
        .value_kind:     global_buffer
      - .actual_access:  write_only
        .address_space:  global
        .offset:         8
        .size:           8
        .value_kind:     global_buffer
      - .offset:         16
        .size:           4
        .value_kind:     by_value
      - .offset:         24
        .size:           4
        .value_kind:     hidden_block_count_x
      - .offset:         28
        .size:           4
        .value_kind:     hidden_block_count_y
      - .offset:         32
        .size:           4
        .value_kind:     hidden_block_count_z
      - .offset:         36
        .size:           2
        .value_kind:     hidden_group_size_x
      - .offset:         38
        .size:           2
        .value_kind:     hidden_group_size_y
      - .offset:         40
        .size:           2
        .value_kind:     hidden_group_size_z
      - .offset:         42
        .size:           2
        .value_kind:     hidden_remainder_x
      - .offset:         44
        .size:           2
        .value_kind:     hidden_remainder_y
      - .offset:         46
        .size:           2
        .value_kind:     hidden_remainder_z
      - .offset:         64
        .size:           8
        .value_kind:     hidden_global_offset_x
      - .offset:         72
        .size:           8
        .value_kind:     hidden_global_offset_y
      - .offset:         80
        .size:           8
        .value_kind:     hidden_global_offset_z
      - .offset:         88
        .size:           2
        .value_kind:     hidden_grid_dims
    .group_segment_fixed_size: 0
    .kernarg_segment_align: 8
    .kernarg_segment_size: 280
    .language:       OpenCL C
    .language_version:
      - 2
      - 0
    .max_flat_workgroup_size: 1024
    .name:           _ZL16dequantize_blockILi32ELi2EXadL_ZL15dequantize_q4_0PKviiR7__half2EEfEvS1_PT2_i
    .private_segment_fixed_size: 0
    .sgpr_count:     11
    .sgpr_spill_count: 0
    .symbol:         _ZL16dequantize_blockILi32ELi2EXadL_ZL15dequantize_q4_0PKviiR7__half2EEfEvS1_PT2_i.kd
    .uniform_work_group_size: 1
    .uses_dynamic_stack: false
    .vgpr_count:     8
    .vgpr_spill_count: 0
    .wavefront_size: 64
  - .args:
      - .actual_access:  read_only
        .address_space:  global
        .offset:         0
        .size:           8
        .value_kind:     global_buffer
      - .actual_access:  write_only
        .address_space:  global
        .offset:         8
        .size:           8
        .value_kind:     global_buffer
      - .offset:         16
        .size:           4
        .value_kind:     by_value
      - .offset:         24
        .size:           4
        .value_kind:     hidden_block_count_x
      - .offset:         28
        .size:           4
        .value_kind:     hidden_block_count_y
      - .offset:         32
        .size:           4
        .value_kind:     hidden_block_count_z
      - .offset:         36
        .size:           2
        .value_kind:     hidden_group_size_x
      - .offset:         38
        .size:           2
        .value_kind:     hidden_group_size_y
      - .offset:         40
        .size:           2
        .value_kind:     hidden_group_size_z
      - .offset:         42
        .size:           2
        .value_kind:     hidden_remainder_x
      - .offset:         44
        .size:           2
        .value_kind:     hidden_remainder_y
      - .offset:         46
        .size:           2
        .value_kind:     hidden_remainder_z
      - .offset:         64
        .size:           8
        .value_kind:     hidden_global_offset_x
      - .offset:         72
        .size:           8
        .value_kind:     hidden_global_offset_y
      - .offset:         80
        .size:           8
        .value_kind:     hidden_global_offset_z
      - .offset:         88
        .size:           2
        .value_kind:     hidden_grid_dims
    .group_segment_fixed_size: 0
    .kernarg_segment_align: 8
    .kernarg_segment_size: 280
    .language:       OpenCL C
    .language_version:
      - 2
      - 0
    .max_flat_workgroup_size: 1024
    .name:           _ZL16dequantize_blockILi32ELi2EXadL_ZL15dequantize_q4_1PKviiR7__half2EEfEvS1_PT2_i
    .private_segment_fixed_size: 0
    .sgpr_count:     11
    .sgpr_spill_count: 0
    .symbol:         _ZL16dequantize_blockILi32ELi2EXadL_ZL15dequantize_q4_1PKviiR7__half2EEfEvS1_PT2_i.kd
    .uniform_work_group_size: 1
    .uses_dynamic_stack: false
    .vgpr_count:     8
    .vgpr_spill_count: 0
    .wavefront_size: 64
  - .args:
      - .actual_access:  read_only
        .address_space:  global
        .offset:         0
        .size:           8
        .value_kind:     global_buffer
      - .actual_access:  write_only
        .address_space:  global
        .offset:         8
        .size:           8
        .value_kind:     global_buffer
      - .offset:         16
        .size:           4
        .value_kind:     by_value
      - .offset:         24
        .size:           4
        .value_kind:     hidden_block_count_x
      - .offset:         28
        .size:           4
        .value_kind:     hidden_block_count_y
      - .offset:         32
        .size:           4
        .value_kind:     hidden_block_count_z
      - .offset:         36
        .size:           2
        .value_kind:     hidden_group_size_x
      - .offset:         38
        .size:           2
        .value_kind:     hidden_group_size_y
      - .offset:         40
        .size:           2
        .value_kind:     hidden_group_size_z
      - .offset:         42
        .size:           2
        .value_kind:     hidden_remainder_x
      - .offset:         44
        .size:           2
        .value_kind:     hidden_remainder_y
      - .offset:         46
        .size:           2
        .value_kind:     hidden_remainder_z
      - .offset:         64
        .size:           8
        .value_kind:     hidden_global_offset_x
      - .offset:         72
        .size:           8
        .value_kind:     hidden_global_offset_y
      - .offset:         80
        .size:           8
        .value_kind:     hidden_global_offset_z
      - .offset:         88
        .size:           2
        .value_kind:     hidden_grid_dims
    .group_segment_fixed_size: 0
    .kernarg_segment_align: 8
    .kernarg_segment_size: 280
    .language:       OpenCL C
    .language_version:
      - 2
      - 0
    .max_flat_workgroup_size: 1024
    .name:           _ZL16dequantize_blockILi32ELi2EXadL_ZL15dequantize_q5_0PKviiR7__half2EEfEvS1_PT2_i
    .private_segment_fixed_size: 0
    .sgpr_count:     11
    .sgpr_spill_count: 0
    .symbol:         _ZL16dequantize_blockILi32ELi2EXadL_ZL15dequantize_q5_0PKviiR7__half2EEfEvS1_PT2_i.kd
    .uniform_work_group_size: 1
    .uses_dynamic_stack: false
    .vgpr_count:     9
    .vgpr_spill_count: 0
    .wavefront_size: 64
  - .args:
      - .actual_access:  read_only
        .address_space:  global
        .offset:         0
        .size:           8
        .value_kind:     global_buffer
      - .actual_access:  write_only
        .address_space:  global
        .offset:         8
        .size:           8
        .value_kind:     global_buffer
      - .offset:         16
        .size:           4
        .value_kind:     by_value
      - .offset:         24
        .size:           4
        .value_kind:     hidden_block_count_x
      - .offset:         28
        .size:           4
        .value_kind:     hidden_block_count_y
      - .offset:         32
        .size:           4
        .value_kind:     hidden_block_count_z
      - .offset:         36
        .size:           2
        .value_kind:     hidden_group_size_x
      - .offset:         38
        .size:           2
        .value_kind:     hidden_group_size_y
      - .offset:         40
        .size:           2
        .value_kind:     hidden_group_size_z
      - .offset:         42
        .size:           2
        .value_kind:     hidden_remainder_x
      - .offset:         44
        .size:           2
        .value_kind:     hidden_remainder_y
      - .offset:         46
        .size:           2
        .value_kind:     hidden_remainder_z
      - .offset:         64
        .size:           8
        .value_kind:     hidden_global_offset_x
      - .offset:         72
        .size:           8
        .value_kind:     hidden_global_offset_y
      - .offset:         80
        .size:           8
        .value_kind:     hidden_global_offset_z
      - .offset:         88
        .size:           2
        .value_kind:     hidden_grid_dims
    .group_segment_fixed_size: 0
    .kernarg_segment_align: 8
    .kernarg_segment_size: 280
    .language:       OpenCL C
    .language_version:
      - 2
      - 0
    .max_flat_workgroup_size: 1024
    .name:           _ZL16dequantize_blockILi32ELi2EXadL_ZL15dequantize_q5_1PKviiR7__half2EEfEvS1_PT2_i
    .private_segment_fixed_size: 0
    .sgpr_count:     11
    .sgpr_spill_count: 0
    .symbol:         _ZL16dequantize_blockILi32ELi2EXadL_ZL15dequantize_q5_1PKviiR7__half2EEfEvS1_PT2_i.kd
    .uniform_work_group_size: 1
    .uses_dynamic_stack: false
    .vgpr_count:     9
    .vgpr_spill_count: 0
    .wavefront_size: 64
  - .args:
      - .actual_access:  read_only
        .address_space:  global
        .offset:         0
        .size:           8
        .value_kind:     global_buffer
      - .actual_access:  write_only
        .address_space:  global
        .offset:         8
        .size:           8
        .value_kind:     global_buffer
      - .offset:         16
        .size:           4
        .value_kind:     by_value
      - .offset:         24
        .size:           4
        .value_kind:     hidden_block_count_x
      - .offset:         28
        .size:           4
        .value_kind:     hidden_block_count_y
      - .offset:         32
        .size:           4
        .value_kind:     hidden_block_count_z
      - .offset:         36
        .size:           2
        .value_kind:     hidden_group_size_x
      - .offset:         38
        .size:           2
        .value_kind:     hidden_group_size_y
      - .offset:         40
        .size:           2
        .value_kind:     hidden_group_size_z
      - .offset:         42
        .size:           2
        .value_kind:     hidden_remainder_x
      - .offset:         44
        .size:           2
        .value_kind:     hidden_remainder_y
      - .offset:         46
        .size:           2
        .value_kind:     hidden_remainder_z
      - .offset:         64
        .size:           8
        .value_kind:     hidden_global_offset_x
      - .offset:         72
        .size:           8
        .value_kind:     hidden_global_offset_y
      - .offset:         80
        .size:           8
        .value_kind:     hidden_global_offset_z
      - .offset:         88
        .size:           2
        .value_kind:     hidden_grid_dims
    .group_segment_fixed_size: 0
    .kernarg_segment_align: 8
    .kernarg_segment_size: 280
    .language:       OpenCL C
    .language_version:
      - 2
      - 0
    .max_flat_workgroup_size: 1024
    .name:           _ZL16dequantize_blockILi32ELi1EXadL_ZL15dequantize_q8_0PKviiR7__half2EEfEvS1_PT2_i
    .private_segment_fixed_size: 0
    .sgpr_count:     11
    .sgpr_spill_count: 0
    .symbol:         _ZL16dequantize_blockILi32ELi1EXadL_ZL15dequantize_q8_0PKviiR7__half2EEfEvS1_PT2_i.kd
    .uniform_work_group_size: 1
    .uses_dynamic_stack: false
    .vgpr_count:     8
    .vgpr_spill_count: 0
    .wavefront_size: 64
  - .args:
      - .actual_access:  read_only
        .address_space:  global
        .offset:         0
        .size:           8
        .value_kind:     global_buffer
      - .actual_access:  write_only
        .address_space:  global
        .offset:         8
        .size:           8
        .value_kind:     global_buffer
    .group_segment_fixed_size: 0
    .kernarg_segment_align: 8
    .kernarg_segment_size: 16
    .language:       OpenCL C
    .language_version:
      - 2
      - 0
    .max_flat_workgroup_size: 1024
    .name:           _ZL21dequantize_block_q2_KIfEvPKvPT_
    .private_segment_fixed_size: 0
    .sgpr_count:     11
    .sgpr_spill_count: 0
    .symbol:         _ZL21dequantize_block_q2_KIfEvPKvPT_.kd
    .uniform_work_group_size: 1
    .uses_dynamic_stack: false
    .vgpr_count:     14
    .vgpr_spill_count: 0
    .wavefront_size: 64
  - .args:
      - .actual_access:  read_only
        .address_space:  global
        .offset:         0
        .size:           8
        .value_kind:     global_buffer
      - .actual_access:  write_only
        .address_space:  global
        .offset:         8
        .size:           8
        .value_kind:     global_buffer
    .group_segment_fixed_size: 0
    .kernarg_segment_align: 8
    .kernarg_segment_size: 16
    .language:       OpenCL C
    .language_version:
      - 2
      - 0
    .max_flat_workgroup_size: 1024
    .name:           _ZL21dequantize_block_q3_KIfEvPKvPT_
    .private_segment_fixed_size: 0
    .sgpr_count:     16
    .sgpr_spill_count: 0
    .symbol:         _ZL21dequantize_block_q3_KIfEvPKvPT_.kd
    .uniform_work_group_size: 1
    .uses_dynamic_stack: false
    .vgpr_count:     14
    .vgpr_spill_count: 0
    .wavefront_size: 64
  - .args:
      - .actual_access:  read_only
        .address_space:  global
        .offset:         0
        .size:           8
        .value_kind:     global_buffer
      - .actual_access:  write_only
        .address_space:  global
        .offset:         8
        .size:           8
        .value_kind:     global_buffer
    .group_segment_fixed_size: 0
    .kernarg_segment_align: 8
    .kernarg_segment_size: 16
    .language:       OpenCL C
    .language_version:
      - 2
      - 0
    .max_flat_workgroup_size: 1024
    .name:           _ZL21dequantize_block_q4_KIfEvPKvPT_
    .private_segment_fixed_size: 0
    .sgpr_count:     12
    .sgpr_spill_count: 0
    .symbol:         _ZL21dequantize_block_q4_KIfEvPKvPT_.kd
    .uniform_work_group_size: 1
    .uses_dynamic_stack: false
    .vgpr_count:     16
    .vgpr_spill_count: 0
    .wavefront_size: 64
  - .args:
      - .actual_access:  read_only
        .address_space:  global
        .offset:         0
        .size:           8
        .value_kind:     global_buffer
      - .actual_access:  write_only
        .address_space:  global
        .offset:         8
        .size:           8
        .value_kind:     global_buffer
    .group_segment_fixed_size: 0
    .kernarg_segment_align: 8
    .kernarg_segment_size: 16
    .language:       OpenCL C
    .language_version:
      - 2
      - 0
    .max_flat_workgroup_size: 1024
    .name:           _ZL21dequantize_block_q5_KIfEvPKvPT_
    .private_segment_fixed_size: 0
    .sgpr_count:     12
    .sgpr_spill_count: 0
    .symbol:         _ZL21dequantize_block_q5_KIfEvPKvPT_.kd
    .uniform_work_group_size: 1
    .uses_dynamic_stack: false
    .vgpr_count:     16
    .vgpr_spill_count: 0
    .wavefront_size: 64
  - .args:
      - .actual_access:  read_only
        .address_space:  global
        .offset:         0
        .size:           8
        .value_kind:     global_buffer
      - .actual_access:  write_only
        .address_space:  global
        .offset:         8
        .size:           8
        .value_kind:     global_buffer
    .group_segment_fixed_size: 0
    .kernarg_segment_align: 8
    .kernarg_segment_size: 16
    .language:       OpenCL C
    .language_version:
      - 2
      - 0
    .max_flat_workgroup_size: 1024
    .name:           _ZL21dequantize_block_q6_KIfEvPKvPT_
    .private_segment_fixed_size: 0
    .sgpr_count:     11
    .sgpr_spill_count: 0
    .symbol:         _ZL21dequantize_block_q6_KIfEvPKvPT_.kd
    .uniform_work_group_size: 1
    .uses_dynamic_stack: false
    .vgpr_count:     16
    .vgpr_spill_count: 0
    .wavefront_size: 64
  - .args:
      - .actual_access:  read_only
        .address_space:  global
        .offset:         0
        .size:           8
        .value_kind:     global_buffer
      - .actual_access:  write_only
        .address_space:  global
        .offset:         8
        .size:           8
        .value_kind:     global_buffer
    .group_segment_fixed_size: 0
    .kernarg_segment_align: 8
    .kernarg_segment_size: 16
    .language:       OpenCL C
    .language_version:
      - 2
      - 0
    .max_flat_workgroup_size: 1024
    .name:           _ZL24dequantize_block_iq2_xxsIfEvPKvPT_
    .private_segment_fixed_size: 0
    .sgpr_count:     11
    .sgpr_spill_count: 0
    .symbol:         _ZL24dequantize_block_iq2_xxsIfEvPKvPT_.kd
    .uniform_work_group_size: 1
    .uses_dynamic_stack: false
    .vgpr_count:     21
    .vgpr_spill_count: 0
    .wavefront_size: 64
  - .args:
      - .actual_access:  read_only
        .address_space:  global
        .offset:         0
        .size:           8
        .value_kind:     global_buffer
      - .actual_access:  write_only
        .address_space:  global
        .offset:         8
        .size:           8
        .value_kind:     global_buffer
    .group_segment_fixed_size: 0
    .kernarg_segment_align: 8
    .kernarg_segment_size: 16
    .language:       OpenCL C
    .language_version:
      - 2
      - 0
    .max_flat_workgroup_size: 1024
    .name:           _ZL23dequantize_block_iq2_xsIfEvPKvPT_
    .private_segment_fixed_size: 0
    .sgpr_count:     13
    .sgpr_spill_count: 0
    .symbol:         _ZL23dequantize_block_iq2_xsIfEvPKvPT_.kd
    .uniform_work_group_size: 1
    .uses_dynamic_stack: false
    .vgpr_count:     20
    .vgpr_spill_count: 0
    .wavefront_size: 64
  - .args:
      - .actual_access:  read_only
        .address_space:  global
        .offset:         0
        .size:           8
        .value_kind:     global_buffer
      - .actual_access:  write_only
        .address_space:  global
        .offset:         8
        .size:           8
        .value_kind:     global_buffer
    .group_segment_fixed_size: 0
    .kernarg_segment_align: 8
    .kernarg_segment_size: 16
    .language:       OpenCL C
    .language_version:
      - 2
      - 0
    .max_flat_workgroup_size: 1024
    .name:           _ZL24dequantize_block_iq3_xxsIfEvPKvPT_
    .private_segment_fixed_size: 0
    .sgpr_count:     11
    .sgpr_spill_count: 0
    .symbol:         _ZL24dequantize_block_iq3_xxsIfEvPKvPT_.kd
    .uniform_work_group_size: 1
    .uses_dynamic_stack: false
    .vgpr_count:     21
    .vgpr_spill_count: 0
    .wavefront_size: 64
  - .args:
      - .actual_access:  read_only
        .address_space:  global
        .offset:         0
        .size:           8
        .value_kind:     global_buffer
      - .actual_access:  write_only
        .address_space:  global
        .offset:         8
        .size:           8
        .value_kind:     global_buffer
    .group_segment_fixed_size: 0
    .kernarg_segment_align: 8
    .kernarg_segment_size: 16
    .language:       OpenCL C
    .language_version:
      - 2
      - 0
    .max_flat_workgroup_size: 1024
    .name:           _ZL22dequantize_block_iq1_sIfEvPKvPT_
    .private_segment_fixed_size: 0
    .sgpr_count:     12
    .sgpr_spill_count: 0
    .symbol:         _ZL22dequantize_block_iq1_sIfEvPKvPT_.kd
    .uniform_work_group_size: 1
    .uses_dynamic_stack: false
    .vgpr_count:     14
    .vgpr_spill_count: 0
    .wavefront_size: 64
  - .args:
      - .actual_access:  read_only
        .address_space:  global
        .offset:         0
        .size:           8
        .value_kind:     global_buffer
      - .actual_access:  write_only
        .address_space:  global
        .offset:         8
        .size:           8
        .value_kind:     global_buffer
    .group_segment_fixed_size: 0
    .kernarg_segment_align: 8
    .kernarg_segment_size: 16
    .language:       OpenCL C
    .language_version:
      - 2
      - 0
    .max_flat_workgroup_size: 1024
    .name:           _ZL23dequantize_block_iq4_nlIfEvPKvPT_
    .private_segment_fixed_size: 0
    .sgpr_count:     11
    .sgpr_spill_count: 0
    .symbol:         _ZL23dequantize_block_iq4_nlIfEvPKvPT_.kd
    .uniform_work_group_size: 1
    .uses_dynamic_stack: false
    .vgpr_count:     20
    .vgpr_spill_count: 0
    .wavefront_size: 64
  - .args:
      - .actual_access:  read_only
        .address_space:  global
        .offset:         0
        .size:           8
        .value_kind:     global_buffer
      - .actual_access:  write_only
        .address_space:  global
        .offset:         8
        .size:           8
        .value_kind:     global_buffer
    .group_segment_fixed_size: 0
    .kernarg_segment_align: 8
    .kernarg_segment_size: 16
    .language:       OpenCL C
    .language_version:
      - 2
      - 0
    .max_flat_workgroup_size: 1024
    .name:           _ZL22dequantize_block_iq3_sIfEvPKvPT_
    .private_segment_fixed_size: 0
    .sgpr_count:     11
    .sgpr_spill_count: 0
    .symbol:         _ZL22dequantize_block_iq3_sIfEvPKvPT_.kd
    .uniform_work_group_size: 1
    .uses_dynamic_stack: false
    .vgpr_count:     21
    .vgpr_spill_count: 0
    .wavefront_size: 64
  - .args:
      - .actual_access:  read_only
        .address_space:  global
        .offset:         0
        .size:           8
        .value_kind:     global_buffer
      - .actual_access:  write_only
        .address_space:  global
        .offset:         8
        .size:           8
        .value_kind:     global_buffer
    .group_segment_fixed_size: 0
    .kernarg_segment_align: 8
    .kernarg_segment_size: 16
    .language:       OpenCL C
    .language_version:
      - 2
      - 0
    .max_flat_workgroup_size: 1024
    .name:           _ZL22dequantize_block_iq2_sIfEvPKvPT_
    .private_segment_fixed_size: 0
    .sgpr_count:     11
    .sgpr_spill_count: 0
    .symbol:         _ZL22dequantize_block_iq2_sIfEvPKvPT_.kd
    .uniform_work_group_size: 1
    .uses_dynamic_stack: false
    .vgpr_count:     21
    .vgpr_spill_count: 0
    .wavefront_size: 64
  - .args:
      - .actual_access:  read_only
        .address_space:  global
        .offset:         0
        .size:           8
        .value_kind:     global_buffer
      - .actual_access:  write_only
        .address_space:  global
        .offset:         8
        .size:           8
        .value_kind:     global_buffer
    .group_segment_fixed_size: 0
    .kernarg_segment_align: 8
    .kernarg_segment_size: 16
    .language:       OpenCL C
    .language_version:
      - 2
      - 0
    .max_flat_workgroup_size: 1024
    .name:           _ZL23dequantize_block_iq4_xsIfEvPKvPT_
    .private_segment_fixed_size: 0
    .sgpr_count:     11
    .sgpr_spill_count: 0
    .symbol:         _ZL23dequantize_block_iq4_xsIfEvPKvPT_.kd
    .uniform_work_group_size: 1
    .uses_dynamic_stack: false
    .vgpr_count:     21
    .vgpr_spill_count: 0
    .wavefront_size: 64
  - .args:
      - .actual_access:  read_only
        .address_space:  global
        .offset:         0
        .size:           8
        .value_kind:     global_buffer
      - .actual_access:  write_only
        .address_space:  global
        .offset:         8
        .size:           8
        .value_kind:     global_buffer
    .group_segment_fixed_size: 0
    .kernarg_segment_align: 8
    .kernarg_segment_size: 16
    .language:       OpenCL C
    .language_version:
      - 2
      - 0
    .max_flat_workgroup_size: 1024
    .name:           _ZL22dequantize_block_iq1_mIfEvPKvPT_
    .private_segment_fixed_size: 0
    .sgpr_count:     12
    .sgpr_spill_count: 0
    .symbol:         _ZL22dequantize_block_iq1_mIfEvPKvPT_.kd
    .uniform_work_group_size: 1
    .uses_dynamic_stack: false
    .vgpr_count:     13
    .vgpr_spill_count: 0
    .wavefront_size: 64
  - .args:
      - .actual_access:  read_only
        .address_space:  global
        .offset:         0
        .size:           8
        .value_kind:     global_buffer
      - .actual_access:  write_only
        .address_space:  global
        .offset:         8
        .size:           8
        .value_kind:     global_buffer
      - .offset:         16
        .size:           4
        .value_kind:     by_value
      - .offset:         24
        .size:           4
        .value_kind:     hidden_block_count_x
      - .offset:         28
        .size:           4
        .value_kind:     hidden_block_count_y
      - .offset:         32
        .size:           4
        .value_kind:     hidden_block_count_z
      - .offset:         36
        .size:           2
        .value_kind:     hidden_group_size_x
      - .offset:         38
        .size:           2
        .value_kind:     hidden_group_size_y
      - .offset:         40
        .size:           2
        .value_kind:     hidden_group_size_z
      - .offset:         42
        .size:           2
        .value_kind:     hidden_remainder_x
      - .offset:         44
        .size:           2
        .value_kind:     hidden_remainder_y
      - .offset:         46
        .size:           2
        .value_kind:     hidden_remainder_z
      - .offset:         64
        .size:           8
        .value_kind:     hidden_global_offset_x
      - .offset:         72
        .size:           8
        .value_kind:     hidden_global_offset_y
      - .offset:         80
        .size:           8
        .value_kind:     hidden_global_offset_z
      - .offset:         88
        .size:           2
        .value_kind:     hidden_grid_dims
    .group_segment_fixed_size: 0
    .kernarg_segment_align: 8
    .kernarg_segment_size: 280
    .language:       OpenCL C
    .language_version:
      - 2
      - 0
    .max_flat_workgroup_size: 1024
    .name:           _ZL16dequantize_blockILi32ELi2EXadL_ZL15dequantize_q4_0PKviiR7__half2EEN3c104HalfEEvS1_PT2_i
    .private_segment_fixed_size: 0
    .sgpr_count:     11
    .sgpr_spill_count: 0
    .symbol:         _ZL16dequantize_blockILi32ELi2EXadL_ZL15dequantize_q4_0PKviiR7__half2EEN3c104HalfEEvS1_PT2_i.kd
    .uniform_work_group_size: 1
    .uses_dynamic_stack: false
    .vgpr_count:     8
    .vgpr_spill_count: 0
    .wavefront_size: 64
  - .args:
      - .actual_access:  read_only
        .address_space:  global
        .offset:         0
        .size:           8
        .value_kind:     global_buffer
      - .actual_access:  write_only
        .address_space:  global
        .offset:         8
        .size:           8
        .value_kind:     global_buffer
      - .offset:         16
        .size:           4
        .value_kind:     by_value
      - .offset:         24
        .size:           4
        .value_kind:     hidden_block_count_x
      - .offset:         28
        .size:           4
        .value_kind:     hidden_block_count_y
      - .offset:         32
        .size:           4
        .value_kind:     hidden_block_count_z
      - .offset:         36
        .size:           2
        .value_kind:     hidden_group_size_x
      - .offset:         38
        .size:           2
        .value_kind:     hidden_group_size_y
      - .offset:         40
        .size:           2
        .value_kind:     hidden_group_size_z
      - .offset:         42
        .size:           2
        .value_kind:     hidden_remainder_x
      - .offset:         44
        .size:           2
        .value_kind:     hidden_remainder_y
      - .offset:         46
        .size:           2
        .value_kind:     hidden_remainder_z
      - .offset:         64
        .size:           8
        .value_kind:     hidden_global_offset_x
      - .offset:         72
        .size:           8
        .value_kind:     hidden_global_offset_y
      - .offset:         80
        .size:           8
        .value_kind:     hidden_global_offset_z
      - .offset:         88
        .size:           2
        .value_kind:     hidden_grid_dims
    .group_segment_fixed_size: 0
    .kernarg_segment_align: 8
    .kernarg_segment_size: 280
    .language:       OpenCL C
    .language_version:
      - 2
      - 0
    .max_flat_workgroup_size: 1024
    .name:           _ZL16dequantize_blockILi32ELi2EXadL_ZL15dequantize_q4_1PKviiR7__half2EEN3c104HalfEEvS1_PT2_i
    .private_segment_fixed_size: 0
    .sgpr_count:     11
    .sgpr_spill_count: 0
    .symbol:         _ZL16dequantize_blockILi32ELi2EXadL_ZL15dequantize_q4_1PKviiR7__half2EEN3c104HalfEEvS1_PT2_i.kd
    .uniform_work_group_size: 1
    .uses_dynamic_stack: false
    .vgpr_count:     8
    .vgpr_spill_count: 0
    .wavefront_size: 64
  - .args:
      - .actual_access:  read_only
        .address_space:  global
        .offset:         0
        .size:           8
        .value_kind:     global_buffer
      - .actual_access:  write_only
        .address_space:  global
        .offset:         8
        .size:           8
        .value_kind:     global_buffer
      - .offset:         16
        .size:           4
        .value_kind:     by_value
      - .offset:         24
        .size:           4
        .value_kind:     hidden_block_count_x
      - .offset:         28
        .size:           4
        .value_kind:     hidden_block_count_y
      - .offset:         32
        .size:           4
        .value_kind:     hidden_block_count_z
      - .offset:         36
        .size:           2
        .value_kind:     hidden_group_size_x
      - .offset:         38
        .size:           2
        .value_kind:     hidden_group_size_y
      - .offset:         40
        .size:           2
        .value_kind:     hidden_group_size_z
      - .offset:         42
        .size:           2
        .value_kind:     hidden_remainder_x
      - .offset:         44
        .size:           2
        .value_kind:     hidden_remainder_y
      - .offset:         46
        .size:           2
        .value_kind:     hidden_remainder_z
      - .offset:         64
        .size:           8
        .value_kind:     hidden_global_offset_x
      - .offset:         72
        .size:           8
        .value_kind:     hidden_global_offset_y
      - .offset:         80
        .size:           8
        .value_kind:     hidden_global_offset_z
      - .offset:         88
        .size:           2
        .value_kind:     hidden_grid_dims
    .group_segment_fixed_size: 0
    .kernarg_segment_align: 8
    .kernarg_segment_size: 280
    .language:       OpenCL C
    .language_version:
      - 2
      - 0
    .max_flat_workgroup_size: 1024
    .name:           _ZL16dequantize_blockILi32ELi2EXadL_ZL15dequantize_q5_0PKviiR7__half2EEN3c104HalfEEvS1_PT2_i
    .private_segment_fixed_size: 0
    .sgpr_count:     11
    .sgpr_spill_count: 0
    .symbol:         _ZL16dequantize_blockILi32ELi2EXadL_ZL15dequantize_q5_0PKviiR7__half2EEN3c104HalfEEvS1_PT2_i.kd
    .uniform_work_group_size: 1
    .uses_dynamic_stack: false
    .vgpr_count:     9
    .vgpr_spill_count: 0
    .wavefront_size: 64
  - .args:
      - .actual_access:  read_only
        .address_space:  global
        .offset:         0
        .size:           8
        .value_kind:     global_buffer
      - .actual_access:  write_only
        .address_space:  global
        .offset:         8
        .size:           8
        .value_kind:     global_buffer
      - .offset:         16
        .size:           4
        .value_kind:     by_value
      - .offset:         24
        .size:           4
        .value_kind:     hidden_block_count_x
      - .offset:         28
        .size:           4
        .value_kind:     hidden_block_count_y
      - .offset:         32
        .size:           4
        .value_kind:     hidden_block_count_z
      - .offset:         36
        .size:           2
        .value_kind:     hidden_group_size_x
      - .offset:         38
        .size:           2
        .value_kind:     hidden_group_size_y
      - .offset:         40
        .size:           2
        .value_kind:     hidden_group_size_z
      - .offset:         42
        .size:           2
        .value_kind:     hidden_remainder_x
      - .offset:         44
        .size:           2
        .value_kind:     hidden_remainder_y
      - .offset:         46
        .size:           2
        .value_kind:     hidden_remainder_z
      - .offset:         64
        .size:           8
        .value_kind:     hidden_global_offset_x
      - .offset:         72
        .size:           8
        .value_kind:     hidden_global_offset_y
      - .offset:         80
        .size:           8
        .value_kind:     hidden_global_offset_z
      - .offset:         88
        .size:           2
        .value_kind:     hidden_grid_dims
    .group_segment_fixed_size: 0
    .kernarg_segment_align: 8
    .kernarg_segment_size: 280
    .language:       OpenCL C
    .language_version:
      - 2
      - 0
    .max_flat_workgroup_size: 1024
    .name:           _ZL16dequantize_blockILi32ELi2EXadL_ZL15dequantize_q5_1PKviiR7__half2EEN3c104HalfEEvS1_PT2_i
    .private_segment_fixed_size: 0
    .sgpr_count:     11
    .sgpr_spill_count: 0
    .symbol:         _ZL16dequantize_blockILi32ELi2EXadL_ZL15dequantize_q5_1PKviiR7__half2EEN3c104HalfEEvS1_PT2_i.kd
    .uniform_work_group_size: 1
    .uses_dynamic_stack: false
    .vgpr_count:     9
    .vgpr_spill_count: 0
    .wavefront_size: 64
  - .args:
      - .actual_access:  read_only
        .address_space:  global
        .offset:         0
        .size:           8
        .value_kind:     global_buffer
      - .actual_access:  write_only
        .address_space:  global
        .offset:         8
        .size:           8
        .value_kind:     global_buffer
      - .offset:         16
        .size:           4
        .value_kind:     by_value
      - .offset:         24
        .size:           4
        .value_kind:     hidden_block_count_x
      - .offset:         28
        .size:           4
        .value_kind:     hidden_block_count_y
      - .offset:         32
        .size:           4
        .value_kind:     hidden_block_count_z
      - .offset:         36
        .size:           2
        .value_kind:     hidden_group_size_x
      - .offset:         38
        .size:           2
        .value_kind:     hidden_group_size_y
      - .offset:         40
        .size:           2
        .value_kind:     hidden_group_size_z
      - .offset:         42
        .size:           2
        .value_kind:     hidden_remainder_x
      - .offset:         44
        .size:           2
        .value_kind:     hidden_remainder_y
      - .offset:         46
        .size:           2
        .value_kind:     hidden_remainder_z
      - .offset:         64
        .size:           8
        .value_kind:     hidden_global_offset_x
      - .offset:         72
        .size:           8
        .value_kind:     hidden_global_offset_y
      - .offset:         80
        .size:           8
        .value_kind:     hidden_global_offset_z
      - .offset:         88
        .size:           2
        .value_kind:     hidden_grid_dims
    .group_segment_fixed_size: 0
    .kernarg_segment_align: 8
    .kernarg_segment_size: 280
    .language:       OpenCL C
    .language_version:
      - 2
      - 0
    .max_flat_workgroup_size: 1024
    .name:           _ZL16dequantize_blockILi32ELi1EXadL_ZL15dequantize_q8_0PKviiR7__half2EEN3c104HalfEEvS1_PT2_i
    .private_segment_fixed_size: 0
    .sgpr_count:     11
    .sgpr_spill_count: 0
    .symbol:         _ZL16dequantize_blockILi32ELi1EXadL_ZL15dequantize_q8_0PKviiR7__half2EEN3c104HalfEEvS1_PT2_i.kd
    .uniform_work_group_size: 1
    .uses_dynamic_stack: false
    .vgpr_count:     8
    .vgpr_spill_count: 0
    .wavefront_size: 64
  - .args:
      - .actual_access:  read_only
        .address_space:  global
        .offset:         0
        .size:           8
        .value_kind:     global_buffer
      - .actual_access:  write_only
        .address_space:  global
        .offset:         8
        .size:           8
        .value_kind:     global_buffer
    .group_segment_fixed_size: 0
    .kernarg_segment_align: 8
    .kernarg_segment_size: 16
    .language:       OpenCL C
    .language_version:
      - 2
      - 0
    .max_flat_workgroup_size: 1024
    .name:           _ZL21dequantize_block_q2_KIN3c104HalfEEvPKvPT_
    .private_segment_fixed_size: 0
    .sgpr_count:     11
    .sgpr_spill_count: 0
    .symbol:         _ZL21dequantize_block_q2_KIN3c104HalfEEvPKvPT_.kd
    .uniform_work_group_size: 1
    .uses_dynamic_stack: false
    .vgpr_count:     14
    .vgpr_spill_count: 0
    .wavefront_size: 64
  - .args:
      - .actual_access:  read_only
        .address_space:  global
        .offset:         0
        .size:           8
        .value_kind:     global_buffer
      - .actual_access:  write_only
        .address_space:  global
        .offset:         8
        .size:           8
        .value_kind:     global_buffer
    .group_segment_fixed_size: 0
    .kernarg_segment_align: 8
    .kernarg_segment_size: 16
    .language:       OpenCL C
    .language_version:
      - 2
      - 0
    .max_flat_workgroup_size: 1024
    .name:           _ZL21dequantize_block_q3_KIN3c104HalfEEvPKvPT_
    .private_segment_fixed_size: 0
    .sgpr_count:     16
    .sgpr_spill_count: 0
    .symbol:         _ZL21dequantize_block_q3_KIN3c104HalfEEvPKvPT_.kd
    .uniform_work_group_size: 1
    .uses_dynamic_stack: false
    .vgpr_count:     15
    .vgpr_spill_count: 0
    .wavefront_size: 64
  - .args:
      - .actual_access:  read_only
        .address_space:  global
        .offset:         0
        .size:           8
        .value_kind:     global_buffer
      - .actual_access:  write_only
        .address_space:  global
        .offset:         8
        .size:           8
        .value_kind:     global_buffer
    .group_segment_fixed_size: 0
    .kernarg_segment_align: 8
    .kernarg_segment_size: 16
    .language:       OpenCL C
    .language_version:
      - 2
      - 0
    .max_flat_workgroup_size: 1024
    .name:           _ZL21dequantize_block_q4_KIN3c104HalfEEvPKvPT_
    .private_segment_fixed_size: 0
    .sgpr_count:     12
    .sgpr_spill_count: 0
    .symbol:         _ZL21dequantize_block_q4_KIN3c104HalfEEvPKvPT_.kd
    .uniform_work_group_size: 1
    .uses_dynamic_stack: false
    .vgpr_count:     14
    .vgpr_spill_count: 0
    .wavefront_size: 64
  - .args:
      - .actual_access:  read_only
        .address_space:  global
        .offset:         0
        .size:           8
        .value_kind:     global_buffer
      - .actual_access:  write_only
        .address_space:  global
        .offset:         8
        .size:           8
        .value_kind:     global_buffer
    .group_segment_fixed_size: 0
    .kernarg_segment_align: 8
    .kernarg_segment_size: 16
    .language:       OpenCL C
    .language_version:
      - 2
      - 0
    .max_flat_workgroup_size: 1024
    .name:           _ZL21dequantize_block_q5_KIN3c104HalfEEvPKvPT_
    .private_segment_fixed_size: 0
    .sgpr_count:     12
    .sgpr_spill_count: 0
    .symbol:         _ZL21dequantize_block_q5_KIN3c104HalfEEvPKvPT_.kd
    .uniform_work_group_size: 1
    .uses_dynamic_stack: false
    .vgpr_count:     16
    .vgpr_spill_count: 0
    .wavefront_size: 64
  - .args:
      - .actual_access:  read_only
        .address_space:  global
        .offset:         0
        .size:           8
        .value_kind:     global_buffer
      - .actual_access:  write_only
        .address_space:  global
        .offset:         8
        .size:           8
        .value_kind:     global_buffer
    .group_segment_fixed_size: 0
    .kernarg_segment_align: 8
    .kernarg_segment_size: 16
    .language:       OpenCL C
    .language_version:
      - 2
      - 0
    .max_flat_workgroup_size: 1024
    .name:           _ZL21dequantize_block_q6_KIN3c104HalfEEvPKvPT_
    .private_segment_fixed_size: 0
    .sgpr_count:     11
    .sgpr_spill_count: 0
    .symbol:         _ZL21dequantize_block_q6_KIN3c104HalfEEvPKvPT_.kd
    .uniform_work_group_size: 1
    .uses_dynamic_stack: false
    .vgpr_count:     16
    .vgpr_spill_count: 0
    .wavefront_size: 64
  - .args:
      - .actual_access:  read_only
        .address_space:  global
        .offset:         0
        .size:           8
        .value_kind:     global_buffer
      - .actual_access:  write_only
        .address_space:  global
        .offset:         8
        .size:           8
        .value_kind:     global_buffer
    .group_segment_fixed_size: 0
    .kernarg_segment_align: 8
    .kernarg_segment_size: 16
    .language:       OpenCL C
    .language_version:
      - 2
      - 0
    .max_flat_workgroup_size: 1024
    .name:           _ZL24dequantize_block_iq2_xxsIN3c104HalfEEvPKvPT_
    .private_segment_fixed_size: 0
    .sgpr_count:     11
    .sgpr_spill_count: 0
    .symbol:         _ZL24dequantize_block_iq2_xxsIN3c104HalfEEvPKvPT_.kd
    .uniform_work_group_size: 1
    .uses_dynamic_stack: false
    .vgpr_count:     19
    .vgpr_spill_count: 0
    .wavefront_size: 64
  - .args:
      - .actual_access:  read_only
        .address_space:  global
        .offset:         0
        .size:           8
        .value_kind:     global_buffer
      - .actual_access:  write_only
        .address_space:  global
        .offset:         8
        .size:           8
        .value_kind:     global_buffer
    .group_segment_fixed_size: 0
    .kernarg_segment_align: 8
    .kernarg_segment_size: 16
    .language:       OpenCL C
    .language_version:
      - 2
      - 0
    .max_flat_workgroup_size: 1024
    .name:           _ZL23dequantize_block_iq2_xsIN3c104HalfEEvPKvPT_
    .private_segment_fixed_size: 0
    .sgpr_count:     13
    .sgpr_spill_count: 0
    .symbol:         _ZL23dequantize_block_iq2_xsIN3c104HalfEEvPKvPT_.kd
    .uniform_work_group_size: 1
    .uses_dynamic_stack: false
    .vgpr_count:     19
    .vgpr_spill_count: 0
    .wavefront_size: 64
  - .args:
      - .actual_access:  read_only
        .address_space:  global
        .offset:         0
        .size:           8
        .value_kind:     global_buffer
      - .actual_access:  write_only
        .address_space:  global
        .offset:         8
        .size:           8
        .value_kind:     global_buffer
    .group_segment_fixed_size: 0
    .kernarg_segment_align: 8
    .kernarg_segment_size: 16
    .language:       OpenCL C
    .language_version:
      - 2
      - 0
    .max_flat_workgroup_size: 1024
    .name:           _ZL24dequantize_block_iq3_xxsIN3c104HalfEEvPKvPT_
    .private_segment_fixed_size: 0
    .sgpr_count:     11
    .sgpr_spill_count: 0
    .symbol:         _ZL24dequantize_block_iq3_xxsIN3c104HalfEEvPKvPT_.kd
    .uniform_work_group_size: 1
    .uses_dynamic_stack: false
    .vgpr_count:     19
    .vgpr_spill_count: 0
    .wavefront_size: 64
  - .args:
      - .actual_access:  read_only
        .address_space:  global
        .offset:         0
        .size:           8
        .value_kind:     global_buffer
      - .actual_access:  write_only
        .address_space:  global
        .offset:         8
        .size:           8
        .value_kind:     global_buffer
    .group_segment_fixed_size: 0
    .kernarg_segment_align: 8
    .kernarg_segment_size: 16
    .language:       OpenCL C
    .language_version:
      - 2
      - 0
    .max_flat_workgroup_size: 1024
    .name:           _ZL22dequantize_block_iq1_sIN3c104HalfEEvPKvPT_
    .private_segment_fixed_size: 0
    .sgpr_count:     12
    .sgpr_spill_count: 0
    .symbol:         _ZL22dequantize_block_iq1_sIN3c104HalfEEvPKvPT_.kd
    .uniform_work_group_size: 1
    .uses_dynamic_stack: false
    .vgpr_count:     13
    .vgpr_spill_count: 0
    .wavefront_size: 64
  - .args:
      - .actual_access:  read_only
        .address_space:  global
        .offset:         0
        .size:           8
        .value_kind:     global_buffer
      - .actual_access:  write_only
        .address_space:  global
        .offset:         8
        .size:           8
        .value_kind:     global_buffer
    .group_segment_fixed_size: 0
    .kernarg_segment_align: 8
    .kernarg_segment_size: 16
    .language:       OpenCL C
    .language_version:
      - 2
      - 0
    .max_flat_workgroup_size: 1024
    .name:           _ZL23dequantize_block_iq4_nlIN3c104HalfEEvPKvPT_
    .private_segment_fixed_size: 0
    .sgpr_count:     11
    .sgpr_spill_count: 0
    .symbol:         _ZL23dequantize_block_iq4_nlIN3c104HalfEEvPKvPT_.kd
    .uniform_work_group_size: 1
    .uses_dynamic_stack: false
    .vgpr_count:     18
    .vgpr_spill_count: 0
    .wavefront_size: 64
  - .args:
      - .actual_access:  read_only
        .address_space:  global
        .offset:         0
        .size:           8
        .value_kind:     global_buffer
      - .actual_access:  write_only
        .address_space:  global
        .offset:         8
        .size:           8
        .value_kind:     global_buffer
    .group_segment_fixed_size: 0
    .kernarg_segment_align: 8
    .kernarg_segment_size: 16
    .language:       OpenCL C
    .language_version:
      - 2
      - 0
    .max_flat_workgroup_size: 1024
    .name:           _ZL22dequantize_block_iq3_sIN3c104HalfEEvPKvPT_
    .private_segment_fixed_size: 0
    .sgpr_count:     11
    .sgpr_spill_count: 0
    .symbol:         _ZL22dequantize_block_iq3_sIN3c104HalfEEvPKvPT_.kd
    .uniform_work_group_size: 1
    .uses_dynamic_stack: false
    .vgpr_count:     19
    .vgpr_spill_count: 0
    .wavefront_size: 64
  - .args:
      - .actual_access:  read_only
        .address_space:  global
        .offset:         0
        .size:           8
        .value_kind:     global_buffer
      - .actual_access:  write_only
        .address_space:  global
        .offset:         8
        .size:           8
        .value_kind:     global_buffer
    .group_segment_fixed_size: 0
    .kernarg_segment_align: 8
    .kernarg_segment_size: 16
    .language:       OpenCL C
    .language_version:
      - 2
      - 0
    .max_flat_workgroup_size: 1024
    .name:           _ZL22dequantize_block_iq2_sIN3c104HalfEEvPKvPT_
    .private_segment_fixed_size: 0
    .sgpr_count:     11
    .sgpr_spill_count: 0
    .symbol:         _ZL22dequantize_block_iq2_sIN3c104HalfEEvPKvPT_.kd
    .uniform_work_group_size: 1
    .uses_dynamic_stack: false
    .vgpr_count:     19
    .vgpr_spill_count: 0
    .wavefront_size: 64
  - .args:
      - .actual_access:  read_only
        .address_space:  global
        .offset:         0
        .size:           8
        .value_kind:     global_buffer
      - .actual_access:  write_only
        .address_space:  global
        .offset:         8
        .size:           8
        .value_kind:     global_buffer
    .group_segment_fixed_size: 0
    .kernarg_segment_align: 8
    .kernarg_segment_size: 16
    .language:       OpenCL C
    .language_version:
      - 2
      - 0
    .max_flat_workgroup_size: 1024
    .name:           _ZL23dequantize_block_iq4_xsIN3c104HalfEEvPKvPT_
    .private_segment_fixed_size: 0
    .sgpr_count:     11
    .sgpr_spill_count: 0
    .symbol:         _ZL23dequantize_block_iq4_xsIN3c104HalfEEvPKvPT_.kd
    .uniform_work_group_size: 1
    .uses_dynamic_stack: false
    .vgpr_count:     20
    .vgpr_spill_count: 0
    .wavefront_size: 64
  - .args:
      - .actual_access:  read_only
        .address_space:  global
        .offset:         0
        .size:           8
        .value_kind:     global_buffer
      - .actual_access:  write_only
        .address_space:  global
        .offset:         8
        .size:           8
        .value_kind:     global_buffer
    .group_segment_fixed_size: 0
    .kernarg_segment_align: 8
    .kernarg_segment_size: 16
    .language:       OpenCL C
    .language_version:
      - 2
      - 0
    .max_flat_workgroup_size: 1024
    .name:           _ZL22dequantize_block_iq1_mIN3c104HalfEEvPKvPT_
    .private_segment_fixed_size: 0
    .sgpr_count:     12
    .sgpr_spill_count: 0
    .symbol:         _ZL22dequantize_block_iq1_mIN3c104HalfEEvPKvPT_.kd
    .uniform_work_group_size: 1
    .uses_dynamic_stack: false
    .vgpr_count:     13
    .vgpr_spill_count: 0
    .wavefront_size: 64
  - .args:
      - .actual_access:  read_only
        .address_space:  global
        .offset:         0
        .size:           8
        .value_kind:     global_buffer
      - .actual_access:  write_only
        .address_space:  global
        .offset:         8
        .size:           8
        .value_kind:     global_buffer
      - .offset:         16
        .size:           4
        .value_kind:     by_value
      - .offset:         24
        .size:           4
        .value_kind:     hidden_block_count_x
      - .offset:         28
        .size:           4
        .value_kind:     hidden_block_count_y
      - .offset:         32
        .size:           4
        .value_kind:     hidden_block_count_z
      - .offset:         36
        .size:           2
        .value_kind:     hidden_group_size_x
      - .offset:         38
        .size:           2
        .value_kind:     hidden_group_size_y
      - .offset:         40
        .size:           2
        .value_kind:     hidden_group_size_z
      - .offset:         42
        .size:           2
        .value_kind:     hidden_remainder_x
      - .offset:         44
        .size:           2
        .value_kind:     hidden_remainder_y
      - .offset:         46
        .size:           2
        .value_kind:     hidden_remainder_z
      - .offset:         64
        .size:           8
        .value_kind:     hidden_global_offset_x
      - .offset:         72
        .size:           8
        .value_kind:     hidden_global_offset_y
      - .offset:         80
        .size:           8
        .value_kind:     hidden_global_offset_z
      - .offset:         88
        .size:           2
        .value_kind:     hidden_grid_dims
    .group_segment_fixed_size: 0
    .kernarg_segment_align: 8
    .kernarg_segment_size: 280
    .language:       OpenCL C
    .language_version:
      - 2
      - 0
    .max_flat_workgroup_size: 1024
    .name:           _ZL16dequantize_blockILi32ELi2EXadL_ZL15dequantize_q4_0PKviiR7__half2EEN3c108BFloat16EEvS1_PT2_i
    .private_segment_fixed_size: 0
    .sgpr_count:     11
    .sgpr_spill_count: 0
    .symbol:         _ZL16dequantize_blockILi32ELi2EXadL_ZL15dequantize_q4_0PKviiR7__half2EEN3c108BFloat16EEvS1_PT2_i.kd
    .uniform_work_group_size: 1
    .uses_dynamic_stack: false
    .vgpr_count:     8
    .vgpr_spill_count: 0
    .wavefront_size: 64
  - .args:
      - .actual_access:  read_only
        .address_space:  global
        .offset:         0
        .size:           8
        .value_kind:     global_buffer
      - .actual_access:  write_only
        .address_space:  global
        .offset:         8
        .size:           8
        .value_kind:     global_buffer
      - .offset:         16
        .size:           4
        .value_kind:     by_value
      - .offset:         24
        .size:           4
        .value_kind:     hidden_block_count_x
      - .offset:         28
        .size:           4
        .value_kind:     hidden_block_count_y
      - .offset:         32
        .size:           4
        .value_kind:     hidden_block_count_z
      - .offset:         36
        .size:           2
        .value_kind:     hidden_group_size_x
      - .offset:         38
        .size:           2
        .value_kind:     hidden_group_size_y
      - .offset:         40
        .size:           2
        .value_kind:     hidden_group_size_z
      - .offset:         42
        .size:           2
        .value_kind:     hidden_remainder_x
      - .offset:         44
        .size:           2
        .value_kind:     hidden_remainder_y
      - .offset:         46
        .size:           2
        .value_kind:     hidden_remainder_z
      - .offset:         64
        .size:           8
        .value_kind:     hidden_global_offset_x
      - .offset:         72
        .size:           8
        .value_kind:     hidden_global_offset_y
      - .offset:         80
        .size:           8
        .value_kind:     hidden_global_offset_z
      - .offset:         88
        .size:           2
        .value_kind:     hidden_grid_dims
    .group_segment_fixed_size: 0
    .kernarg_segment_align: 8
    .kernarg_segment_size: 280
    .language:       OpenCL C
    .language_version:
      - 2
      - 0
    .max_flat_workgroup_size: 1024
    .name:           _ZL16dequantize_blockILi32ELi2EXadL_ZL15dequantize_q4_1PKviiR7__half2EEN3c108BFloat16EEvS1_PT2_i
    .private_segment_fixed_size: 0
    .sgpr_count:     11
    .sgpr_spill_count: 0
    .symbol:         _ZL16dequantize_blockILi32ELi2EXadL_ZL15dequantize_q4_1PKviiR7__half2EEN3c108BFloat16EEvS1_PT2_i.kd
    .uniform_work_group_size: 1
    .uses_dynamic_stack: false
    .vgpr_count:     9
    .vgpr_spill_count: 0
    .wavefront_size: 64
  - .args:
      - .actual_access:  read_only
        .address_space:  global
        .offset:         0
        .size:           8
        .value_kind:     global_buffer
      - .actual_access:  write_only
        .address_space:  global
        .offset:         8
        .size:           8
        .value_kind:     global_buffer
      - .offset:         16
        .size:           4
        .value_kind:     by_value
      - .offset:         24
        .size:           4
        .value_kind:     hidden_block_count_x
      - .offset:         28
        .size:           4
        .value_kind:     hidden_block_count_y
      - .offset:         32
        .size:           4
        .value_kind:     hidden_block_count_z
      - .offset:         36
        .size:           2
        .value_kind:     hidden_group_size_x
      - .offset:         38
        .size:           2
        .value_kind:     hidden_group_size_y
      - .offset:         40
        .size:           2
        .value_kind:     hidden_group_size_z
      - .offset:         42
        .size:           2
        .value_kind:     hidden_remainder_x
      - .offset:         44
        .size:           2
        .value_kind:     hidden_remainder_y
      - .offset:         46
        .size:           2
        .value_kind:     hidden_remainder_z
      - .offset:         64
        .size:           8
        .value_kind:     hidden_global_offset_x
      - .offset:         72
        .size:           8
        .value_kind:     hidden_global_offset_y
      - .offset:         80
        .size:           8
        .value_kind:     hidden_global_offset_z
      - .offset:         88
        .size:           2
        .value_kind:     hidden_grid_dims
    .group_segment_fixed_size: 0
    .kernarg_segment_align: 8
    .kernarg_segment_size: 280
    .language:       OpenCL C
    .language_version:
      - 2
      - 0
    .max_flat_workgroup_size: 1024
    .name:           _ZL16dequantize_blockILi32ELi2EXadL_ZL15dequantize_q5_0PKviiR7__half2EEN3c108BFloat16EEvS1_PT2_i
    .private_segment_fixed_size: 0
    .sgpr_count:     11
    .sgpr_spill_count: 0
    .symbol:         _ZL16dequantize_blockILi32ELi2EXadL_ZL15dequantize_q5_0PKviiR7__half2EEN3c108BFloat16EEvS1_PT2_i.kd
    .uniform_work_group_size: 1
    .uses_dynamic_stack: false
    .vgpr_count:     10
    .vgpr_spill_count: 0
    .wavefront_size: 64
  - .args:
      - .actual_access:  read_only
        .address_space:  global
        .offset:         0
        .size:           8
        .value_kind:     global_buffer
      - .actual_access:  write_only
        .address_space:  global
        .offset:         8
        .size:           8
        .value_kind:     global_buffer
      - .offset:         16
        .size:           4
        .value_kind:     by_value
      - .offset:         24
        .size:           4
        .value_kind:     hidden_block_count_x
      - .offset:         28
        .size:           4
        .value_kind:     hidden_block_count_y
      - .offset:         32
        .size:           4
        .value_kind:     hidden_block_count_z
      - .offset:         36
        .size:           2
        .value_kind:     hidden_group_size_x
      - .offset:         38
        .size:           2
        .value_kind:     hidden_group_size_y
      - .offset:         40
        .size:           2
        .value_kind:     hidden_group_size_z
      - .offset:         42
        .size:           2
        .value_kind:     hidden_remainder_x
      - .offset:         44
        .size:           2
        .value_kind:     hidden_remainder_y
      - .offset:         46
        .size:           2
        .value_kind:     hidden_remainder_z
      - .offset:         64
        .size:           8
        .value_kind:     hidden_global_offset_x
      - .offset:         72
        .size:           8
        .value_kind:     hidden_global_offset_y
      - .offset:         80
        .size:           8
        .value_kind:     hidden_global_offset_z
      - .offset:         88
        .size:           2
        .value_kind:     hidden_grid_dims
    .group_segment_fixed_size: 0
    .kernarg_segment_align: 8
    .kernarg_segment_size: 280
    .language:       OpenCL C
    .language_version:
      - 2
      - 0
    .max_flat_workgroup_size: 1024
    .name:           _ZL16dequantize_blockILi32ELi2EXadL_ZL15dequantize_q5_1PKviiR7__half2EEN3c108BFloat16EEvS1_PT2_i
    .private_segment_fixed_size: 0
    .sgpr_count:     11
    .sgpr_spill_count: 0
    .symbol:         _ZL16dequantize_blockILi32ELi2EXadL_ZL15dequantize_q5_1PKviiR7__half2EEN3c108BFloat16EEvS1_PT2_i.kd
    .uniform_work_group_size: 1
    .uses_dynamic_stack: false
    .vgpr_count:     10
    .vgpr_spill_count: 0
    .wavefront_size: 64
  - .args:
      - .actual_access:  read_only
        .address_space:  global
        .offset:         0
        .size:           8
        .value_kind:     global_buffer
      - .actual_access:  write_only
        .address_space:  global
        .offset:         8
        .size:           8
        .value_kind:     global_buffer
      - .offset:         16
        .size:           4
        .value_kind:     by_value
      - .offset:         24
        .size:           4
        .value_kind:     hidden_block_count_x
      - .offset:         28
        .size:           4
        .value_kind:     hidden_block_count_y
      - .offset:         32
        .size:           4
        .value_kind:     hidden_block_count_z
      - .offset:         36
        .size:           2
        .value_kind:     hidden_group_size_x
      - .offset:         38
        .size:           2
        .value_kind:     hidden_group_size_y
      - .offset:         40
        .size:           2
        .value_kind:     hidden_group_size_z
      - .offset:         42
        .size:           2
        .value_kind:     hidden_remainder_x
      - .offset:         44
        .size:           2
        .value_kind:     hidden_remainder_y
      - .offset:         46
        .size:           2
        .value_kind:     hidden_remainder_z
      - .offset:         64
        .size:           8
        .value_kind:     hidden_global_offset_x
      - .offset:         72
        .size:           8
        .value_kind:     hidden_global_offset_y
      - .offset:         80
        .size:           8
        .value_kind:     hidden_global_offset_z
      - .offset:         88
        .size:           2
        .value_kind:     hidden_grid_dims
    .group_segment_fixed_size: 0
    .kernarg_segment_align: 8
    .kernarg_segment_size: 280
    .language:       OpenCL C
    .language_version:
      - 2
      - 0
    .max_flat_workgroup_size: 1024
    .name:           _ZL16dequantize_blockILi32ELi1EXadL_ZL15dequantize_q8_0PKviiR7__half2EEN3c108BFloat16EEvS1_PT2_i
    .private_segment_fixed_size: 0
    .sgpr_count:     11
    .sgpr_spill_count: 0
    .symbol:         _ZL16dequantize_blockILi32ELi1EXadL_ZL15dequantize_q8_0PKviiR7__half2EEN3c108BFloat16EEvS1_PT2_i.kd
    .uniform_work_group_size: 1
    .uses_dynamic_stack: false
    .vgpr_count:     8
    .vgpr_spill_count: 0
    .wavefront_size: 64
  - .args:
      - .actual_access:  read_only
        .address_space:  global
        .offset:         0
        .size:           8
        .value_kind:     global_buffer
      - .actual_access:  write_only
        .address_space:  global
        .offset:         8
        .size:           8
        .value_kind:     global_buffer
    .group_segment_fixed_size: 0
    .kernarg_segment_align: 8
    .kernarg_segment_size: 16
    .language:       OpenCL C
    .language_version:
      - 2
      - 0
    .max_flat_workgroup_size: 1024
    .name:           _ZL21dequantize_block_q2_KIN3c108BFloat16EEvPKvPT_
    .private_segment_fixed_size: 0
    .sgpr_count:     11
    .sgpr_spill_count: 0
    .symbol:         _ZL21dequantize_block_q2_KIN3c108BFloat16EEvPKvPT_.kd
    .uniform_work_group_size: 1
    .uses_dynamic_stack: false
    .vgpr_count:     15
    .vgpr_spill_count: 0
    .wavefront_size: 64
  - .args:
      - .actual_access:  read_only
        .address_space:  global
        .offset:         0
        .size:           8
        .value_kind:     global_buffer
      - .actual_access:  write_only
        .address_space:  global
        .offset:         8
        .size:           8
        .value_kind:     global_buffer
    .group_segment_fixed_size: 0
    .kernarg_segment_align: 8
    .kernarg_segment_size: 16
    .language:       OpenCL C
    .language_version:
      - 2
      - 0
    .max_flat_workgroup_size: 1024
    .name:           _ZL21dequantize_block_q3_KIN3c108BFloat16EEvPKvPT_
    .private_segment_fixed_size: 0
    .sgpr_count:     16
    .sgpr_spill_count: 0
    .symbol:         _ZL21dequantize_block_q3_KIN3c108BFloat16EEvPKvPT_.kd
    .uniform_work_group_size: 1
    .uses_dynamic_stack: false
    .vgpr_count:     16
    .vgpr_spill_count: 0
    .wavefront_size: 64
  - .args:
      - .actual_access:  read_only
        .address_space:  global
        .offset:         0
        .size:           8
        .value_kind:     global_buffer
      - .actual_access:  write_only
        .address_space:  global
        .offset:         8
        .size:           8
        .value_kind:     global_buffer
    .group_segment_fixed_size: 0
    .kernarg_segment_align: 8
    .kernarg_segment_size: 16
    .language:       OpenCL C
    .language_version:
      - 2
      - 0
    .max_flat_workgroup_size: 1024
    .name:           _ZL21dequantize_block_q4_KIN3c108BFloat16EEvPKvPT_
    .private_segment_fixed_size: 0
    .sgpr_count:     12
    .sgpr_spill_count: 0
    .symbol:         _ZL21dequantize_block_q4_KIN3c108BFloat16EEvPKvPT_.kd
    .uniform_work_group_size: 1
    .uses_dynamic_stack: false
    .vgpr_count:     20
    .vgpr_spill_count: 0
    .wavefront_size: 64
  - .args:
      - .actual_access:  read_only
        .address_space:  global
        .offset:         0
        .size:           8
        .value_kind:     global_buffer
      - .actual_access:  write_only
        .address_space:  global
        .offset:         8
        .size:           8
        .value_kind:     global_buffer
    .group_segment_fixed_size: 0
    .kernarg_segment_align: 8
    .kernarg_segment_size: 16
    .language:       OpenCL C
    .language_version:
      - 2
      - 0
    .max_flat_workgroup_size: 1024
    .name:           _ZL21dequantize_block_q5_KIN3c108BFloat16EEvPKvPT_
    .private_segment_fixed_size: 0
    .sgpr_count:     12
    .sgpr_spill_count: 0
    .symbol:         _ZL21dequantize_block_q5_KIN3c108BFloat16EEvPKvPT_.kd
    .uniform_work_group_size: 1
    .uses_dynamic_stack: false
    .vgpr_count:     18
    .vgpr_spill_count: 0
    .wavefront_size: 64
  - .args:
      - .actual_access:  read_only
        .address_space:  global
        .offset:         0
        .size:           8
        .value_kind:     global_buffer
      - .actual_access:  write_only
        .address_space:  global
        .offset:         8
        .size:           8
        .value_kind:     global_buffer
    .group_segment_fixed_size: 0
    .kernarg_segment_align: 8
    .kernarg_segment_size: 16
    .language:       OpenCL C
    .language_version:
      - 2
      - 0
    .max_flat_workgroup_size: 1024
    .name:           _ZL21dequantize_block_q6_KIN3c108BFloat16EEvPKvPT_
    .private_segment_fixed_size: 0
    .sgpr_count:     11
    .sgpr_spill_count: 0
    .symbol:         _ZL21dequantize_block_q6_KIN3c108BFloat16EEvPKvPT_.kd
    .uniform_work_group_size: 1
    .uses_dynamic_stack: false
    .vgpr_count:     17
    .vgpr_spill_count: 0
    .wavefront_size: 64
  - .args:
      - .actual_access:  read_only
        .address_space:  global
        .offset:         0
        .size:           8
        .value_kind:     global_buffer
      - .actual_access:  write_only
        .address_space:  global
        .offset:         8
        .size:           8
        .value_kind:     global_buffer
    .group_segment_fixed_size: 0
    .kernarg_segment_align: 8
    .kernarg_segment_size: 16
    .language:       OpenCL C
    .language_version:
      - 2
      - 0
    .max_flat_workgroup_size: 1024
    .name:           _ZL24dequantize_block_iq2_xxsIN3c108BFloat16EEvPKvPT_
    .private_segment_fixed_size: 0
    .sgpr_count:     11
    .sgpr_spill_count: 0
    .symbol:         _ZL24dequantize_block_iq2_xxsIN3c108BFloat16EEvPKvPT_.kd
    .uniform_work_group_size: 1
    .uses_dynamic_stack: false
    .vgpr_count:     20
    .vgpr_spill_count: 0
    .wavefront_size: 64
  - .args:
      - .actual_access:  read_only
        .address_space:  global
        .offset:         0
        .size:           8
        .value_kind:     global_buffer
      - .actual_access:  write_only
        .address_space:  global
        .offset:         8
        .size:           8
        .value_kind:     global_buffer
    .group_segment_fixed_size: 0
    .kernarg_segment_align: 8
    .kernarg_segment_size: 16
    .language:       OpenCL C
    .language_version:
      - 2
      - 0
    .max_flat_workgroup_size: 1024
    .name:           _ZL23dequantize_block_iq2_xsIN3c108BFloat16EEvPKvPT_
    .private_segment_fixed_size: 0
    .sgpr_count:     13
    .sgpr_spill_count: 0
    .symbol:         _ZL23dequantize_block_iq2_xsIN3c108BFloat16EEvPKvPT_.kd
    .uniform_work_group_size: 1
    .uses_dynamic_stack: false
    .vgpr_count:     20
    .vgpr_spill_count: 0
    .wavefront_size: 64
  - .args:
      - .actual_access:  read_only
        .address_space:  global
        .offset:         0
        .size:           8
        .value_kind:     global_buffer
      - .actual_access:  write_only
        .address_space:  global
        .offset:         8
        .size:           8
        .value_kind:     global_buffer
    .group_segment_fixed_size: 0
    .kernarg_segment_align: 8
    .kernarg_segment_size: 16
    .language:       OpenCL C
    .language_version:
      - 2
      - 0
    .max_flat_workgroup_size: 1024
    .name:           _ZL24dequantize_block_iq3_xxsIN3c108BFloat16EEvPKvPT_
    .private_segment_fixed_size: 0
    .sgpr_count:     11
    .sgpr_spill_count: 0
    .symbol:         _ZL24dequantize_block_iq3_xxsIN3c108BFloat16EEvPKvPT_.kd
    .uniform_work_group_size: 1
    .uses_dynamic_stack: false
    .vgpr_count:     20
    .vgpr_spill_count: 0
    .wavefront_size: 64
  - .args:
      - .actual_access:  read_only
        .address_space:  global
        .offset:         0
        .size:           8
        .value_kind:     global_buffer
      - .actual_access:  write_only
        .address_space:  global
        .offset:         8
        .size:           8
        .value_kind:     global_buffer
    .group_segment_fixed_size: 0
    .kernarg_segment_align: 8
    .kernarg_segment_size: 16
    .language:       OpenCL C
    .language_version:
      - 2
      - 0
    .max_flat_workgroup_size: 1024
    .name:           _ZL22dequantize_block_iq1_sIN3c108BFloat16EEvPKvPT_
    .private_segment_fixed_size: 0
    .sgpr_count:     12
    .sgpr_spill_count: 0
    .symbol:         _ZL22dequantize_block_iq1_sIN3c108BFloat16EEvPKvPT_.kd
    .uniform_work_group_size: 1
    .uses_dynamic_stack: false
    .vgpr_count:     19
    .vgpr_spill_count: 0
    .wavefront_size: 64
  - .args:
      - .actual_access:  read_only
        .address_space:  global
        .offset:         0
        .size:           8
        .value_kind:     global_buffer
      - .actual_access:  write_only
        .address_space:  global
        .offset:         8
        .size:           8
        .value_kind:     global_buffer
    .group_segment_fixed_size: 0
    .kernarg_segment_align: 8
    .kernarg_segment_size: 16
    .language:       OpenCL C
    .language_version:
      - 2
      - 0
    .max_flat_workgroup_size: 1024
    .name:           _ZL23dequantize_block_iq4_nlIN3c108BFloat16EEvPKvPT_
    .private_segment_fixed_size: 0
    .sgpr_count:     11
    .sgpr_spill_count: 0
    .symbol:         _ZL23dequantize_block_iq4_nlIN3c108BFloat16EEvPKvPT_.kd
    .uniform_work_group_size: 1
    .uses_dynamic_stack: false
    .vgpr_count:     18
    .vgpr_spill_count: 0
    .wavefront_size: 64
  - .args:
      - .actual_access:  read_only
        .address_space:  global
        .offset:         0
        .size:           8
        .value_kind:     global_buffer
      - .actual_access:  write_only
        .address_space:  global
        .offset:         8
        .size:           8
        .value_kind:     global_buffer
    .group_segment_fixed_size: 0
    .kernarg_segment_align: 8
    .kernarg_segment_size: 16
    .language:       OpenCL C
    .language_version:
      - 2
      - 0
    .max_flat_workgroup_size: 1024
    .name:           _ZL22dequantize_block_iq3_sIN3c108BFloat16EEvPKvPT_
    .private_segment_fixed_size: 0
    .sgpr_count:     11
    .sgpr_spill_count: 0
    .symbol:         _ZL22dequantize_block_iq3_sIN3c108BFloat16EEvPKvPT_.kd
    .uniform_work_group_size: 1
    .uses_dynamic_stack: false
    .vgpr_count:     20
    .vgpr_spill_count: 0
    .wavefront_size: 64
  - .args:
      - .actual_access:  read_only
        .address_space:  global
        .offset:         0
        .size:           8
        .value_kind:     global_buffer
      - .actual_access:  write_only
        .address_space:  global
        .offset:         8
        .size:           8
        .value_kind:     global_buffer
    .group_segment_fixed_size: 0
    .kernarg_segment_align: 8
    .kernarg_segment_size: 16
    .language:       OpenCL C
    .language_version:
      - 2
      - 0
    .max_flat_workgroup_size: 1024
    .name:           _ZL22dequantize_block_iq2_sIN3c108BFloat16EEvPKvPT_
    .private_segment_fixed_size: 0
    .sgpr_count:     11
    .sgpr_spill_count: 0
    .symbol:         _ZL22dequantize_block_iq2_sIN3c108BFloat16EEvPKvPT_.kd
    .uniform_work_group_size: 1
    .uses_dynamic_stack: false
    .vgpr_count:     20
    .vgpr_spill_count: 0
    .wavefront_size: 64
  - .args:
      - .actual_access:  read_only
        .address_space:  global
        .offset:         0
        .size:           8
        .value_kind:     global_buffer
      - .actual_access:  write_only
        .address_space:  global
        .offset:         8
        .size:           8
        .value_kind:     global_buffer
    .group_segment_fixed_size: 0
    .kernarg_segment_align: 8
    .kernarg_segment_size: 16
    .language:       OpenCL C
    .language_version:
      - 2
      - 0
    .max_flat_workgroup_size: 1024
    .name:           _ZL23dequantize_block_iq4_xsIN3c108BFloat16EEvPKvPT_
    .private_segment_fixed_size: 0
    .sgpr_count:     11
    .sgpr_spill_count: 0
    .symbol:         _ZL23dequantize_block_iq4_xsIN3c108BFloat16EEvPKvPT_.kd
    .uniform_work_group_size: 1
    .uses_dynamic_stack: false
    .vgpr_count:     20
    .vgpr_spill_count: 0
    .wavefront_size: 64
  - .args:
      - .actual_access:  read_only
        .address_space:  global
        .offset:         0
        .size:           8
        .value_kind:     global_buffer
      - .actual_access:  write_only
        .address_space:  global
        .offset:         8
        .size:           8
        .value_kind:     global_buffer
    .group_segment_fixed_size: 0
    .kernarg_segment_align: 8
    .kernarg_segment_size: 16
    .language:       OpenCL C
    .language_version:
      - 2
      - 0
    .max_flat_workgroup_size: 1024
    .name:           _ZL22dequantize_block_iq1_mIN3c108BFloat16EEvPKvPT_
    .private_segment_fixed_size: 0
    .sgpr_count:     12
    .sgpr_spill_count: 0
    .symbol:         _ZL22dequantize_block_iq1_mIN3c108BFloat16EEvPKvPT_.kd
    .uniform_work_group_size: 1
    .uses_dynamic_stack: false
    .vgpr_count:     19
    .vgpr_spill_count: 0
    .wavefront_size: 64
  - .args:
      - .actual_access:  read_only
        .address_space:  global
        .offset:         0
        .size:           8
        .value_kind:     global_buffer
      - .actual_access:  write_only
        .address_space:  global
        .offset:         8
        .size:           8
        .value_kind:     global_buffer
      - .offset:         16
        .size:           4
        .value_kind:     by_value
      - .offset:         20
        .size:           4
        .value_kind:     by_value
      - .offset:         24
        .size:           4
        .value_kind:     hidden_block_count_x
      - .offset:         28
        .size:           4
        .value_kind:     hidden_block_count_y
      - .offset:         32
        .size:           4
        .value_kind:     hidden_block_count_z
      - .offset:         36
        .size:           2
        .value_kind:     hidden_group_size_x
      - .offset:         38
        .size:           2
        .value_kind:     hidden_group_size_y
      - .offset:         40
        .size:           2
        .value_kind:     hidden_group_size_z
      - .offset:         42
        .size:           2
        .value_kind:     hidden_remainder_x
      - .offset:         44
        .size:           2
        .value_kind:     hidden_remainder_y
      - .offset:         46
        .size:           2
        .value_kind:     hidden_remainder_z
      - .offset:         64
        .size:           8
        .value_kind:     hidden_global_offset_x
      - .offset:         72
        .size:           8
        .value_kind:     hidden_global_offset_y
      - .offset:         80
        .size:           8
        .value_kind:     hidden_global_offset_z
      - .offset:         88
        .size:           2
        .value_kind:     hidden_grid_dims
    .group_segment_fixed_size: 0
    .kernarg_segment_align: 8
    .kernarg_segment_size: 280
    .language:       OpenCL C
    .language_version:
      - 2
      - 0
    .max_flat_workgroup_size: 1024
    .name:           _ZL13quantize_q8_1IfEvPKT_Pvii
    .private_segment_fixed_size: 0
    .sgpr_count:     14
    .sgpr_spill_count: 0
    .symbol:         _ZL13quantize_q8_1IfEvPKT_Pvii.kd
    .uniform_work_group_size: 1
    .uses_dynamic_stack: false
    .vgpr_count:     14
    .vgpr_spill_count: 0
    .wavefront_size: 64
  - .args:
      - .actual_access:  read_only
        .address_space:  global
        .offset:         0
        .size:           8
        .value_kind:     global_buffer
      - .actual_access:  read_only
        .address_space:  global
        .offset:         8
        .size:           8
        .value_kind:     global_buffer
      - .actual_access:  write_only
        .address_space:  global
        .offset:         16
        .size:           8
        .value_kind:     global_buffer
      - .offset:         24
        .size:           4
        .value_kind:     by_value
      - .offset:         28
        .size:           4
        .value_kind:     by_value
      - .offset:         32
        .size:           4
        .value_kind:     by_value
      - .offset:         40
        .size:           4
        .value_kind:     hidden_block_count_x
      - .offset:         44
        .size:           4
        .value_kind:     hidden_block_count_y
      - .offset:         48
        .size:           4
        .value_kind:     hidden_block_count_z
      - .offset:         52
        .size:           2
        .value_kind:     hidden_group_size_x
      - .offset:         54
        .size:           2
        .value_kind:     hidden_group_size_y
      - .offset:         56
        .size:           2
        .value_kind:     hidden_group_size_z
      - .offset:         58
        .size:           2
        .value_kind:     hidden_remainder_x
      - .offset:         60
        .size:           2
        .value_kind:     hidden_remainder_y
      - .offset:         62
        .size:           2
        .value_kind:     hidden_remainder_z
      - .offset:         80
        .size:           8
        .value_kind:     hidden_global_offset_x
      - .offset:         88
        .size:           8
        .value_kind:     hidden_global_offset_y
      - .offset:         96
        .size:           8
        .value_kind:     hidden_global_offset_z
      - .offset:         104
        .size:           2
        .value_kind:     hidden_grid_dims
    .group_segment_fixed_size: 0
    .kernarg_segment_align: 8
    .kernarg_segment_size: 296
    .language:       OpenCL C
    .language_version:
      - 2
      - 0
    .max_flat_workgroup_size: 1024
    .name:           _ZL13mul_mat_vec_qIfLi32ELi4E10block_q4_0Li2EXadL_ZL17vec_dot_q4_0_q8_1PKvPK10block_q8_1RKiEEEvS2_S2_PT_iii
    .private_segment_fixed_size: 0
    .sgpr_count:     20
    .sgpr_spill_count: 0
    .symbol:         _ZL13mul_mat_vec_qIfLi32ELi4E10block_q4_0Li2EXadL_ZL17vec_dot_q4_0_q8_1PKvPK10block_q8_1RKiEEEvS2_S2_PT_iii.kd
    .uniform_work_group_size: 1
    .uses_dynamic_stack: false
    .vgpr_count:     22
    .vgpr_spill_count: 0
    .wavefront_size: 64
  - .args:
      - .actual_access:  read_only
        .address_space:  global
        .offset:         0
        .size:           8
        .value_kind:     global_buffer
      - .actual_access:  read_only
        .address_space:  global
        .offset:         8
        .size:           8
        .value_kind:     global_buffer
      - .actual_access:  write_only
        .address_space:  global
        .offset:         16
        .size:           8
        .value_kind:     global_buffer
      - .offset:         24
        .size:           4
        .value_kind:     by_value
      - .offset:         28
        .size:           4
        .value_kind:     by_value
      - .offset:         32
        .size:           4
        .value_kind:     by_value
      - .offset:         40
        .size:           4
        .value_kind:     hidden_block_count_x
      - .offset:         44
        .size:           4
        .value_kind:     hidden_block_count_y
      - .offset:         48
        .size:           4
        .value_kind:     hidden_block_count_z
      - .offset:         52
        .size:           2
        .value_kind:     hidden_group_size_x
      - .offset:         54
        .size:           2
        .value_kind:     hidden_group_size_y
      - .offset:         56
        .size:           2
        .value_kind:     hidden_group_size_z
      - .offset:         58
        .size:           2
        .value_kind:     hidden_remainder_x
      - .offset:         60
        .size:           2
        .value_kind:     hidden_remainder_y
      - .offset:         62
        .size:           2
        .value_kind:     hidden_remainder_z
      - .offset:         80
        .size:           8
        .value_kind:     hidden_global_offset_x
      - .offset:         88
        .size:           8
        .value_kind:     hidden_global_offset_y
      - .offset:         96
        .size:           8
        .value_kind:     hidden_global_offset_z
      - .offset:         104
        .size:           2
        .value_kind:     hidden_grid_dims
    .group_segment_fixed_size: 0
    .kernarg_segment_align: 8
    .kernarg_segment_size: 296
    .language:       OpenCL C
    .language_version:
      - 2
      - 0
    .max_flat_workgroup_size: 1024
    .name:           _ZL13mul_mat_vec_qIfLi32ELi4E10block_q4_1Li2EXadL_ZL17vec_dot_q4_1_q8_1PKvPK10block_q8_1RKiEEEvS2_S2_PT_iii
    .private_segment_fixed_size: 0
    .sgpr_count:     20
    .sgpr_spill_count: 0
    .symbol:         _ZL13mul_mat_vec_qIfLi32ELi4E10block_q4_1Li2EXadL_ZL17vec_dot_q4_1_q8_1PKvPK10block_q8_1RKiEEEvS2_S2_PT_iii.kd
    .uniform_work_group_size: 1
    .uses_dynamic_stack: false
    .vgpr_count:     22
    .vgpr_spill_count: 0
    .wavefront_size: 64
  - .args:
      - .actual_access:  read_only
        .address_space:  global
        .offset:         0
        .size:           8
        .value_kind:     global_buffer
      - .actual_access:  read_only
        .address_space:  global
        .offset:         8
        .size:           8
        .value_kind:     global_buffer
      - .actual_access:  write_only
        .address_space:  global
        .offset:         16
        .size:           8
        .value_kind:     global_buffer
      - .offset:         24
        .size:           4
        .value_kind:     by_value
      - .offset:         28
        .size:           4
        .value_kind:     by_value
      - .offset:         32
        .size:           4
        .value_kind:     by_value
      - .offset:         40
        .size:           4
        .value_kind:     hidden_block_count_x
      - .offset:         44
        .size:           4
        .value_kind:     hidden_block_count_y
      - .offset:         48
        .size:           4
        .value_kind:     hidden_block_count_z
      - .offset:         52
        .size:           2
        .value_kind:     hidden_group_size_x
      - .offset:         54
        .size:           2
        .value_kind:     hidden_group_size_y
      - .offset:         56
        .size:           2
        .value_kind:     hidden_group_size_z
      - .offset:         58
        .size:           2
        .value_kind:     hidden_remainder_x
      - .offset:         60
        .size:           2
        .value_kind:     hidden_remainder_y
      - .offset:         62
        .size:           2
        .value_kind:     hidden_remainder_z
      - .offset:         80
        .size:           8
        .value_kind:     hidden_global_offset_x
      - .offset:         88
        .size:           8
        .value_kind:     hidden_global_offset_y
      - .offset:         96
        .size:           8
        .value_kind:     hidden_global_offset_z
      - .offset:         104
        .size:           2
        .value_kind:     hidden_grid_dims
    .group_segment_fixed_size: 0
    .kernarg_segment_align: 8
    .kernarg_segment_size: 296
    .language:       OpenCL C
    .language_version:
      - 2
      - 0
    .max_flat_workgroup_size: 1024
    .name:           _ZL13mul_mat_vec_qIfLi32ELi4E10block_q5_0Li2EXadL_ZL17vec_dot_q5_0_q8_1PKvPK10block_q8_1RKiEEEvS2_S2_PT_iii
    .private_segment_fixed_size: 0
    .sgpr_count:     20
    .sgpr_spill_count: 0
    .symbol:         _ZL13mul_mat_vec_qIfLi32ELi4E10block_q5_0Li2EXadL_ZL17vec_dot_q5_0_q8_1PKvPK10block_q8_1RKiEEEvS2_S2_PT_iii.kd
    .uniform_work_group_size: 1
    .uses_dynamic_stack: false
    .vgpr_count:     24
    .vgpr_spill_count: 0
    .wavefront_size: 64
  - .args:
      - .actual_access:  read_only
        .address_space:  global
        .offset:         0
        .size:           8
        .value_kind:     global_buffer
      - .actual_access:  read_only
        .address_space:  global
        .offset:         8
        .size:           8
        .value_kind:     global_buffer
      - .actual_access:  write_only
        .address_space:  global
        .offset:         16
        .size:           8
        .value_kind:     global_buffer
      - .offset:         24
        .size:           4
        .value_kind:     by_value
      - .offset:         28
        .size:           4
        .value_kind:     by_value
      - .offset:         32
        .size:           4
        .value_kind:     by_value
      - .offset:         40
        .size:           4
        .value_kind:     hidden_block_count_x
      - .offset:         44
        .size:           4
        .value_kind:     hidden_block_count_y
      - .offset:         48
        .size:           4
        .value_kind:     hidden_block_count_z
      - .offset:         52
        .size:           2
        .value_kind:     hidden_group_size_x
      - .offset:         54
        .size:           2
        .value_kind:     hidden_group_size_y
      - .offset:         56
        .size:           2
        .value_kind:     hidden_group_size_z
      - .offset:         58
        .size:           2
        .value_kind:     hidden_remainder_x
      - .offset:         60
        .size:           2
        .value_kind:     hidden_remainder_y
      - .offset:         62
        .size:           2
        .value_kind:     hidden_remainder_z
      - .offset:         80
        .size:           8
        .value_kind:     hidden_global_offset_x
      - .offset:         88
        .size:           8
        .value_kind:     hidden_global_offset_y
      - .offset:         96
        .size:           8
        .value_kind:     hidden_global_offset_z
      - .offset:         104
        .size:           2
        .value_kind:     hidden_grid_dims
    .group_segment_fixed_size: 0
    .kernarg_segment_align: 8
    .kernarg_segment_size: 296
    .language:       OpenCL C
    .language_version:
      - 2
      - 0
    .max_flat_workgroup_size: 1024
    .name:           _ZL13mul_mat_vec_qIfLi32ELi4E10block_q5_1Li2EXadL_ZL17vec_dot_q5_1_q8_1PKvPK10block_q8_1RKiEEEvS2_S2_PT_iii
    .private_segment_fixed_size: 0
    .sgpr_count:     20
    .sgpr_spill_count: 0
    .symbol:         _ZL13mul_mat_vec_qIfLi32ELi4E10block_q5_1Li2EXadL_ZL17vec_dot_q5_1_q8_1PKvPK10block_q8_1RKiEEEvS2_S2_PT_iii.kd
    .uniform_work_group_size: 1
    .uses_dynamic_stack: false
    .vgpr_count:     22
    .vgpr_spill_count: 0
    .wavefront_size: 64
  - .args:
      - .actual_access:  read_only
        .address_space:  global
        .offset:         0
        .size:           8
        .value_kind:     global_buffer
      - .actual_access:  read_only
        .address_space:  global
        .offset:         8
        .size:           8
        .value_kind:     global_buffer
      - .actual_access:  write_only
        .address_space:  global
        .offset:         16
        .size:           8
        .value_kind:     global_buffer
      - .offset:         24
        .size:           4
        .value_kind:     by_value
      - .offset:         28
        .size:           4
        .value_kind:     by_value
      - .offset:         32
        .size:           4
        .value_kind:     by_value
      - .offset:         40
        .size:           4
        .value_kind:     hidden_block_count_x
      - .offset:         44
        .size:           4
        .value_kind:     hidden_block_count_y
      - .offset:         48
        .size:           4
        .value_kind:     hidden_block_count_z
      - .offset:         52
        .size:           2
        .value_kind:     hidden_group_size_x
      - .offset:         54
        .size:           2
        .value_kind:     hidden_group_size_y
      - .offset:         56
        .size:           2
        .value_kind:     hidden_group_size_z
      - .offset:         58
        .size:           2
        .value_kind:     hidden_remainder_x
      - .offset:         60
        .size:           2
        .value_kind:     hidden_remainder_y
      - .offset:         62
        .size:           2
        .value_kind:     hidden_remainder_z
      - .offset:         80
        .size:           8
        .value_kind:     hidden_global_offset_x
      - .offset:         88
        .size:           8
        .value_kind:     hidden_global_offset_y
      - .offset:         96
        .size:           8
        .value_kind:     hidden_global_offset_z
      - .offset:         104
        .size:           2
        .value_kind:     hidden_grid_dims
    .group_segment_fixed_size: 0
    .kernarg_segment_align: 8
    .kernarg_segment_size: 296
    .language:       OpenCL C
    .language_version:
      - 2
      - 0
    .max_flat_workgroup_size: 1024
    .name:           _ZL13mul_mat_vec_qIfLi32ELi8E10block_q8_0Li2EXadL_ZL17vec_dot_q8_0_q8_1PKvPK10block_q8_1RKiEEEvS2_S2_PT_iii
    .private_segment_fixed_size: 0
    .sgpr_count:     20
    .sgpr_spill_count: 0
    .symbol:         _ZL13mul_mat_vec_qIfLi32ELi8E10block_q8_0Li2EXadL_ZL17vec_dot_q8_0_q8_1PKvPK10block_q8_1RKiEEEvS2_S2_PT_iii.kd
    .uniform_work_group_size: 1
    .uses_dynamic_stack: false
    .vgpr_count:     20
    .vgpr_spill_count: 0
    .wavefront_size: 64
  - .args:
      - .actual_access:  read_only
        .address_space:  global
        .offset:         0
        .size:           8
        .value_kind:     global_buffer
      - .actual_access:  read_only
        .address_space:  global
        .offset:         8
        .size:           8
        .value_kind:     global_buffer
      - .actual_access:  write_only
        .address_space:  global
        .offset:         16
        .size:           8
        .value_kind:     global_buffer
      - .offset:         24
        .size:           4
        .value_kind:     by_value
      - .offset:         28
        .size:           4
        .value_kind:     by_value
      - .offset:         32
        .size:           4
        .value_kind:     by_value
      - .offset:         40
        .size:           4
        .value_kind:     hidden_block_count_x
      - .offset:         44
        .size:           4
        .value_kind:     hidden_block_count_y
      - .offset:         48
        .size:           4
        .value_kind:     hidden_block_count_z
      - .offset:         52
        .size:           2
        .value_kind:     hidden_group_size_x
      - .offset:         54
        .size:           2
        .value_kind:     hidden_group_size_y
      - .offset:         56
        .size:           2
        .value_kind:     hidden_group_size_z
      - .offset:         58
        .size:           2
        .value_kind:     hidden_remainder_x
      - .offset:         60
        .size:           2
        .value_kind:     hidden_remainder_y
      - .offset:         62
        .size:           2
        .value_kind:     hidden_remainder_z
      - .offset:         80
        .size:           8
        .value_kind:     hidden_global_offset_x
      - .offset:         88
        .size:           8
        .value_kind:     hidden_global_offset_y
      - .offset:         96
        .size:           8
        .value_kind:     hidden_global_offset_z
      - .offset:         104
        .size:           2
        .value_kind:     hidden_grid_dims
    .group_segment_fixed_size: 0
    .kernarg_segment_align: 8
    .kernarg_segment_size: 296
    .language:       OpenCL C
    .language_version:
      - 2
      - 0
    .max_flat_workgroup_size: 1024
    .name:           _ZL13mul_mat_vec_qIfLi256ELi16E10block_q2_KLi1EXadL_ZL17vec_dot_q2_K_q8_1PKvPK10block_q8_1RKiEEEvS2_S2_PT_iii
    .private_segment_fixed_size: 0
    .sgpr_count:     20
    .sgpr_spill_count: 0
    .symbol:         _ZL13mul_mat_vec_qIfLi256ELi16E10block_q2_KLi1EXadL_ZL17vec_dot_q2_K_q8_1PKvPK10block_q8_1RKiEEEvS2_S2_PT_iii.kd
    .uniform_work_group_size: 1
    .uses_dynamic_stack: false
    .vgpr_count:     31
    .vgpr_spill_count: 0
    .wavefront_size: 64
  - .args:
      - .actual_access:  read_only
        .address_space:  global
        .offset:         0
        .size:           8
        .value_kind:     global_buffer
      - .actual_access:  read_only
        .address_space:  global
        .offset:         8
        .size:           8
        .value_kind:     global_buffer
      - .actual_access:  write_only
        .address_space:  global
        .offset:         16
        .size:           8
        .value_kind:     global_buffer
      - .offset:         24
        .size:           4
        .value_kind:     by_value
      - .offset:         28
        .size:           4
        .value_kind:     by_value
      - .offset:         32
        .size:           4
        .value_kind:     by_value
      - .offset:         40
        .size:           4
        .value_kind:     hidden_block_count_x
      - .offset:         44
        .size:           4
        .value_kind:     hidden_block_count_y
      - .offset:         48
        .size:           4
        .value_kind:     hidden_block_count_z
      - .offset:         52
        .size:           2
        .value_kind:     hidden_group_size_x
      - .offset:         54
        .size:           2
        .value_kind:     hidden_group_size_y
      - .offset:         56
        .size:           2
        .value_kind:     hidden_group_size_z
      - .offset:         58
        .size:           2
        .value_kind:     hidden_remainder_x
      - .offset:         60
        .size:           2
        .value_kind:     hidden_remainder_y
      - .offset:         62
        .size:           2
        .value_kind:     hidden_remainder_z
      - .offset:         80
        .size:           8
        .value_kind:     hidden_global_offset_x
      - .offset:         88
        .size:           8
        .value_kind:     hidden_global_offset_y
      - .offset:         96
        .size:           8
        .value_kind:     hidden_global_offset_z
      - .offset:         104
        .size:           2
        .value_kind:     hidden_grid_dims
    .group_segment_fixed_size: 0
    .kernarg_segment_align: 8
    .kernarg_segment_size: 296
    .language:       OpenCL C
    .language_version:
      - 2
      - 0
    .max_flat_workgroup_size: 1024
    .name:           _ZL13mul_mat_vec_qIfLi256ELi16E10block_q3_KLi1EXadL_ZL17vec_dot_q3_K_q8_1PKvPK10block_q8_1RKiEEEvS2_S2_PT_iii
    .private_segment_fixed_size: 0
    .sgpr_count:     18
    .sgpr_spill_count: 0
    .symbol:         _ZL13mul_mat_vec_qIfLi256ELi16E10block_q3_KLi1EXadL_ZL17vec_dot_q3_K_q8_1PKvPK10block_q8_1RKiEEEvS2_S2_PT_iii.kd
    .uniform_work_group_size: 1
    .uses_dynamic_stack: false
    .vgpr_count:     63
    .vgpr_spill_count: 0
    .wavefront_size: 64
  - .args:
      - .actual_access:  read_only
        .address_space:  global
        .offset:         0
        .size:           8
        .value_kind:     global_buffer
      - .actual_access:  read_only
        .address_space:  global
        .offset:         8
        .size:           8
        .value_kind:     global_buffer
      - .actual_access:  write_only
        .address_space:  global
        .offset:         16
        .size:           8
        .value_kind:     global_buffer
      - .offset:         24
        .size:           4
        .value_kind:     by_value
      - .offset:         28
        .size:           4
        .value_kind:     by_value
      - .offset:         32
        .size:           4
        .value_kind:     by_value
      - .offset:         40
        .size:           4
        .value_kind:     hidden_block_count_x
      - .offset:         44
        .size:           4
        .value_kind:     hidden_block_count_y
      - .offset:         48
        .size:           4
        .value_kind:     hidden_block_count_z
      - .offset:         52
        .size:           2
        .value_kind:     hidden_group_size_x
      - .offset:         54
        .size:           2
        .value_kind:     hidden_group_size_y
      - .offset:         56
        .size:           2
        .value_kind:     hidden_group_size_z
      - .offset:         58
        .size:           2
        .value_kind:     hidden_remainder_x
      - .offset:         60
        .size:           2
        .value_kind:     hidden_remainder_y
      - .offset:         62
        .size:           2
        .value_kind:     hidden_remainder_z
      - .offset:         80
        .size:           8
        .value_kind:     hidden_global_offset_x
      - .offset:         88
        .size:           8
        .value_kind:     hidden_global_offset_y
      - .offset:         96
        .size:           8
        .value_kind:     hidden_global_offset_z
      - .offset:         104
        .size:           2
        .value_kind:     hidden_grid_dims
    .group_segment_fixed_size: 0
    .kernarg_segment_align: 8
    .kernarg_segment_size: 296
    .language:       OpenCL C
    .language_version:
      - 2
      - 0
    .max_flat_workgroup_size: 1024
    .name:           _ZL13mul_mat_vec_qIfLi256ELi32E10block_q4_KLi2EXadL_ZL17vec_dot_q4_K_q8_1PKvPK10block_q8_1RKiEEEvS2_S2_PT_iii
    .private_segment_fixed_size: 0
    .sgpr_count:     20
    .sgpr_spill_count: 0
    .symbol:         _ZL13mul_mat_vec_qIfLi256ELi32E10block_q4_KLi2EXadL_ZL17vec_dot_q4_K_q8_1PKvPK10block_q8_1RKiEEEvS2_S2_PT_iii.kd
    .uniform_work_group_size: 1
    .uses_dynamic_stack: false
    .vgpr_count:     28
    .vgpr_spill_count: 0
    .wavefront_size: 64
  - .args:
      - .actual_access:  read_only
        .address_space:  global
        .offset:         0
        .size:           8
        .value_kind:     global_buffer
      - .actual_access:  read_only
        .address_space:  global
        .offset:         8
        .size:           8
        .value_kind:     global_buffer
      - .actual_access:  write_only
        .address_space:  global
        .offset:         16
        .size:           8
        .value_kind:     global_buffer
      - .offset:         24
        .size:           4
        .value_kind:     by_value
      - .offset:         28
        .size:           4
        .value_kind:     by_value
      - .offset:         32
        .size:           4
        .value_kind:     by_value
      - .offset:         40
        .size:           4
        .value_kind:     hidden_block_count_x
      - .offset:         44
        .size:           4
        .value_kind:     hidden_block_count_y
      - .offset:         48
        .size:           4
        .value_kind:     hidden_block_count_z
      - .offset:         52
        .size:           2
        .value_kind:     hidden_group_size_x
      - .offset:         54
        .size:           2
        .value_kind:     hidden_group_size_y
      - .offset:         56
        .size:           2
        .value_kind:     hidden_group_size_z
      - .offset:         58
        .size:           2
        .value_kind:     hidden_remainder_x
      - .offset:         60
        .size:           2
        .value_kind:     hidden_remainder_y
      - .offset:         62
        .size:           2
        .value_kind:     hidden_remainder_z
      - .offset:         80
        .size:           8
        .value_kind:     hidden_global_offset_x
      - .offset:         88
        .size:           8
        .value_kind:     hidden_global_offset_y
      - .offset:         96
        .size:           8
        .value_kind:     hidden_global_offset_z
      - .offset:         104
        .size:           2
        .value_kind:     hidden_grid_dims
    .group_segment_fixed_size: 0
    .kernarg_segment_align: 8
    .kernarg_segment_size: 296
    .language:       OpenCL C
    .language_version:
      - 2
      - 0
    .max_flat_workgroup_size: 1024
    .name:           _ZL13mul_mat_vec_qIfLi256ELi32E10block_q5_KLi2EXadL_ZL17vec_dot_q5_K_q8_1PKvPK10block_q8_1RKiEEEvS2_S2_PT_iii
    .private_segment_fixed_size: 0
    .sgpr_count:     21
    .sgpr_spill_count: 0
    .symbol:         _ZL13mul_mat_vec_qIfLi256ELi32E10block_q5_KLi2EXadL_ZL17vec_dot_q5_K_q8_1PKvPK10block_q8_1RKiEEEvS2_S2_PT_iii.kd
    .uniform_work_group_size: 1
    .uses_dynamic_stack: false
    .vgpr_count:     32
    .vgpr_spill_count: 0
    .wavefront_size: 64
  - .args:
      - .actual_access:  read_only
        .address_space:  global
        .offset:         0
        .size:           8
        .value_kind:     global_buffer
      - .actual_access:  read_only
        .address_space:  global
        .offset:         8
        .size:           8
        .value_kind:     global_buffer
      - .actual_access:  write_only
        .address_space:  global
        .offset:         16
        .size:           8
        .value_kind:     global_buffer
      - .offset:         24
        .size:           4
        .value_kind:     by_value
      - .offset:         28
        .size:           4
        .value_kind:     by_value
      - .offset:         32
        .size:           4
        .value_kind:     by_value
      - .offset:         40
        .size:           4
        .value_kind:     hidden_block_count_x
      - .offset:         44
        .size:           4
        .value_kind:     hidden_block_count_y
      - .offset:         48
        .size:           4
        .value_kind:     hidden_block_count_z
      - .offset:         52
        .size:           2
        .value_kind:     hidden_group_size_x
      - .offset:         54
        .size:           2
        .value_kind:     hidden_group_size_y
      - .offset:         56
        .size:           2
        .value_kind:     hidden_group_size_z
      - .offset:         58
        .size:           2
        .value_kind:     hidden_remainder_x
      - .offset:         60
        .size:           2
        .value_kind:     hidden_remainder_y
      - .offset:         62
        .size:           2
        .value_kind:     hidden_remainder_z
      - .offset:         80
        .size:           8
        .value_kind:     hidden_global_offset_x
      - .offset:         88
        .size:           8
        .value_kind:     hidden_global_offset_y
      - .offset:         96
        .size:           8
        .value_kind:     hidden_global_offset_z
      - .offset:         104
        .size:           2
        .value_kind:     hidden_grid_dims
    .group_segment_fixed_size: 0
    .kernarg_segment_align: 8
    .kernarg_segment_size: 296
    .language:       OpenCL C
    .language_version:
      - 2
      - 0
    .max_flat_workgroup_size: 1024
    .name:           _ZL13mul_mat_vec_qIfLi256ELi32E10block_q6_KLi1EXadL_ZL17vec_dot_q6_K_q8_1PKvPK10block_q8_1RKiEEEvS2_S2_PT_iii
    .private_segment_fixed_size: 0
    .sgpr_count:     20
    .sgpr_spill_count: 0
    .symbol:         _ZL13mul_mat_vec_qIfLi256ELi32E10block_q6_KLi1EXadL_ZL17vec_dot_q6_K_q8_1PKvPK10block_q8_1RKiEEEvS2_S2_PT_iii.kd
    .uniform_work_group_size: 1
    .uses_dynamic_stack: false
    .vgpr_count:     31
    .vgpr_spill_count: 0
    .wavefront_size: 64
  - .args:
      - .actual_access:  read_only
        .address_space:  global
        .offset:         0
        .size:           8
        .value_kind:     global_buffer
      - .actual_access:  read_only
        .address_space:  global
        .offset:         8
        .size:           8
        .value_kind:     global_buffer
      - .actual_access:  write_only
        .address_space:  global
        .offset:         16
        .size:           8
        .value_kind:     global_buffer
      - .offset:         24
        .size:           4
        .value_kind:     by_value
      - .offset:         28
        .size:           4
        .value_kind:     by_value
      - .offset:         32
        .size:           4
        .value_kind:     by_value
      - .offset:         40
        .size:           4
        .value_kind:     hidden_block_count_x
      - .offset:         44
        .size:           4
        .value_kind:     hidden_block_count_y
      - .offset:         48
        .size:           4
        .value_kind:     hidden_block_count_z
      - .offset:         52
        .size:           2
        .value_kind:     hidden_group_size_x
      - .offset:         54
        .size:           2
        .value_kind:     hidden_group_size_y
      - .offset:         56
        .size:           2
        .value_kind:     hidden_group_size_z
      - .offset:         58
        .size:           2
        .value_kind:     hidden_remainder_x
      - .offset:         60
        .size:           2
        .value_kind:     hidden_remainder_y
      - .offset:         62
        .size:           2
        .value_kind:     hidden_remainder_z
      - .offset:         80
        .size:           8
        .value_kind:     hidden_global_offset_x
      - .offset:         88
        .size:           8
        .value_kind:     hidden_global_offset_y
      - .offset:         96
        .size:           8
        .value_kind:     hidden_global_offset_z
      - .offset:         104
        .size:           2
        .value_kind:     hidden_grid_dims
    .group_segment_fixed_size: 0
    .kernarg_segment_align: 8
    .kernarg_segment_size: 296
    .language:       OpenCL C
    .language_version:
      - 2
      - 0
    .max_flat_workgroup_size: 1024
    .name:           _ZL13mul_mat_vec_qIfLi256ELi8E13block_iq2_xxsLi1EXadL_ZL20vec_dot_iq2_xxs_q8_1PKvPK10block_q8_1RKiEEEvS2_S2_PT_iii
    .private_segment_fixed_size: 0
    .sgpr_count:     20
    .sgpr_spill_count: 0
    .symbol:         _ZL13mul_mat_vec_qIfLi256ELi8E13block_iq2_xxsLi1EXadL_ZL20vec_dot_iq2_xxs_q8_1PKvPK10block_q8_1RKiEEEvS2_S2_PT_iii.kd
    .uniform_work_group_size: 1
    .uses_dynamic_stack: false
    .vgpr_count:     30
    .vgpr_spill_count: 0
    .wavefront_size: 64
  - .args:
      - .actual_access:  read_only
        .address_space:  global
        .offset:         0
        .size:           8
        .value_kind:     global_buffer
      - .actual_access:  read_only
        .address_space:  global
        .offset:         8
        .size:           8
        .value_kind:     global_buffer
      - .actual_access:  write_only
        .address_space:  global
        .offset:         16
        .size:           8
        .value_kind:     global_buffer
      - .offset:         24
        .size:           4
        .value_kind:     by_value
      - .offset:         28
        .size:           4
        .value_kind:     by_value
      - .offset:         32
        .size:           4
        .value_kind:     by_value
      - .offset:         40
        .size:           4
        .value_kind:     hidden_block_count_x
      - .offset:         44
        .size:           4
        .value_kind:     hidden_block_count_y
      - .offset:         48
        .size:           4
        .value_kind:     hidden_block_count_z
      - .offset:         52
        .size:           2
        .value_kind:     hidden_group_size_x
      - .offset:         54
        .size:           2
        .value_kind:     hidden_group_size_y
      - .offset:         56
        .size:           2
        .value_kind:     hidden_group_size_z
      - .offset:         58
        .size:           2
        .value_kind:     hidden_remainder_x
      - .offset:         60
        .size:           2
        .value_kind:     hidden_remainder_y
      - .offset:         62
        .size:           2
        .value_kind:     hidden_remainder_z
      - .offset:         80
        .size:           8
        .value_kind:     hidden_global_offset_x
      - .offset:         88
        .size:           8
        .value_kind:     hidden_global_offset_y
      - .offset:         96
        .size:           8
        .value_kind:     hidden_global_offset_z
      - .offset:         104
        .size:           2
        .value_kind:     hidden_grid_dims
    .group_segment_fixed_size: 0
    .kernarg_segment_align: 8
    .kernarg_segment_size: 296
    .language:       OpenCL C
    .language_version:
      - 2
      - 0
    .max_flat_workgroup_size: 1024
    .name:           _ZL13mul_mat_vec_qIfLi256ELi8E12block_iq2_xsLi1EXadL_ZL19vec_dot_iq2_xs_q8_1PKvPK10block_q8_1RKiEEEvS2_S2_PT_iii
    .private_segment_fixed_size: 0
    .sgpr_count:     20
    .sgpr_spill_count: 0
    .symbol:         _ZL13mul_mat_vec_qIfLi256ELi8E12block_iq2_xsLi1EXadL_ZL19vec_dot_iq2_xs_q8_1PKvPK10block_q8_1RKiEEEvS2_S2_PT_iii.kd
    .uniform_work_group_size: 1
    .uses_dynamic_stack: false
    .vgpr_count:     38
    .vgpr_spill_count: 0
    .wavefront_size: 64
  - .args:
      - .actual_access:  read_only
        .address_space:  global
        .offset:         0
        .size:           8
        .value_kind:     global_buffer
      - .actual_access:  read_only
        .address_space:  global
        .offset:         8
        .size:           8
        .value_kind:     global_buffer
      - .actual_access:  write_only
        .address_space:  global
        .offset:         16
        .size:           8
        .value_kind:     global_buffer
      - .offset:         24
        .size:           4
        .value_kind:     by_value
      - .offset:         28
        .size:           4
        .value_kind:     by_value
      - .offset:         32
        .size:           4
        .value_kind:     by_value
      - .offset:         40
        .size:           4
        .value_kind:     hidden_block_count_x
      - .offset:         44
        .size:           4
        .value_kind:     hidden_block_count_y
      - .offset:         48
        .size:           4
        .value_kind:     hidden_block_count_z
      - .offset:         52
        .size:           2
        .value_kind:     hidden_group_size_x
      - .offset:         54
        .size:           2
        .value_kind:     hidden_group_size_y
      - .offset:         56
        .size:           2
        .value_kind:     hidden_group_size_z
      - .offset:         58
        .size:           2
        .value_kind:     hidden_remainder_x
      - .offset:         60
        .size:           2
        .value_kind:     hidden_remainder_y
      - .offset:         62
        .size:           2
        .value_kind:     hidden_remainder_z
      - .offset:         80
        .size:           8
        .value_kind:     hidden_global_offset_x
      - .offset:         88
        .size:           8
        .value_kind:     hidden_global_offset_y
      - .offset:         96
        .size:           8
        .value_kind:     hidden_global_offset_z
      - .offset:         104
        .size:           2
        .value_kind:     hidden_grid_dims
    .group_segment_fixed_size: 0
    .kernarg_segment_align: 8
    .kernarg_segment_size: 296
    .language:       OpenCL C
    .language_version:
      - 2
      - 0
    .max_flat_workgroup_size: 1024
    .name:           _ZL13mul_mat_vec_qIfLi256ELi8E13block_iq3_xxsLi1EXadL_ZL20vec_dot_iq3_xxs_q8_1PKvPK10block_q8_1RKiEEEvS2_S2_PT_iii
    .private_segment_fixed_size: 0
    .sgpr_count:     21
    .sgpr_spill_count: 0
    .symbol:         _ZL13mul_mat_vec_qIfLi256ELi8E13block_iq3_xxsLi1EXadL_ZL20vec_dot_iq3_xxs_q8_1PKvPK10block_q8_1RKiEEEvS2_S2_PT_iii.kd
    .uniform_work_group_size: 1
    .uses_dynamic_stack: false
    .vgpr_count:     32
    .vgpr_spill_count: 0
    .wavefront_size: 64
  - .args:
      - .actual_access:  read_only
        .address_space:  global
        .offset:         0
        .size:           8
        .value_kind:     global_buffer
      - .actual_access:  read_only
        .address_space:  global
        .offset:         8
        .size:           8
        .value_kind:     global_buffer
      - .actual_access:  write_only
        .address_space:  global
        .offset:         16
        .size:           8
        .value_kind:     global_buffer
      - .offset:         24
        .size:           4
        .value_kind:     by_value
      - .offset:         28
        .size:           4
        .value_kind:     by_value
      - .offset:         32
        .size:           4
        .value_kind:     by_value
      - .offset:         40
        .size:           4
        .value_kind:     hidden_block_count_x
      - .offset:         44
        .size:           4
        .value_kind:     hidden_block_count_y
      - .offset:         48
        .size:           4
        .value_kind:     hidden_block_count_z
      - .offset:         52
        .size:           2
        .value_kind:     hidden_group_size_x
      - .offset:         54
        .size:           2
        .value_kind:     hidden_group_size_y
      - .offset:         56
        .size:           2
        .value_kind:     hidden_group_size_z
      - .offset:         58
        .size:           2
        .value_kind:     hidden_remainder_x
      - .offset:         60
        .size:           2
        .value_kind:     hidden_remainder_y
      - .offset:         62
        .size:           2
        .value_kind:     hidden_remainder_z
      - .offset:         80
        .size:           8
        .value_kind:     hidden_global_offset_x
      - .offset:         88
        .size:           8
        .value_kind:     hidden_global_offset_y
      - .offset:         96
        .size:           8
        .value_kind:     hidden_global_offset_z
      - .offset:         104
        .size:           2
        .value_kind:     hidden_grid_dims
    .group_segment_fixed_size: 0
    .kernarg_segment_align: 8
    .kernarg_segment_size: 296
    .language:       OpenCL C
    .language_version:
      - 2
      - 0
    .max_flat_workgroup_size: 1024
    .name:           _ZL13mul_mat_vec_qIfLi256ELi8E11block_iq1_sLi1EXadL_ZL18vec_dot_iq1_s_q8_1PKvPK10block_q8_1RKiEEEvS2_S2_PT_iii
    .private_segment_fixed_size: 0
    .sgpr_count:     18
    .sgpr_spill_count: 0
    .symbol:         _ZL13mul_mat_vec_qIfLi256ELi8E11block_iq1_sLi1EXadL_ZL18vec_dot_iq1_s_q8_1PKvPK10block_q8_1RKiEEEvS2_S2_PT_iii.kd
    .uniform_work_group_size: 1
    .uses_dynamic_stack: false
    .vgpr_count:     28
    .vgpr_spill_count: 0
    .wavefront_size: 64
  - .args:
      - .actual_access:  read_only
        .address_space:  global
        .offset:         0
        .size:           8
        .value_kind:     global_buffer
      - .actual_access:  read_only
        .address_space:  global
        .offset:         8
        .size:           8
        .value_kind:     global_buffer
      - .actual_access:  write_only
        .address_space:  global
        .offset:         16
        .size:           8
        .value_kind:     global_buffer
      - .offset:         24
        .size:           4
        .value_kind:     by_value
      - .offset:         28
        .size:           4
        .value_kind:     by_value
      - .offset:         32
        .size:           4
        .value_kind:     by_value
      - .offset:         40
        .size:           4
        .value_kind:     hidden_block_count_x
      - .offset:         44
        .size:           4
        .value_kind:     hidden_block_count_y
      - .offset:         48
        .size:           4
        .value_kind:     hidden_block_count_z
      - .offset:         52
        .size:           2
        .value_kind:     hidden_group_size_x
      - .offset:         54
        .size:           2
        .value_kind:     hidden_group_size_y
      - .offset:         56
        .size:           2
        .value_kind:     hidden_group_size_z
      - .offset:         58
        .size:           2
        .value_kind:     hidden_remainder_x
      - .offset:         60
        .size:           2
        .value_kind:     hidden_remainder_y
      - .offset:         62
        .size:           2
        .value_kind:     hidden_remainder_z
      - .offset:         80
        .size:           8
        .value_kind:     hidden_global_offset_x
      - .offset:         88
        .size:           8
        .value_kind:     hidden_global_offset_y
      - .offset:         96
        .size:           8
        .value_kind:     hidden_global_offset_z
      - .offset:         104
        .size:           2
        .value_kind:     hidden_grid_dims
    .group_segment_fixed_size: 0
    .kernarg_segment_align: 8
    .kernarg_segment_size: 296
    .language:       OpenCL C
    .language_version:
      - 2
      - 0
    .max_flat_workgroup_size: 1024
    .name:           _ZL13mul_mat_vec_qIfLi32ELi4E12block_iq4_nlLi2EXadL_ZL19vec_dot_iq4_nl_q8_1PKvPK10block_q8_1RKiEEEvS2_S2_PT_iii
    .private_segment_fixed_size: 0
    .sgpr_count:     20
    .sgpr_spill_count: 0
    .symbol:         _ZL13mul_mat_vec_qIfLi32ELi4E12block_iq4_nlLi2EXadL_ZL19vec_dot_iq4_nl_q8_1PKvPK10block_q8_1RKiEEEvS2_S2_PT_iii.kd
    .uniform_work_group_size: 1
    .uses_dynamic_stack: false
    .vgpr_count:     24
    .vgpr_spill_count: 0
    .wavefront_size: 64
  - .args:
      - .actual_access:  read_only
        .address_space:  global
        .offset:         0
        .size:           8
        .value_kind:     global_buffer
      - .actual_access:  read_only
        .address_space:  global
        .offset:         8
        .size:           8
        .value_kind:     global_buffer
      - .actual_access:  write_only
        .address_space:  global
        .offset:         16
        .size:           8
        .value_kind:     global_buffer
      - .offset:         24
        .size:           4
        .value_kind:     by_value
      - .offset:         28
        .size:           4
        .value_kind:     by_value
      - .offset:         32
        .size:           4
        .value_kind:     by_value
      - .offset:         40
        .size:           4
        .value_kind:     hidden_block_count_x
      - .offset:         44
        .size:           4
        .value_kind:     hidden_block_count_y
      - .offset:         48
        .size:           4
        .value_kind:     hidden_block_count_z
      - .offset:         52
        .size:           2
        .value_kind:     hidden_group_size_x
      - .offset:         54
        .size:           2
        .value_kind:     hidden_group_size_y
      - .offset:         56
        .size:           2
        .value_kind:     hidden_group_size_z
      - .offset:         58
        .size:           2
        .value_kind:     hidden_remainder_x
      - .offset:         60
        .size:           2
        .value_kind:     hidden_remainder_y
      - .offset:         62
        .size:           2
        .value_kind:     hidden_remainder_z
      - .offset:         80
        .size:           8
        .value_kind:     hidden_global_offset_x
      - .offset:         88
        .size:           8
        .value_kind:     hidden_global_offset_y
      - .offset:         96
        .size:           8
        .value_kind:     hidden_global_offset_z
      - .offset:         104
        .size:           2
        .value_kind:     hidden_grid_dims
    .group_segment_fixed_size: 0
    .kernarg_segment_align: 8
    .kernarg_segment_size: 296
    .language:       OpenCL C
    .language_version:
      - 2
      - 0
    .max_flat_workgroup_size: 1024
    .name:           _ZL13mul_mat_vec_qIfLi256ELi8E11block_iq3_sLi1EXadL_ZL18vec_dot_iq3_s_q8_1PKvPK10block_q8_1RKiEEEvS2_S2_PT_iii
    .private_segment_fixed_size: 0
    .sgpr_count:     26
    .sgpr_spill_count: 0
    .symbol:         _ZL13mul_mat_vec_qIfLi256ELi8E11block_iq3_sLi1EXadL_ZL18vec_dot_iq3_s_q8_1PKvPK10block_q8_1RKiEEEvS2_S2_PT_iii.kd
    .uniform_work_group_size: 1
    .uses_dynamic_stack: false
    .vgpr_count:     46
    .vgpr_spill_count: 0
    .wavefront_size: 64
  - .args:
      - .actual_access:  read_only
        .address_space:  global
        .offset:         0
        .size:           8
        .value_kind:     global_buffer
      - .actual_access:  read_only
        .address_space:  global
        .offset:         8
        .size:           8
        .value_kind:     global_buffer
      - .actual_access:  write_only
        .address_space:  global
        .offset:         16
        .size:           8
        .value_kind:     global_buffer
      - .offset:         24
        .size:           4
        .value_kind:     by_value
      - .offset:         28
        .size:           4
        .value_kind:     by_value
      - .offset:         32
        .size:           4
        .value_kind:     by_value
      - .offset:         40
        .size:           4
        .value_kind:     hidden_block_count_x
      - .offset:         44
        .size:           4
        .value_kind:     hidden_block_count_y
      - .offset:         48
        .size:           4
        .value_kind:     hidden_block_count_z
      - .offset:         52
        .size:           2
        .value_kind:     hidden_group_size_x
      - .offset:         54
        .size:           2
        .value_kind:     hidden_group_size_y
      - .offset:         56
        .size:           2
        .value_kind:     hidden_group_size_z
      - .offset:         58
        .size:           2
        .value_kind:     hidden_remainder_x
      - .offset:         60
        .size:           2
        .value_kind:     hidden_remainder_y
      - .offset:         62
        .size:           2
        .value_kind:     hidden_remainder_z
      - .offset:         80
        .size:           8
        .value_kind:     hidden_global_offset_x
      - .offset:         88
        .size:           8
        .value_kind:     hidden_global_offset_y
      - .offset:         96
        .size:           8
        .value_kind:     hidden_global_offset_z
      - .offset:         104
        .size:           2
        .value_kind:     hidden_grid_dims
    .group_segment_fixed_size: 0
    .kernarg_segment_align: 8
    .kernarg_segment_size: 296
    .language:       OpenCL C
    .language_version:
      - 2
      - 0
    .max_flat_workgroup_size: 1024
    .name:           _ZL13mul_mat_vec_qIfLi256ELi8E11block_iq2_sLi1EXadL_ZL18vec_dot_iq2_s_q8_1PKvPK10block_q8_1RKiEEEvS2_S2_PT_iii
    .private_segment_fixed_size: 0
    .sgpr_count:     22
    .sgpr_spill_count: 0
    .symbol:         _ZL13mul_mat_vec_qIfLi256ELi8E11block_iq2_sLi1EXadL_ZL18vec_dot_iq2_s_q8_1PKvPK10block_q8_1RKiEEEvS2_S2_PT_iii.kd
    .uniform_work_group_size: 1
    .uses_dynamic_stack: false
    .vgpr_count:     64
    .vgpr_spill_count: 0
    .wavefront_size: 64
  - .args:
      - .actual_access:  read_only
        .address_space:  global
        .offset:         0
        .size:           8
        .value_kind:     global_buffer
      - .actual_access:  read_only
        .address_space:  global
        .offset:         8
        .size:           8
        .value_kind:     global_buffer
      - .actual_access:  write_only
        .address_space:  global
        .offset:         16
        .size:           8
        .value_kind:     global_buffer
      - .offset:         24
        .size:           4
        .value_kind:     by_value
      - .offset:         28
        .size:           4
        .value_kind:     by_value
      - .offset:         32
        .size:           4
        .value_kind:     by_value
      - .offset:         40
        .size:           4
        .value_kind:     hidden_block_count_x
      - .offset:         44
        .size:           4
        .value_kind:     hidden_block_count_y
      - .offset:         48
        .size:           4
        .value_kind:     hidden_block_count_z
      - .offset:         52
        .size:           2
        .value_kind:     hidden_group_size_x
      - .offset:         54
        .size:           2
        .value_kind:     hidden_group_size_y
      - .offset:         56
        .size:           2
        .value_kind:     hidden_group_size_z
      - .offset:         58
        .size:           2
        .value_kind:     hidden_remainder_x
      - .offset:         60
        .size:           2
        .value_kind:     hidden_remainder_y
      - .offset:         62
        .size:           2
        .value_kind:     hidden_remainder_z
      - .offset:         80
        .size:           8
        .value_kind:     hidden_global_offset_x
      - .offset:         88
        .size:           8
        .value_kind:     hidden_global_offset_y
      - .offset:         96
        .size:           8
        .value_kind:     hidden_global_offset_z
      - .offset:         104
        .size:           2
        .value_kind:     hidden_grid_dims
    .group_segment_fixed_size: 0
    .kernarg_segment_align: 8
    .kernarg_segment_size: 296
    .language:       OpenCL C
    .language_version:
      - 2
      - 0
    .max_flat_workgroup_size: 1024
    .name:           _ZL13mul_mat_vec_qIfLi256ELi8E12block_iq4_xsLi1EXadL_ZL19vec_dot_iq4_xs_q8_1PKvPK10block_q8_1RKiEEEvS2_S2_PT_iii
    .private_segment_fixed_size: 0
    .sgpr_count:     20
    .sgpr_spill_count: 0
    .symbol:         _ZL13mul_mat_vec_qIfLi256ELi8E12block_iq4_xsLi1EXadL_ZL19vec_dot_iq4_xs_q8_1PKvPK10block_q8_1RKiEEEvS2_S2_PT_iii.kd
    .uniform_work_group_size: 1
    .uses_dynamic_stack: false
    .vgpr_count:     32
    .vgpr_spill_count: 0
    .wavefront_size: 64
  - .args:
      - .actual_access:  read_only
        .address_space:  global
        .offset:         0
        .size:           8
        .value_kind:     global_buffer
      - .actual_access:  read_only
        .address_space:  global
        .offset:         8
        .size:           8
        .value_kind:     global_buffer
      - .actual_access:  write_only
        .address_space:  global
        .offset:         16
        .size:           8
        .value_kind:     global_buffer
      - .offset:         24
        .size:           4
        .value_kind:     by_value
      - .offset:         28
        .size:           4
        .value_kind:     by_value
      - .offset:         32
        .size:           4
        .value_kind:     by_value
      - .offset:         40
        .size:           4
        .value_kind:     hidden_block_count_x
      - .offset:         44
        .size:           4
        .value_kind:     hidden_block_count_y
      - .offset:         48
        .size:           4
        .value_kind:     hidden_block_count_z
      - .offset:         52
        .size:           2
        .value_kind:     hidden_group_size_x
      - .offset:         54
        .size:           2
        .value_kind:     hidden_group_size_y
      - .offset:         56
        .size:           2
        .value_kind:     hidden_group_size_z
      - .offset:         58
        .size:           2
        .value_kind:     hidden_remainder_x
      - .offset:         60
        .size:           2
        .value_kind:     hidden_remainder_y
      - .offset:         62
        .size:           2
        .value_kind:     hidden_remainder_z
      - .offset:         80
        .size:           8
        .value_kind:     hidden_global_offset_x
      - .offset:         88
        .size:           8
        .value_kind:     hidden_global_offset_y
      - .offset:         96
        .size:           8
        .value_kind:     hidden_global_offset_z
      - .offset:         104
        .size:           2
        .value_kind:     hidden_grid_dims
    .group_segment_fixed_size: 0
    .kernarg_segment_align: 8
    .kernarg_segment_size: 296
    .language:       OpenCL C
    .language_version:
      - 2
      - 0
    .max_flat_workgroup_size: 1024
    .name:           _ZL13mul_mat_vec_qIfLi256ELi8E11block_iq1_mLi1EXadL_ZL18vec_dot_iq1_m_q8_1PKvPK10block_q8_1RKiEEEvS2_S2_PT_iii
    .private_segment_fixed_size: 0
    .sgpr_count:     21
    .sgpr_spill_count: 0
    .symbol:         _ZL13mul_mat_vec_qIfLi256ELi8E11block_iq1_mLi1EXadL_ZL18vec_dot_iq1_m_q8_1PKvPK10block_q8_1RKiEEEvS2_S2_PT_iii.kd
    .uniform_work_group_size: 1
    .uses_dynamic_stack: false
    .vgpr_count:     34
    .vgpr_spill_count: 0
    .wavefront_size: 64
  - .args:
      - .actual_access:  read_only
        .address_space:  global
        .offset:         0
        .size:           8
        .value_kind:     global_buffer
      - .actual_access:  write_only
        .address_space:  global
        .offset:         8
        .size:           8
        .value_kind:     global_buffer
      - .offset:         16
        .size:           4
        .value_kind:     by_value
      - .offset:         20
        .size:           4
        .value_kind:     by_value
      - .offset:         24
        .size:           4
        .value_kind:     hidden_block_count_x
      - .offset:         28
        .size:           4
        .value_kind:     hidden_block_count_y
      - .offset:         32
        .size:           4
        .value_kind:     hidden_block_count_z
      - .offset:         36
        .size:           2
        .value_kind:     hidden_group_size_x
      - .offset:         38
        .size:           2
        .value_kind:     hidden_group_size_y
      - .offset:         40
        .size:           2
        .value_kind:     hidden_group_size_z
      - .offset:         42
        .size:           2
        .value_kind:     hidden_remainder_x
      - .offset:         44
        .size:           2
        .value_kind:     hidden_remainder_y
      - .offset:         46
        .size:           2
        .value_kind:     hidden_remainder_z
      - .offset:         64
        .size:           8
        .value_kind:     hidden_global_offset_x
      - .offset:         72
        .size:           8
        .value_kind:     hidden_global_offset_y
      - .offset:         80
        .size:           8
        .value_kind:     hidden_global_offset_z
      - .offset:         88
        .size:           2
        .value_kind:     hidden_grid_dims
    .group_segment_fixed_size: 0
    .kernarg_segment_align: 8
    .kernarg_segment_size: 280
    .language:       OpenCL C
    .language_version:
      - 2
      - 0
    .max_flat_workgroup_size: 1024
    .name:           _ZL13quantize_q8_1IN3c104HalfEEvPKT_Pvii
    .private_segment_fixed_size: 0
    .sgpr_count:     14
    .sgpr_spill_count: 0
    .symbol:         _ZL13quantize_q8_1IN3c104HalfEEvPKT_Pvii.kd
    .uniform_work_group_size: 1
    .uses_dynamic_stack: false
    .vgpr_count:     14
    .vgpr_spill_count: 0
    .wavefront_size: 64
  - .args:
      - .actual_access:  read_only
        .address_space:  global
        .offset:         0
        .size:           8
        .value_kind:     global_buffer
      - .actual_access:  read_only
        .address_space:  global
        .offset:         8
        .size:           8
        .value_kind:     global_buffer
      - .actual_access:  write_only
        .address_space:  global
        .offset:         16
        .size:           8
        .value_kind:     global_buffer
      - .offset:         24
        .size:           4
        .value_kind:     by_value
      - .offset:         28
        .size:           4
        .value_kind:     by_value
      - .offset:         32
        .size:           4
        .value_kind:     by_value
      - .offset:         40
        .size:           4
        .value_kind:     hidden_block_count_x
      - .offset:         44
        .size:           4
        .value_kind:     hidden_block_count_y
      - .offset:         48
        .size:           4
        .value_kind:     hidden_block_count_z
      - .offset:         52
        .size:           2
        .value_kind:     hidden_group_size_x
      - .offset:         54
        .size:           2
        .value_kind:     hidden_group_size_y
      - .offset:         56
        .size:           2
        .value_kind:     hidden_group_size_z
      - .offset:         58
        .size:           2
        .value_kind:     hidden_remainder_x
      - .offset:         60
        .size:           2
        .value_kind:     hidden_remainder_y
      - .offset:         62
        .size:           2
        .value_kind:     hidden_remainder_z
      - .offset:         80
        .size:           8
        .value_kind:     hidden_global_offset_x
      - .offset:         88
        .size:           8
        .value_kind:     hidden_global_offset_y
      - .offset:         96
        .size:           8
        .value_kind:     hidden_global_offset_z
      - .offset:         104
        .size:           2
        .value_kind:     hidden_grid_dims
    .group_segment_fixed_size: 0
    .kernarg_segment_align: 8
    .kernarg_segment_size: 296
    .language:       OpenCL C
    .language_version:
      - 2
      - 0
    .max_flat_workgroup_size: 1024
    .name:           _ZL13mul_mat_vec_qIN3c104HalfELi32ELi4E10block_q4_0Li2EXadL_ZL17vec_dot_q4_0_q8_1PKvPK10block_q8_1RKiEEEvS4_S4_PT_iii
    .private_segment_fixed_size: 0
    .sgpr_count:     20
    .sgpr_spill_count: 0
    .symbol:         _ZL13mul_mat_vec_qIN3c104HalfELi32ELi4E10block_q4_0Li2EXadL_ZL17vec_dot_q4_0_q8_1PKvPK10block_q8_1RKiEEEvS4_S4_PT_iii.kd
    .uniform_work_group_size: 1
    .uses_dynamic_stack: false
    .vgpr_count:     22
    .vgpr_spill_count: 0
    .wavefront_size: 64
  - .args:
      - .actual_access:  read_only
        .address_space:  global
        .offset:         0
        .size:           8
        .value_kind:     global_buffer
      - .actual_access:  read_only
        .address_space:  global
        .offset:         8
        .size:           8
        .value_kind:     global_buffer
      - .actual_access:  write_only
        .address_space:  global
        .offset:         16
        .size:           8
        .value_kind:     global_buffer
      - .offset:         24
        .size:           4
        .value_kind:     by_value
      - .offset:         28
        .size:           4
        .value_kind:     by_value
      - .offset:         32
        .size:           4
        .value_kind:     by_value
      - .offset:         40
        .size:           4
        .value_kind:     hidden_block_count_x
      - .offset:         44
        .size:           4
        .value_kind:     hidden_block_count_y
      - .offset:         48
        .size:           4
        .value_kind:     hidden_block_count_z
      - .offset:         52
        .size:           2
        .value_kind:     hidden_group_size_x
      - .offset:         54
        .size:           2
        .value_kind:     hidden_group_size_y
      - .offset:         56
        .size:           2
        .value_kind:     hidden_group_size_z
      - .offset:         58
        .size:           2
        .value_kind:     hidden_remainder_x
      - .offset:         60
        .size:           2
        .value_kind:     hidden_remainder_y
      - .offset:         62
        .size:           2
        .value_kind:     hidden_remainder_z
      - .offset:         80
        .size:           8
        .value_kind:     hidden_global_offset_x
      - .offset:         88
        .size:           8
        .value_kind:     hidden_global_offset_y
      - .offset:         96
        .size:           8
        .value_kind:     hidden_global_offset_z
      - .offset:         104
        .size:           2
        .value_kind:     hidden_grid_dims
    .group_segment_fixed_size: 0
    .kernarg_segment_align: 8
    .kernarg_segment_size: 296
    .language:       OpenCL C
    .language_version:
      - 2
      - 0
    .max_flat_workgroup_size: 1024
    .name:           _ZL13mul_mat_vec_qIN3c104HalfELi32ELi4E10block_q4_1Li2EXadL_ZL17vec_dot_q4_1_q8_1PKvPK10block_q8_1RKiEEEvS4_S4_PT_iii
    .private_segment_fixed_size: 0
    .sgpr_count:     20
    .sgpr_spill_count: 0
    .symbol:         _ZL13mul_mat_vec_qIN3c104HalfELi32ELi4E10block_q4_1Li2EXadL_ZL17vec_dot_q4_1_q8_1PKvPK10block_q8_1RKiEEEvS4_S4_PT_iii.kd
    .uniform_work_group_size: 1
    .uses_dynamic_stack: false
    .vgpr_count:     22
    .vgpr_spill_count: 0
    .wavefront_size: 64
  - .args:
      - .actual_access:  read_only
        .address_space:  global
        .offset:         0
        .size:           8
        .value_kind:     global_buffer
      - .actual_access:  read_only
        .address_space:  global
        .offset:         8
        .size:           8
        .value_kind:     global_buffer
      - .actual_access:  write_only
        .address_space:  global
        .offset:         16
        .size:           8
        .value_kind:     global_buffer
      - .offset:         24
        .size:           4
        .value_kind:     by_value
      - .offset:         28
        .size:           4
        .value_kind:     by_value
      - .offset:         32
        .size:           4
        .value_kind:     by_value
      - .offset:         40
        .size:           4
        .value_kind:     hidden_block_count_x
      - .offset:         44
        .size:           4
        .value_kind:     hidden_block_count_y
      - .offset:         48
        .size:           4
        .value_kind:     hidden_block_count_z
      - .offset:         52
        .size:           2
        .value_kind:     hidden_group_size_x
      - .offset:         54
        .size:           2
        .value_kind:     hidden_group_size_y
      - .offset:         56
        .size:           2
        .value_kind:     hidden_group_size_z
      - .offset:         58
        .size:           2
        .value_kind:     hidden_remainder_x
      - .offset:         60
        .size:           2
        .value_kind:     hidden_remainder_y
      - .offset:         62
        .size:           2
        .value_kind:     hidden_remainder_z
      - .offset:         80
        .size:           8
        .value_kind:     hidden_global_offset_x
      - .offset:         88
        .size:           8
        .value_kind:     hidden_global_offset_y
      - .offset:         96
        .size:           8
        .value_kind:     hidden_global_offset_z
      - .offset:         104
        .size:           2
        .value_kind:     hidden_grid_dims
    .group_segment_fixed_size: 0
    .kernarg_segment_align: 8
    .kernarg_segment_size: 296
    .language:       OpenCL C
    .language_version:
      - 2
      - 0
    .max_flat_workgroup_size: 1024
    .name:           _ZL13mul_mat_vec_qIN3c104HalfELi32ELi4E10block_q5_0Li2EXadL_ZL17vec_dot_q5_0_q8_1PKvPK10block_q8_1RKiEEEvS4_S4_PT_iii
    .private_segment_fixed_size: 0
    .sgpr_count:     20
    .sgpr_spill_count: 0
    .symbol:         _ZL13mul_mat_vec_qIN3c104HalfELi32ELi4E10block_q5_0Li2EXadL_ZL17vec_dot_q5_0_q8_1PKvPK10block_q8_1RKiEEEvS4_S4_PT_iii.kd
    .uniform_work_group_size: 1
    .uses_dynamic_stack: false
    .vgpr_count:     24
    .vgpr_spill_count: 0
    .wavefront_size: 64
  - .args:
      - .actual_access:  read_only
        .address_space:  global
        .offset:         0
        .size:           8
        .value_kind:     global_buffer
      - .actual_access:  read_only
        .address_space:  global
        .offset:         8
        .size:           8
        .value_kind:     global_buffer
      - .actual_access:  write_only
        .address_space:  global
        .offset:         16
        .size:           8
        .value_kind:     global_buffer
      - .offset:         24
        .size:           4
        .value_kind:     by_value
      - .offset:         28
        .size:           4
        .value_kind:     by_value
      - .offset:         32
        .size:           4
        .value_kind:     by_value
      - .offset:         40
        .size:           4
        .value_kind:     hidden_block_count_x
      - .offset:         44
        .size:           4
        .value_kind:     hidden_block_count_y
      - .offset:         48
        .size:           4
        .value_kind:     hidden_block_count_z
      - .offset:         52
        .size:           2
        .value_kind:     hidden_group_size_x
      - .offset:         54
        .size:           2
        .value_kind:     hidden_group_size_y
      - .offset:         56
        .size:           2
        .value_kind:     hidden_group_size_z
      - .offset:         58
        .size:           2
        .value_kind:     hidden_remainder_x
      - .offset:         60
        .size:           2
        .value_kind:     hidden_remainder_y
      - .offset:         62
        .size:           2
        .value_kind:     hidden_remainder_z
      - .offset:         80
        .size:           8
        .value_kind:     hidden_global_offset_x
      - .offset:         88
        .size:           8
        .value_kind:     hidden_global_offset_y
      - .offset:         96
        .size:           8
        .value_kind:     hidden_global_offset_z
      - .offset:         104
        .size:           2
        .value_kind:     hidden_grid_dims
    .group_segment_fixed_size: 0
    .kernarg_segment_align: 8
    .kernarg_segment_size: 296
    .language:       OpenCL C
    .language_version:
      - 2
      - 0
    .max_flat_workgroup_size: 1024
    .name:           _ZL13mul_mat_vec_qIN3c104HalfELi32ELi4E10block_q5_1Li2EXadL_ZL17vec_dot_q5_1_q8_1PKvPK10block_q8_1RKiEEEvS4_S4_PT_iii
    .private_segment_fixed_size: 0
    .sgpr_count:     20
    .sgpr_spill_count: 0
    .symbol:         _ZL13mul_mat_vec_qIN3c104HalfELi32ELi4E10block_q5_1Li2EXadL_ZL17vec_dot_q5_1_q8_1PKvPK10block_q8_1RKiEEEvS4_S4_PT_iii.kd
    .uniform_work_group_size: 1
    .uses_dynamic_stack: false
    .vgpr_count:     22
    .vgpr_spill_count: 0
    .wavefront_size: 64
  - .args:
      - .actual_access:  read_only
        .address_space:  global
        .offset:         0
        .size:           8
        .value_kind:     global_buffer
      - .actual_access:  read_only
        .address_space:  global
        .offset:         8
        .size:           8
        .value_kind:     global_buffer
      - .actual_access:  write_only
        .address_space:  global
        .offset:         16
        .size:           8
        .value_kind:     global_buffer
      - .offset:         24
        .size:           4
        .value_kind:     by_value
      - .offset:         28
        .size:           4
        .value_kind:     by_value
      - .offset:         32
        .size:           4
        .value_kind:     by_value
      - .offset:         40
        .size:           4
        .value_kind:     hidden_block_count_x
      - .offset:         44
        .size:           4
        .value_kind:     hidden_block_count_y
      - .offset:         48
        .size:           4
        .value_kind:     hidden_block_count_z
      - .offset:         52
        .size:           2
        .value_kind:     hidden_group_size_x
      - .offset:         54
        .size:           2
        .value_kind:     hidden_group_size_y
      - .offset:         56
        .size:           2
        .value_kind:     hidden_group_size_z
      - .offset:         58
        .size:           2
        .value_kind:     hidden_remainder_x
      - .offset:         60
        .size:           2
        .value_kind:     hidden_remainder_y
      - .offset:         62
        .size:           2
        .value_kind:     hidden_remainder_z
      - .offset:         80
        .size:           8
        .value_kind:     hidden_global_offset_x
      - .offset:         88
        .size:           8
        .value_kind:     hidden_global_offset_y
      - .offset:         96
        .size:           8
        .value_kind:     hidden_global_offset_z
      - .offset:         104
        .size:           2
        .value_kind:     hidden_grid_dims
    .group_segment_fixed_size: 0
    .kernarg_segment_align: 8
    .kernarg_segment_size: 296
    .language:       OpenCL C
    .language_version:
      - 2
      - 0
    .max_flat_workgroup_size: 1024
    .name:           _ZL13mul_mat_vec_qIN3c104HalfELi32ELi8E10block_q8_0Li2EXadL_ZL17vec_dot_q8_0_q8_1PKvPK10block_q8_1RKiEEEvS4_S4_PT_iii
    .private_segment_fixed_size: 0
    .sgpr_count:     20
    .sgpr_spill_count: 0
    .symbol:         _ZL13mul_mat_vec_qIN3c104HalfELi32ELi8E10block_q8_0Li2EXadL_ZL17vec_dot_q8_0_q8_1PKvPK10block_q8_1RKiEEEvS4_S4_PT_iii.kd
    .uniform_work_group_size: 1
    .uses_dynamic_stack: false
    .vgpr_count:     20
    .vgpr_spill_count: 0
    .wavefront_size: 64
  - .args:
      - .actual_access:  read_only
        .address_space:  global
        .offset:         0
        .size:           8
        .value_kind:     global_buffer
      - .actual_access:  read_only
        .address_space:  global
        .offset:         8
        .size:           8
        .value_kind:     global_buffer
      - .actual_access:  write_only
        .address_space:  global
        .offset:         16
        .size:           8
        .value_kind:     global_buffer
      - .offset:         24
        .size:           4
        .value_kind:     by_value
      - .offset:         28
        .size:           4
        .value_kind:     by_value
      - .offset:         32
        .size:           4
        .value_kind:     by_value
      - .offset:         40
        .size:           4
        .value_kind:     hidden_block_count_x
      - .offset:         44
        .size:           4
        .value_kind:     hidden_block_count_y
      - .offset:         48
        .size:           4
        .value_kind:     hidden_block_count_z
      - .offset:         52
        .size:           2
        .value_kind:     hidden_group_size_x
      - .offset:         54
        .size:           2
        .value_kind:     hidden_group_size_y
      - .offset:         56
        .size:           2
        .value_kind:     hidden_group_size_z
      - .offset:         58
        .size:           2
        .value_kind:     hidden_remainder_x
      - .offset:         60
        .size:           2
        .value_kind:     hidden_remainder_y
      - .offset:         62
        .size:           2
        .value_kind:     hidden_remainder_z
      - .offset:         80
        .size:           8
        .value_kind:     hidden_global_offset_x
      - .offset:         88
        .size:           8
        .value_kind:     hidden_global_offset_y
      - .offset:         96
        .size:           8
        .value_kind:     hidden_global_offset_z
      - .offset:         104
        .size:           2
        .value_kind:     hidden_grid_dims
    .group_segment_fixed_size: 0
    .kernarg_segment_align: 8
    .kernarg_segment_size: 296
    .language:       OpenCL C
    .language_version:
      - 2
      - 0
    .max_flat_workgroup_size: 1024
    .name:           _ZL13mul_mat_vec_qIN3c104HalfELi256ELi16E10block_q2_KLi1EXadL_ZL17vec_dot_q2_K_q8_1PKvPK10block_q8_1RKiEEEvS4_S4_PT_iii
    .private_segment_fixed_size: 0
    .sgpr_count:     20
    .sgpr_spill_count: 0
    .symbol:         _ZL13mul_mat_vec_qIN3c104HalfELi256ELi16E10block_q2_KLi1EXadL_ZL17vec_dot_q2_K_q8_1PKvPK10block_q8_1RKiEEEvS4_S4_PT_iii.kd
    .uniform_work_group_size: 1
    .uses_dynamic_stack: false
    .vgpr_count:     31
    .vgpr_spill_count: 0
    .wavefront_size: 64
  - .args:
      - .actual_access:  read_only
        .address_space:  global
        .offset:         0
        .size:           8
        .value_kind:     global_buffer
      - .actual_access:  read_only
        .address_space:  global
        .offset:         8
        .size:           8
        .value_kind:     global_buffer
      - .actual_access:  write_only
        .address_space:  global
        .offset:         16
        .size:           8
        .value_kind:     global_buffer
      - .offset:         24
        .size:           4
        .value_kind:     by_value
      - .offset:         28
        .size:           4
        .value_kind:     by_value
      - .offset:         32
        .size:           4
        .value_kind:     by_value
      - .offset:         40
        .size:           4
        .value_kind:     hidden_block_count_x
      - .offset:         44
        .size:           4
        .value_kind:     hidden_block_count_y
      - .offset:         48
        .size:           4
        .value_kind:     hidden_block_count_z
      - .offset:         52
        .size:           2
        .value_kind:     hidden_group_size_x
      - .offset:         54
        .size:           2
        .value_kind:     hidden_group_size_y
      - .offset:         56
        .size:           2
        .value_kind:     hidden_group_size_z
      - .offset:         58
        .size:           2
        .value_kind:     hidden_remainder_x
      - .offset:         60
        .size:           2
        .value_kind:     hidden_remainder_y
      - .offset:         62
        .size:           2
        .value_kind:     hidden_remainder_z
      - .offset:         80
        .size:           8
        .value_kind:     hidden_global_offset_x
      - .offset:         88
        .size:           8
        .value_kind:     hidden_global_offset_y
      - .offset:         96
        .size:           8
        .value_kind:     hidden_global_offset_z
      - .offset:         104
        .size:           2
        .value_kind:     hidden_grid_dims
    .group_segment_fixed_size: 0
    .kernarg_segment_align: 8
    .kernarg_segment_size: 296
    .language:       OpenCL C
    .language_version:
      - 2
      - 0
    .max_flat_workgroup_size: 1024
    .name:           _ZL13mul_mat_vec_qIN3c104HalfELi256ELi16E10block_q3_KLi1EXadL_ZL17vec_dot_q3_K_q8_1PKvPK10block_q8_1RKiEEEvS4_S4_PT_iii
    .private_segment_fixed_size: 0
    .sgpr_count:     18
    .sgpr_spill_count: 0
    .symbol:         _ZL13mul_mat_vec_qIN3c104HalfELi256ELi16E10block_q3_KLi1EXadL_ZL17vec_dot_q3_K_q8_1PKvPK10block_q8_1RKiEEEvS4_S4_PT_iii.kd
    .uniform_work_group_size: 1
    .uses_dynamic_stack: false
    .vgpr_count:     63
    .vgpr_spill_count: 0
    .wavefront_size: 64
  - .args:
      - .actual_access:  read_only
        .address_space:  global
        .offset:         0
        .size:           8
        .value_kind:     global_buffer
      - .actual_access:  read_only
        .address_space:  global
        .offset:         8
        .size:           8
        .value_kind:     global_buffer
      - .actual_access:  write_only
        .address_space:  global
        .offset:         16
        .size:           8
        .value_kind:     global_buffer
      - .offset:         24
        .size:           4
        .value_kind:     by_value
      - .offset:         28
        .size:           4
        .value_kind:     by_value
      - .offset:         32
        .size:           4
        .value_kind:     by_value
      - .offset:         40
        .size:           4
        .value_kind:     hidden_block_count_x
      - .offset:         44
        .size:           4
        .value_kind:     hidden_block_count_y
      - .offset:         48
        .size:           4
        .value_kind:     hidden_block_count_z
      - .offset:         52
        .size:           2
        .value_kind:     hidden_group_size_x
      - .offset:         54
        .size:           2
        .value_kind:     hidden_group_size_y
      - .offset:         56
        .size:           2
        .value_kind:     hidden_group_size_z
      - .offset:         58
        .size:           2
        .value_kind:     hidden_remainder_x
      - .offset:         60
        .size:           2
        .value_kind:     hidden_remainder_y
      - .offset:         62
        .size:           2
        .value_kind:     hidden_remainder_z
      - .offset:         80
        .size:           8
        .value_kind:     hidden_global_offset_x
      - .offset:         88
        .size:           8
        .value_kind:     hidden_global_offset_y
      - .offset:         96
        .size:           8
        .value_kind:     hidden_global_offset_z
      - .offset:         104
        .size:           2
        .value_kind:     hidden_grid_dims
    .group_segment_fixed_size: 0
    .kernarg_segment_align: 8
    .kernarg_segment_size: 296
    .language:       OpenCL C
    .language_version:
      - 2
      - 0
    .max_flat_workgroup_size: 1024
    .name:           _ZL13mul_mat_vec_qIN3c104HalfELi256ELi32E10block_q4_KLi2EXadL_ZL17vec_dot_q4_K_q8_1PKvPK10block_q8_1RKiEEEvS4_S4_PT_iii
    .private_segment_fixed_size: 0
    .sgpr_count:     20
    .sgpr_spill_count: 0
    .symbol:         _ZL13mul_mat_vec_qIN3c104HalfELi256ELi32E10block_q4_KLi2EXadL_ZL17vec_dot_q4_K_q8_1PKvPK10block_q8_1RKiEEEvS4_S4_PT_iii.kd
    .uniform_work_group_size: 1
    .uses_dynamic_stack: false
    .vgpr_count:     28
    .vgpr_spill_count: 0
    .wavefront_size: 64
  - .args:
      - .actual_access:  read_only
        .address_space:  global
        .offset:         0
        .size:           8
        .value_kind:     global_buffer
      - .actual_access:  read_only
        .address_space:  global
        .offset:         8
        .size:           8
        .value_kind:     global_buffer
      - .actual_access:  write_only
        .address_space:  global
        .offset:         16
        .size:           8
        .value_kind:     global_buffer
      - .offset:         24
        .size:           4
        .value_kind:     by_value
      - .offset:         28
        .size:           4
        .value_kind:     by_value
      - .offset:         32
        .size:           4
        .value_kind:     by_value
      - .offset:         40
        .size:           4
        .value_kind:     hidden_block_count_x
      - .offset:         44
        .size:           4
        .value_kind:     hidden_block_count_y
      - .offset:         48
        .size:           4
        .value_kind:     hidden_block_count_z
      - .offset:         52
        .size:           2
        .value_kind:     hidden_group_size_x
      - .offset:         54
        .size:           2
        .value_kind:     hidden_group_size_y
      - .offset:         56
        .size:           2
        .value_kind:     hidden_group_size_z
      - .offset:         58
        .size:           2
        .value_kind:     hidden_remainder_x
      - .offset:         60
        .size:           2
        .value_kind:     hidden_remainder_y
      - .offset:         62
        .size:           2
        .value_kind:     hidden_remainder_z
      - .offset:         80
        .size:           8
        .value_kind:     hidden_global_offset_x
      - .offset:         88
        .size:           8
        .value_kind:     hidden_global_offset_y
      - .offset:         96
        .size:           8
        .value_kind:     hidden_global_offset_z
      - .offset:         104
        .size:           2
        .value_kind:     hidden_grid_dims
    .group_segment_fixed_size: 0
    .kernarg_segment_align: 8
    .kernarg_segment_size: 296
    .language:       OpenCL C
    .language_version:
      - 2
      - 0
    .max_flat_workgroup_size: 1024
    .name:           _ZL13mul_mat_vec_qIN3c104HalfELi256ELi32E10block_q5_KLi2EXadL_ZL17vec_dot_q5_K_q8_1PKvPK10block_q8_1RKiEEEvS4_S4_PT_iii
    .private_segment_fixed_size: 0
    .sgpr_count:     21
    .sgpr_spill_count: 0
    .symbol:         _ZL13mul_mat_vec_qIN3c104HalfELi256ELi32E10block_q5_KLi2EXadL_ZL17vec_dot_q5_K_q8_1PKvPK10block_q8_1RKiEEEvS4_S4_PT_iii.kd
    .uniform_work_group_size: 1
    .uses_dynamic_stack: false
    .vgpr_count:     32
    .vgpr_spill_count: 0
    .wavefront_size: 64
  - .args:
      - .actual_access:  read_only
        .address_space:  global
        .offset:         0
        .size:           8
        .value_kind:     global_buffer
      - .actual_access:  read_only
        .address_space:  global
        .offset:         8
        .size:           8
        .value_kind:     global_buffer
      - .actual_access:  write_only
        .address_space:  global
        .offset:         16
        .size:           8
        .value_kind:     global_buffer
      - .offset:         24
        .size:           4
        .value_kind:     by_value
      - .offset:         28
        .size:           4
        .value_kind:     by_value
      - .offset:         32
        .size:           4
        .value_kind:     by_value
      - .offset:         40
        .size:           4
        .value_kind:     hidden_block_count_x
      - .offset:         44
        .size:           4
        .value_kind:     hidden_block_count_y
      - .offset:         48
        .size:           4
        .value_kind:     hidden_block_count_z
      - .offset:         52
        .size:           2
        .value_kind:     hidden_group_size_x
      - .offset:         54
        .size:           2
        .value_kind:     hidden_group_size_y
      - .offset:         56
        .size:           2
        .value_kind:     hidden_group_size_z
      - .offset:         58
        .size:           2
        .value_kind:     hidden_remainder_x
      - .offset:         60
        .size:           2
        .value_kind:     hidden_remainder_y
      - .offset:         62
        .size:           2
        .value_kind:     hidden_remainder_z
      - .offset:         80
        .size:           8
        .value_kind:     hidden_global_offset_x
      - .offset:         88
        .size:           8
        .value_kind:     hidden_global_offset_y
      - .offset:         96
        .size:           8
        .value_kind:     hidden_global_offset_z
      - .offset:         104
        .size:           2
        .value_kind:     hidden_grid_dims
    .group_segment_fixed_size: 0
    .kernarg_segment_align: 8
    .kernarg_segment_size: 296
    .language:       OpenCL C
    .language_version:
      - 2
      - 0
    .max_flat_workgroup_size: 1024
    .name:           _ZL13mul_mat_vec_qIN3c104HalfELi256ELi32E10block_q6_KLi1EXadL_ZL17vec_dot_q6_K_q8_1PKvPK10block_q8_1RKiEEEvS4_S4_PT_iii
    .private_segment_fixed_size: 0
    .sgpr_count:     20
    .sgpr_spill_count: 0
    .symbol:         _ZL13mul_mat_vec_qIN3c104HalfELi256ELi32E10block_q6_KLi1EXadL_ZL17vec_dot_q6_K_q8_1PKvPK10block_q8_1RKiEEEvS4_S4_PT_iii.kd
    .uniform_work_group_size: 1
    .uses_dynamic_stack: false
    .vgpr_count:     31
    .vgpr_spill_count: 0
    .wavefront_size: 64
  - .args:
      - .actual_access:  read_only
        .address_space:  global
        .offset:         0
        .size:           8
        .value_kind:     global_buffer
      - .actual_access:  read_only
        .address_space:  global
        .offset:         8
        .size:           8
        .value_kind:     global_buffer
      - .actual_access:  write_only
        .address_space:  global
        .offset:         16
        .size:           8
        .value_kind:     global_buffer
      - .offset:         24
        .size:           4
        .value_kind:     by_value
      - .offset:         28
        .size:           4
        .value_kind:     by_value
      - .offset:         32
        .size:           4
        .value_kind:     by_value
      - .offset:         40
        .size:           4
        .value_kind:     hidden_block_count_x
      - .offset:         44
        .size:           4
        .value_kind:     hidden_block_count_y
      - .offset:         48
        .size:           4
        .value_kind:     hidden_block_count_z
      - .offset:         52
        .size:           2
        .value_kind:     hidden_group_size_x
      - .offset:         54
        .size:           2
        .value_kind:     hidden_group_size_y
      - .offset:         56
        .size:           2
        .value_kind:     hidden_group_size_z
      - .offset:         58
        .size:           2
        .value_kind:     hidden_remainder_x
      - .offset:         60
        .size:           2
        .value_kind:     hidden_remainder_y
      - .offset:         62
        .size:           2
        .value_kind:     hidden_remainder_z
      - .offset:         80
        .size:           8
        .value_kind:     hidden_global_offset_x
      - .offset:         88
        .size:           8
        .value_kind:     hidden_global_offset_y
      - .offset:         96
        .size:           8
        .value_kind:     hidden_global_offset_z
      - .offset:         104
        .size:           2
        .value_kind:     hidden_grid_dims
    .group_segment_fixed_size: 0
    .kernarg_segment_align: 8
    .kernarg_segment_size: 296
    .language:       OpenCL C
    .language_version:
      - 2
      - 0
    .max_flat_workgroup_size: 1024
    .name:           _ZL13mul_mat_vec_qIN3c104HalfELi256ELi8E13block_iq2_xxsLi1EXadL_ZL20vec_dot_iq2_xxs_q8_1PKvPK10block_q8_1RKiEEEvS4_S4_PT_iii
    .private_segment_fixed_size: 0
    .sgpr_count:     20
    .sgpr_spill_count: 0
    .symbol:         _ZL13mul_mat_vec_qIN3c104HalfELi256ELi8E13block_iq2_xxsLi1EXadL_ZL20vec_dot_iq2_xxs_q8_1PKvPK10block_q8_1RKiEEEvS4_S4_PT_iii.kd
    .uniform_work_group_size: 1
    .uses_dynamic_stack: false
    .vgpr_count:     30
    .vgpr_spill_count: 0
    .wavefront_size: 64
  - .args:
      - .actual_access:  read_only
        .address_space:  global
        .offset:         0
        .size:           8
        .value_kind:     global_buffer
      - .actual_access:  read_only
        .address_space:  global
        .offset:         8
        .size:           8
        .value_kind:     global_buffer
      - .actual_access:  write_only
        .address_space:  global
        .offset:         16
        .size:           8
        .value_kind:     global_buffer
      - .offset:         24
        .size:           4
        .value_kind:     by_value
      - .offset:         28
        .size:           4
        .value_kind:     by_value
      - .offset:         32
        .size:           4
        .value_kind:     by_value
      - .offset:         40
        .size:           4
        .value_kind:     hidden_block_count_x
      - .offset:         44
        .size:           4
        .value_kind:     hidden_block_count_y
      - .offset:         48
        .size:           4
        .value_kind:     hidden_block_count_z
      - .offset:         52
        .size:           2
        .value_kind:     hidden_group_size_x
      - .offset:         54
        .size:           2
        .value_kind:     hidden_group_size_y
      - .offset:         56
        .size:           2
        .value_kind:     hidden_group_size_z
      - .offset:         58
        .size:           2
        .value_kind:     hidden_remainder_x
      - .offset:         60
        .size:           2
        .value_kind:     hidden_remainder_y
      - .offset:         62
        .size:           2
        .value_kind:     hidden_remainder_z
      - .offset:         80
        .size:           8
        .value_kind:     hidden_global_offset_x
      - .offset:         88
        .size:           8
        .value_kind:     hidden_global_offset_y
      - .offset:         96
        .size:           8
        .value_kind:     hidden_global_offset_z
      - .offset:         104
        .size:           2
        .value_kind:     hidden_grid_dims
    .group_segment_fixed_size: 0
    .kernarg_segment_align: 8
    .kernarg_segment_size: 296
    .language:       OpenCL C
    .language_version:
      - 2
      - 0
    .max_flat_workgroup_size: 1024
    .name:           _ZL13mul_mat_vec_qIN3c104HalfELi256ELi8E12block_iq2_xsLi1EXadL_ZL19vec_dot_iq2_xs_q8_1PKvPK10block_q8_1RKiEEEvS4_S4_PT_iii
    .private_segment_fixed_size: 0
    .sgpr_count:     20
    .sgpr_spill_count: 0
    .symbol:         _ZL13mul_mat_vec_qIN3c104HalfELi256ELi8E12block_iq2_xsLi1EXadL_ZL19vec_dot_iq2_xs_q8_1PKvPK10block_q8_1RKiEEEvS4_S4_PT_iii.kd
    .uniform_work_group_size: 1
    .uses_dynamic_stack: false
    .vgpr_count:     38
    .vgpr_spill_count: 0
    .wavefront_size: 64
  - .args:
      - .actual_access:  read_only
        .address_space:  global
        .offset:         0
        .size:           8
        .value_kind:     global_buffer
      - .actual_access:  read_only
        .address_space:  global
        .offset:         8
        .size:           8
        .value_kind:     global_buffer
      - .actual_access:  write_only
        .address_space:  global
        .offset:         16
        .size:           8
        .value_kind:     global_buffer
      - .offset:         24
        .size:           4
        .value_kind:     by_value
      - .offset:         28
        .size:           4
        .value_kind:     by_value
      - .offset:         32
        .size:           4
        .value_kind:     by_value
      - .offset:         40
        .size:           4
        .value_kind:     hidden_block_count_x
      - .offset:         44
        .size:           4
        .value_kind:     hidden_block_count_y
      - .offset:         48
        .size:           4
        .value_kind:     hidden_block_count_z
      - .offset:         52
        .size:           2
        .value_kind:     hidden_group_size_x
      - .offset:         54
        .size:           2
        .value_kind:     hidden_group_size_y
      - .offset:         56
        .size:           2
        .value_kind:     hidden_group_size_z
      - .offset:         58
        .size:           2
        .value_kind:     hidden_remainder_x
      - .offset:         60
        .size:           2
        .value_kind:     hidden_remainder_y
      - .offset:         62
        .size:           2
        .value_kind:     hidden_remainder_z
      - .offset:         80
        .size:           8
        .value_kind:     hidden_global_offset_x
      - .offset:         88
        .size:           8
        .value_kind:     hidden_global_offset_y
      - .offset:         96
        .size:           8
        .value_kind:     hidden_global_offset_z
      - .offset:         104
        .size:           2
        .value_kind:     hidden_grid_dims
    .group_segment_fixed_size: 0
    .kernarg_segment_align: 8
    .kernarg_segment_size: 296
    .language:       OpenCL C
    .language_version:
      - 2
      - 0
    .max_flat_workgroup_size: 1024
    .name:           _ZL13mul_mat_vec_qIN3c104HalfELi256ELi8E13block_iq3_xxsLi1EXadL_ZL20vec_dot_iq3_xxs_q8_1PKvPK10block_q8_1RKiEEEvS4_S4_PT_iii
    .private_segment_fixed_size: 0
    .sgpr_count:     21
    .sgpr_spill_count: 0
    .symbol:         _ZL13mul_mat_vec_qIN3c104HalfELi256ELi8E13block_iq3_xxsLi1EXadL_ZL20vec_dot_iq3_xxs_q8_1PKvPK10block_q8_1RKiEEEvS4_S4_PT_iii.kd
    .uniform_work_group_size: 1
    .uses_dynamic_stack: false
    .vgpr_count:     32
    .vgpr_spill_count: 0
    .wavefront_size: 64
  - .args:
      - .actual_access:  read_only
        .address_space:  global
        .offset:         0
        .size:           8
        .value_kind:     global_buffer
      - .actual_access:  read_only
        .address_space:  global
        .offset:         8
        .size:           8
        .value_kind:     global_buffer
      - .actual_access:  write_only
        .address_space:  global
        .offset:         16
        .size:           8
        .value_kind:     global_buffer
      - .offset:         24
        .size:           4
        .value_kind:     by_value
      - .offset:         28
        .size:           4
        .value_kind:     by_value
      - .offset:         32
        .size:           4
        .value_kind:     by_value
      - .offset:         40
        .size:           4
        .value_kind:     hidden_block_count_x
      - .offset:         44
        .size:           4
        .value_kind:     hidden_block_count_y
      - .offset:         48
        .size:           4
        .value_kind:     hidden_block_count_z
      - .offset:         52
        .size:           2
        .value_kind:     hidden_group_size_x
      - .offset:         54
        .size:           2
        .value_kind:     hidden_group_size_y
      - .offset:         56
        .size:           2
        .value_kind:     hidden_group_size_z
      - .offset:         58
        .size:           2
        .value_kind:     hidden_remainder_x
      - .offset:         60
        .size:           2
        .value_kind:     hidden_remainder_y
      - .offset:         62
        .size:           2
        .value_kind:     hidden_remainder_z
      - .offset:         80
        .size:           8
        .value_kind:     hidden_global_offset_x
      - .offset:         88
        .size:           8
        .value_kind:     hidden_global_offset_y
      - .offset:         96
        .size:           8
        .value_kind:     hidden_global_offset_z
      - .offset:         104
        .size:           2
        .value_kind:     hidden_grid_dims
    .group_segment_fixed_size: 0
    .kernarg_segment_align: 8
    .kernarg_segment_size: 296
    .language:       OpenCL C
    .language_version:
      - 2
      - 0
    .max_flat_workgroup_size: 1024
    .name:           _ZL13mul_mat_vec_qIN3c104HalfELi256ELi8E11block_iq1_sLi1EXadL_ZL18vec_dot_iq1_s_q8_1PKvPK10block_q8_1RKiEEEvS4_S4_PT_iii
    .private_segment_fixed_size: 0
    .sgpr_count:     18
    .sgpr_spill_count: 0
    .symbol:         _ZL13mul_mat_vec_qIN3c104HalfELi256ELi8E11block_iq1_sLi1EXadL_ZL18vec_dot_iq1_s_q8_1PKvPK10block_q8_1RKiEEEvS4_S4_PT_iii.kd
    .uniform_work_group_size: 1
    .uses_dynamic_stack: false
    .vgpr_count:     28
    .vgpr_spill_count: 0
    .wavefront_size: 64
  - .args:
      - .actual_access:  read_only
        .address_space:  global
        .offset:         0
        .size:           8
        .value_kind:     global_buffer
      - .actual_access:  read_only
        .address_space:  global
        .offset:         8
        .size:           8
        .value_kind:     global_buffer
      - .actual_access:  write_only
        .address_space:  global
        .offset:         16
        .size:           8
        .value_kind:     global_buffer
      - .offset:         24
        .size:           4
        .value_kind:     by_value
      - .offset:         28
        .size:           4
        .value_kind:     by_value
      - .offset:         32
        .size:           4
        .value_kind:     by_value
      - .offset:         40
        .size:           4
        .value_kind:     hidden_block_count_x
      - .offset:         44
        .size:           4
        .value_kind:     hidden_block_count_y
      - .offset:         48
        .size:           4
        .value_kind:     hidden_block_count_z
      - .offset:         52
        .size:           2
        .value_kind:     hidden_group_size_x
      - .offset:         54
        .size:           2
        .value_kind:     hidden_group_size_y
      - .offset:         56
        .size:           2
        .value_kind:     hidden_group_size_z
      - .offset:         58
        .size:           2
        .value_kind:     hidden_remainder_x
      - .offset:         60
        .size:           2
        .value_kind:     hidden_remainder_y
      - .offset:         62
        .size:           2
        .value_kind:     hidden_remainder_z
      - .offset:         80
        .size:           8
        .value_kind:     hidden_global_offset_x
      - .offset:         88
        .size:           8
        .value_kind:     hidden_global_offset_y
      - .offset:         96
        .size:           8
        .value_kind:     hidden_global_offset_z
      - .offset:         104
        .size:           2
        .value_kind:     hidden_grid_dims
    .group_segment_fixed_size: 0
    .kernarg_segment_align: 8
    .kernarg_segment_size: 296
    .language:       OpenCL C
    .language_version:
      - 2
      - 0
    .max_flat_workgroup_size: 1024
    .name:           _ZL13mul_mat_vec_qIN3c104HalfELi32ELi4E12block_iq4_nlLi2EXadL_ZL19vec_dot_iq4_nl_q8_1PKvPK10block_q8_1RKiEEEvS4_S4_PT_iii
    .private_segment_fixed_size: 0
    .sgpr_count:     20
    .sgpr_spill_count: 0
    .symbol:         _ZL13mul_mat_vec_qIN3c104HalfELi32ELi4E12block_iq4_nlLi2EXadL_ZL19vec_dot_iq4_nl_q8_1PKvPK10block_q8_1RKiEEEvS4_S4_PT_iii.kd
    .uniform_work_group_size: 1
    .uses_dynamic_stack: false
    .vgpr_count:     24
    .vgpr_spill_count: 0
    .wavefront_size: 64
  - .args:
      - .actual_access:  read_only
        .address_space:  global
        .offset:         0
        .size:           8
        .value_kind:     global_buffer
      - .actual_access:  read_only
        .address_space:  global
        .offset:         8
        .size:           8
        .value_kind:     global_buffer
      - .actual_access:  write_only
        .address_space:  global
        .offset:         16
        .size:           8
        .value_kind:     global_buffer
      - .offset:         24
        .size:           4
        .value_kind:     by_value
      - .offset:         28
        .size:           4
        .value_kind:     by_value
      - .offset:         32
        .size:           4
        .value_kind:     by_value
      - .offset:         40
        .size:           4
        .value_kind:     hidden_block_count_x
      - .offset:         44
        .size:           4
        .value_kind:     hidden_block_count_y
      - .offset:         48
        .size:           4
        .value_kind:     hidden_block_count_z
      - .offset:         52
        .size:           2
        .value_kind:     hidden_group_size_x
      - .offset:         54
        .size:           2
        .value_kind:     hidden_group_size_y
      - .offset:         56
        .size:           2
        .value_kind:     hidden_group_size_z
      - .offset:         58
        .size:           2
        .value_kind:     hidden_remainder_x
      - .offset:         60
        .size:           2
        .value_kind:     hidden_remainder_y
      - .offset:         62
        .size:           2
        .value_kind:     hidden_remainder_z
      - .offset:         80
        .size:           8
        .value_kind:     hidden_global_offset_x
      - .offset:         88
        .size:           8
        .value_kind:     hidden_global_offset_y
      - .offset:         96
        .size:           8
        .value_kind:     hidden_global_offset_z
      - .offset:         104
        .size:           2
        .value_kind:     hidden_grid_dims
    .group_segment_fixed_size: 0
    .kernarg_segment_align: 8
    .kernarg_segment_size: 296
    .language:       OpenCL C
    .language_version:
      - 2
      - 0
    .max_flat_workgroup_size: 1024
    .name:           _ZL13mul_mat_vec_qIN3c104HalfELi256ELi8E11block_iq3_sLi1EXadL_ZL18vec_dot_iq3_s_q8_1PKvPK10block_q8_1RKiEEEvS4_S4_PT_iii
    .private_segment_fixed_size: 0
    .sgpr_count:     26
    .sgpr_spill_count: 0
    .symbol:         _ZL13mul_mat_vec_qIN3c104HalfELi256ELi8E11block_iq3_sLi1EXadL_ZL18vec_dot_iq3_s_q8_1PKvPK10block_q8_1RKiEEEvS4_S4_PT_iii.kd
    .uniform_work_group_size: 1
    .uses_dynamic_stack: false
    .vgpr_count:     46
    .vgpr_spill_count: 0
    .wavefront_size: 64
  - .args:
      - .actual_access:  read_only
        .address_space:  global
        .offset:         0
        .size:           8
        .value_kind:     global_buffer
      - .actual_access:  read_only
        .address_space:  global
        .offset:         8
        .size:           8
        .value_kind:     global_buffer
      - .actual_access:  write_only
        .address_space:  global
        .offset:         16
        .size:           8
        .value_kind:     global_buffer
      - .offset:         24
        .size:           4
        .value_kind:     by_value
      - .offset:         28
        .size:           4
        .value_kind:     by_value
      - .offset:         32
        .size:           4
        .value_kind:     by_value
      - .offset:         40
        .size:           4
        .value_kind:     hidden_block_count_x
      - .offset:         44
        .size:           4
        .value_kind:     hidden_block_count_y
      - .offset:         48
        .size:           4
        .value_kind:     hidden_block_count_z
      - .offset:         52
        .size:           2
        .value_kind:     hidden_group_size_x
      - .offset:         54
        .size:           2
        .value_kind:     hidden_group_size_y
      - .offset:         56
        .size:           2
        .value_kind:     hidden_group_size_z
      - .offset:         58
        .size:           2
        .value_kind:     hidden_remainder_x
      - .offset:         60
        .size:           2
        .value_kind:     hidden_remainder_y
      - .offset:         62
        .size:           2
        .value_kind:     hidden_remainder_z
      - .offset:         80
        .size:           8
        .value_kind:     hidden_global_offset_x
      - .offset:         88
        .size:           8
        .value_kind:     hidden_global_offset_y
      - .offset:         96
        .size:           8
        .value_kind:     hidden_global_offset_z
      - .offset:         104
        .size:           2
        .value_kind:     hidden_grid_dims
    .group_segment_fixed_size: 0
    .kernarg_segment_align: 8
    .kernarg_segment_size: 296
    .language:       OpenCL C
    .language_version:
      - 2
      - 0
    .max_flat_workgroup_size: 1024
    .name:           _ZL13mul_mat_vec_qIN3c104HalfELi256ELi8E11block_iq2_sLi1EXadL_ZL18vec_dot_iq2_s_q8_1PKvPK10block_q8_1RKiEEEvS4_S4_PT_iii
    .private_segment_fixed_size: 0
    .sgpr_count:     22
    .sgpr_spill_count: 0
    .symbol:         _ZL13mul_mat_vec_qIN3c104HalfELi256ELi8E11block_iq2_sLi1EXadL_ZL18vec_dot_iq2_s_q8_1PKvPK10block_q8_1RKiEEEvS4_S4_PT_iii.kd
    .uniform_work_group_size: 1
    .uses_dynamic_stack: false
    .vgpr_count:     64
    .vgpr_spill_count: 0
    .wavefront_size: 64
  - .args:
      - .actual_access:  read_only
        .address_space:  global
        .offset:         0
        .size:           8
        .value_kind:     global_buffer
      - .actual_access:  read_only
        .address_space:  global
        .offset:         8
        .size:           8
        .value_kind:     global_buffer
      - .actual_access:  write_only
        .address_space:  global
        .offset:         16
        .size:           8
        .value_kind:     global_buffer
      - .offset:         24
        .size:           4
        .value_kind:     by_value
      - .offset:         28
        .size:           4
        .value_kind:     by_value
      - .offset:         32
        .size:           4
        .value_kind:     by_value
      - .offset:         40
        .size:           4
        .value_kind:     hidden_block_count_x
      - .offset:         44
        .size:           4
        .value_kind:     hidden_block_count_y
      - .offset:         48
        .size:           4
        .value_kind:     hidden_block_count_z
      - .offset:         52
        .size:           2
        .value_kind:     hidden_group_size_x
      - .offset:         54
        .size:           2
        .value_kind:     hidden_group_size_y
      - .offset:         56
        .size:           2
        .value_kind:     hidden_group_size_z
      - .offset:         58
        .size:           2
        .value_kind:     hidden_remainder_x
      - .offset:         60
        .size:           2
        .value_kind:     hidden_remainder_y
      - .offset:         62
        .size:           2
        .value_kind:     hidden_remainder_z
      - .offset:         80
        .size:           8
        .value_kind:     hidden_global_offset_x
      - .offset:         88
        .size:           8
        .value_kind:     hidden_global_offset_y
      - .offset:         96
        .size:           8
        .value_kind:     hidden_global_offset_z
      - .offset:         104
        .size:           2
        .value_kind:     hidden_grid_dims
    .group_segment_fixed_size: 0
    .kernarg_segment_align: 8
    .kernarg_segment_size: 296
    .language:       OpenCL C
    .language_version:
      - 2
      - 0
    .max_flat_workgroup_size: 1024
    .name:           _ZL13mul_mat_vec_qIN3c104HalfELi256ELi8E12block_iq4_xsLi1EXadL_ZL19vec_dot_iq4_xs_q8_1PKvPK10block_q8_1RKiEEEvS4_S4_PT_iii
    .private_segment_fixed_size: 0
    .sgpr_count:     20
    .sgpr_spill_count: 0
    .symbol:         _ZL13mul_mat_vec_qIN3c104HalfELi256ELi8E12block_iq4_xsLi1EXadL_ZL19vec_dot_iq4_xs_q8_1PKvPK10block_q8_1RKiEEEvS4_S4_PT_iii.kd
    .uniform_work_group_size: 1
    .uses_dynamic_stack: false
    .vgpr_count:     32
    .vgpr_spill_count: 0
    .wavefront_size: 64
  - .args:
      - .actual_access:  read_only
        .address_space:  global
        .offset:         0
        .size:           8
        .value_kind:     global_buffer
      - .actual_access:  read_only
        .address_space:  global
        .offset:         8
        .size:           8
        .value_kind:     global_buffer
      - .actual_access:  write_only
        .address_space:  global
        .offset:         16
        .size:           8
        .value_kind:     global_buffer
      - .offset:         24
        .size:           4
        .value_kind:     by_value
      - .offset:         28
        .size:           4
        .value_kind:     by_value
      - .offset:         32
        .size:           4
        .value_kind:     by_value
      - .offset:         40
        .size:           4
        .value_kind:     hidden_block_count_x
      - .offset:         44
        .size:           4
        .value_kind:     hidden_block_count_y
      - .offset:         48
        .size:           4
        .value_kind:     hidden_block_count_z
      - .offset:         52
        .size:           2
        .value_kind:     hidden_group_size_x
      - .offset:         54
        .size:           2
        .value_kind:     hidden_group_size_y
      - .offset:         56
        .size:           2
        .value_kind:     hidden_group_size_z
      - .offset:         58
        .size:           2
        .value_kind:     hidden_remainder_x
      - .offset:         60
        .size:           2
        .value_kind:     hidden_remainder_y
      - .offset:         62
        .size:           2
        .value_kind:     hidden_remainder_z
      - .offset:         80
        .size:           8
        .value_kind:     hidden_global_offset_x
      - .offset:         88
        .size:           8
        .value_kind:     hidden_global_offset_y
      - .offset:         96
        .size:           8
        .value_kind:     hidden_global_offset_z
      - .offset:         104
        .size:           2
        .value_kind:     hidden_grid_dims
    .group_segment_fixed_size: 0
    .kernarg_segment_align: 8
    .kernarg_segment_size: 296
    .language:       OpenCL C
    .language_version:
      - 2
      - 0
    .max_flat_workgroup_size: 1024
    .name:           _ZL13mul_mat_vec_qIN3c104HalfELi256ELi8E11block_iq1_mLi1EXadL_ZL18vec_dot_iq1_m_q8_1PKvPK10block_q8_1RKiEEEvS4_S4_PT_iii
    .private_segment_fixed_size: 0
    .sgpr_count:     21
    .sgpr_spill_count: 0
    .symbol:         _ZL13mul_mat_vec_qIN3c104HalfELi256ELi8E11block_iq1_mLi1EXadL_ZL18vec_dot_iq1_m_q8_1PKvPK10block_q8_1RKiEEEvS4_S4_PT_iii.kd
    .uniform_work_group_size: 1
    .uses_dynamic_stack: false
    .vgpr_count:     34
    .vgpr_spill_count: 0
    .wavefront_size: 64
  - .args:
      - .actual_access:  read_only
        .address_space:  global
        .offset:         0
        .size:           8
        .value_kind:     global_buffer
      - .actual_access:  write_only
        .address_space:  global
        .offset:         8
        .size:           8
        .value_kind:     global_buffer
      - .offset:         16
        .size:           4
        .value_kind:     by_value
      - .offset:         20
        .size:           4
        .value_kind:     by_value
      - .offset:         24
        .size:           4
        .value_kind:     hidden_block_count_x
      - .offset:         28
        .size:           4
        .value_kind:     hidden_block_count_y
      - .offset:         32
        .size:           4
        .value_kind:     hidden_block_count_z
      - .offset:         36
        .size:           2
        .value_kind:     hidden_group_size_x
      - .offset:         38
        .size:           2
        .value_kind:     hidden_group_size_y
      - .offset:         40
        .size:           2
        .value_kind:     hidden_group_size_z
      - .offset:         42
        .size:           2
        .value_kind:     hidden_remainder_x
      - .offset:         44
        .size:           2
        .value_kind:     hidden_remainder_y
      - .offset:         46
        .size:           2
        .value_kind:     hidden_remainder_z
      - .offset:         64
        .size:           8
        .value_kind:     hidden_global_offset_x
      - .offset:         72
        .size:           8
        .value_kind:     hidden_global_offset_y
      - .offset:         80
        .size:           8
        .value_kind:     hidden_global_offset_z
      - .offset:         88
        .size:           2
        .value_kind:     hidden_grid_dims
    .group_segment_fixed_size: 0
    .kernarg_segment_align: 8
    .kernarg_segment_size: 280
    .language:       OpenCL C
    .language_version:
      - 2
      - 0
    .max_flat_workgroup_size: 1024
    .name:           _ZL13quantize_q8_1IN3c108BFloat16EEvPKT_Pvii
    .private_segment_fixed_size: 0
    .sgpr_count:     14
    .sgpr_spill_count: 0
    .symbol:         _ZL13quantize_q8_1IN3c108BFloat16EEvPKT_Pvii.kd
    .uniform_work_group_size: 1
    .uses_dynamic_stack: false
    .vgpr_count:     14
    .vgpr_spill_count: 0
    .wavefront_size: 64
  - .args:
      - .actual_access:  read_only
        .address_space:  global
        .offset:         0
        .size:           8
        .value_kind:     global_buffer
      - .actual_access:  read_only
        .address_space:  global
        .offset:         8
        .size:           8
        .value_kind:     global_buffer
      - .actual_access:  write_only
        .address_space:  global
        .offset:         16
        .size:           8
        .value_kind:     global_buffer
      - .offset:         24
        .size:           4
        .value_kind:     by_value
      - .offset:         28
        .size:           4
        .value_kind:     by_value
      - .offset:         32
        .size:           4
        .value_kind:     by_value
      - .offset:         40
        .size:           4
        .value_kind:     hidden_block_count_x
      - .offset:         44
        .size:           4
        .value_kind:     hidden_block_count_y
      - .offset:         48
        .size:           4
        .value_kind:     hidden_block_count_z
      - .offset:         52
        .size:           2
        .value_kind:     hidden_group_size_x
      - .offset:         54
        .size:           2
        .value_kind:     hidden_group_size_y
      - .offset:         56
        .size:           2
        .value_kind:     hidden_group_size_z
      - .offset:         58
        .size:           2
        .value_kind:     hidden_remainder_x
      - .offset:         60
        .size:           2
        .value_kind:     hidden_remainder_y
      - .offset:         62
        .size:           2
        .value_kind:     hidden_remainder_z
      - .offset:         80
        .size:           8
        .value_kind:     hidden_global_offset_x
      - .offset:         88
        .size:           8
        .value_kind:     hidden_global_offset_y
      - .offset:         96
        .size:           8
        .value_kind:     hidden_global_offset_z
      - .offset:         104
        .size:           2
        .value_kind:     hidden_grid_dims
    .group_segment_fixed_size: 0
    .kernarg_segment_align: 8
    .kernarg_segment_size: 296
    .language:       OpenCL C
    .language_version:
      - 2
      - 0
    .max_flat_workgroup_size: 1024
    .name:           _ZL13mul_mat_vec_qIN3c108BFloat16ELi32ELi4E10block_q4_0Li2EXadL_ZL17vec_dot_q4_0_q8_1PKvPK10block_q8_1RKiEEEvS4_S4_PT_iii
    .private_segment_fixed_size: 0
    .sgpr_count:     20
    .sgpr_spill_count: 0
    .symbol:         _ZL13mul_mat_vec_qIN3c108BFloat16ELi32ELi4E10block_q4_0Li2EXadL_ZL17vec_dot_q4_0_q8_1PKvPK10block_q8_1RKiEEEvS4_S4_PT_iii.kd
    .uniform_work_group_size: 1
    .uses_dynamic_stack: false
    .vgpr_count:     22
    .vgpr_spill_count: 0
    .wavefront_size: 64
  - .args:
      - .actual_access:  read_only
        .address_space:  global
        .offset:         0
        .size:           8
        .value_kind:     global_buffer
      - .actual_access:  read_only
        .address_space:  global
        .offset:         8
        .size:           8
        .value_kind:     global_buffer
      - .actual_access:  write_only
        .address_space:  global
        .offset:         16
        .size:           8
        .value_kind:     global_buffer
      - .offset:         24
        .size:           4
        .value_kind:     by_value
      - .offset:         28
        .size:           4
        .value_kind:     by_value
      - .offset:         32
        .size:           4
        .value_kind:     by_value
      - .offset:         40
        .size:           4
        .value_kind:     hidden_block_count_x
      - .offset:         44
        .size:           4
        .value_kind:     hidden_block_count_y
      - .offset:         48
        .size:           4
        .value_kind:     hidden_block_count_z
      - .offset:         52
        .size:           2
        .value_kind:     hidden_group_size_x
      - .offset:         54
        .size:           2
        .value_kind:     hidden_group_size_y
      - .offset:         56
        .size:           2
        .value_kind:     hidden_group_size_z
      - .offset:         58
        .size:           2
        .value_kind:     hidden_remainder_x
      - .offset:         60
        .size:           2
        .value_kind:     hidden_remainder_y
      - .offset:         62
        .size:           2
        .value_kind:     hidden_remainder_z
      - .offset:         80
        .size:           8
        .value_kind:     hidden_global_offset_x
      - .offset:         88
        .size:           8
        .value_kind:     hidden_global_offset_y
      - .offset:         96
        .size:           8
        .value_kind:     hidden_global_offset_z
      - .offset:         104
        .size:           2
        .value_kind:     hidden_grid_dims
    .group_segment_fixed_size: 0
    .kernarg_segment_align: 8
    .kernarg_segment_size: 296
    .language:       OpenCL C
    .language_version:
      - 2
      - 0
    .max_flat_workgroup_size: 1024
    .name:           _ZL13mul_mat_vec_qIN3c108BFloat16ELi32ELi4E10block_q4_1Li2EXadL_ZL17vec_dot_q4_1_q8_1PKvPK10block_q8_1RKiEEEvS4_S4_PT_iii
    .private_segment_fixed_size: 0
    .sgpr_count:     20
    .sgpr_spill_count: 0
    .symbol:         _ZL13mul_mat_vec_qIN3c108BFloat16ELi32ELi4E10block_q4_1Li2EXadL_ZL17vec_dot_q4_1_q8_1PKvPK10block_q8_1RKiEEEvS4_S4_PT_iii.kd
    .uniform_work_group_size: 1
    .uses_dynamic_stack: false
    .vgpr_count:     22
    .vgpr_spill_count: 0
    .wavefront_size: 64
  - .args:
      - .actual_access:  read_only
        .address_space:  global
        .offset:         0
        .size:           8
        .value_kind:     global_buffer
      - .actual_access:  read_only
        .address_space:  global
        .offset:         8
        .size:           8
        .value_kind:     global_buffer
      - .actual_access:  write_only
        .address_space:  global
        .offset:         16
        .size:           8
        .value_kind:     global_buffer
      - .offset:         24
        .size:           4
        .value_kind:     by_value
      - .offset:         28
        .size:           4
        .value_kind:     by_value
      - .offset:         32
        .size:           4
        .value_kind:     by_value
      - .offset:         40
        .size:           4
        .value_kind:     hidden_block_count_x
      - .offset:         44
        .size:           4
        .value_kind:     hidden_block_count_y
      - .offset:         48
        .size:           4
        .value_kind:     hidden_block_count_z
      - .offset:         52
        .size:           2
        .value_kind:     hidden_group_size_x
      - .offset:         54
        .size:           2
        .value_kind:     hidden_group_size_y
      - .offset:         56
        .size:           2
        .value_kind:     hidden_group_size_z
      - .offset:         58
        .size:           2
        .value_kind:     hidden_remainder_x
      - .offset:         60
        .size:           2
        .value_kind:     hidden_remainder_y
      - .offset:         62
        .size:           2
        .value_kind:     hidden_remainder_z
      - .offset:         80
        .size:           8
        .value_kind:     hidden_global_offset_x
      - .offset:         88
        .size:           8
        .value_kind:     hidden_global_offset_y
      - .offset:         96
        .size:           8
        .value_kind:     hidden_global_offset_z
      - .offset:         104
        .size:           2
        .value_kind:     hidden_grid_dims
    .group_segment_fixed_size: 0
    .kernarg_segment_align: 8
    .kernarg_segment_size: 296
    .language:       OpenCL C
    .language_version:
      - 2
      - 0
    .max_flat_workgroup_size: 1024
    .name:           _ZL13mul_mat_vec_qIN3c108BFloat16ELi32ELi4E10block_q5_0Li2EXadL_ZL17vec_dot_q5_0_q8_1PKvPK10block_q8_1RKiEEEvS4_S4_PT_iii
    .private_segment_fixed_size: 0
    .sgpr_count:     20
    .sgpr_spill_count: 0
    .symbol:         _ZL13mul_mat_vec_qIN3c108BFloat16ELi32ELi4E10block_q5_0Li2EXadL_ZL17vec_dot_q5_0_q8_1PKvPK10block_q8_1RKiEEEvS4_S4_PT_iii.kd
    .uniform_work_group_size: 1
    .uses_dynamic_stack: false
    .vgpr_count:     24
    .vgpr_spill_count: 0
    .wavefront_size: 64
  - .args:
      - .actual_access:  read_only
        .address_space:  global
        .offset:         0
        .size:           8
        .value_kind:     global_buffer
      - .actual_access:  read_only
        .address_space:  global
        .offset:         8
        .size:           8
        .value_kind:     global_buffer
      - .actual_access:  write_only
        .address_space:  global
        .offset:         16
        .size:           8
        .value_kind:     global_buffer
      - .offset:         24
        .size:           4
        .value_kind:     by_value
      - .offset:         28
        .size:           4
        .value_kind:     by_value
      - .offset:         32
        .size:           4
        .value_kind:     by_value
      - .offset:         40
        .size:           4
        .value_kind:     hidden_block_count_x
      - .offset:         44
        .size:           4
        .value_kind:     hidden_block_count_y
      - .offset:         48
        .size:           4
        .value_kind:     hidden_block_count_z
      - .offset:         52
        .size:           2
        .value_kind:     hidden_group_size_x
      - .offset:         54
        .size:           2
        .value_kind:     hidden_group_size_y
      - .offset:         56
        .size:           2
        .value_kind:     hidden_group_size_z
      - .offset:         58
        .size:           2
        .value_kind:     hidden_remainder_x
      - .offset:         60
        .size:           2
        .value_kind:     hidden_remainder_y
      - .offset:         62
        .size:           2
        .value_kind:     hidden_remainder_z
      - .offset:         80
        .size:           8
        .value_kind:     hidden_global_offset_x
      - .offset:         88
        .size:           8
        .value_kind:     hidden_global_offset_y
      - .offset:         96
        .size:           8
        .value_kind:     hidden_global_offset_z
      - .offset:         104
        .size:           2
        .value_kind:     hidden_grid_dims
    .group_segment_fixed_size: 0
    .kernarg_segment_align: 8
    .kernarg_segment_size: 296
    .language:       OpenCL C
    .language_version:
      - 2
      - 0
    .max_flat_workgroup_size: 1024
    .name:           _ZL13mul_mat_vec_qIN3c108BFloat16ELi32ELi4E10block_q5_1Li2EXadL_ZL17vec_dot_q5_1_q8_1PKvPK10block_q8_1RKiEEEvS4_S4_PT_iii
    .private_segment_fixed_size: 0
    .sgpr_count:     20
    .sgpr_spill_count: 0
    .symbol:         _ZL13mul_mat_vec_qIN3c108BFloat16ELi32ELi4E10block_q5_1Li2EXadL_ZL17vec_dot_q5_1_q8_1PKvPK10block_q8_1RKiEEEvS4_S4_PT_iii.kd
    .uniform_work_group_size: 1
    .uses_dynamic_stack: false
    .vgpr_count:     22
    .vgpr_spill_count: 0
    .wavefront_size: 64
  - .args:
      - .actual_access:  read_only
        .address_space:  global
        .offset:         0
        .size:           8
        .value_kind:     global_buffer
      - .actual_access:  read_only
        .address_space:  global
        .offset:         8
        .size:           8
        .value_kind:     global_buffer
      - .actual_access:  write_only
        .address_space:  global
        .offset:         16
        .size:           8
        .value_kind:     global_buffer
      - .offset:         24
        .size:           4
        .value_kind:     by_value
      - .offset:         28
        .size:           4
        .value_kind:     by_value
      - .offset:         32
        .size:           4
        .value_kind:     by_value
      - .offset:         40
        .size:           4
        .value_kind:     hidden_block_count_x
      - .offset:         44
        .size:           4
        .value_kind:     hidden_block_count_y
      - .offset:         48
        .size:           4
        .value_kind:     hidden_block_count_z
      - .offset:         52
        .size:           2
        .value_kind:     hidden_group_size_x
      - .offset:         54
        .size:           2
        .value_kind:     hidden_group_size_y
      - .offset:         56
        .size:           2
        .value_kind:     hidden_group_size_z
      - .offset:         58
        .size:           2
        .value_kind:     hidden_remainder_x
      - .offset:         60
        .size:           2
        .value_kind:     hidden_remainder_y
      - .offset:         62
        .size:           2
        .value_kind:     hidden_remainder_z
      - .offset:         80
        .size:           8
        .value_kind:     hidden_global_offset_x
      - .offset:         88
        .size:           8
        .value_kind:     hidden_global_offset_y
      - .offset:         96
        .size:           8
        .value_kind:     hidden_global_offset_z
      - .offset:         104
        .size:           2
        .value_kind:     hidden_grid_dims
    .group_segment_fixed_size: 0
    .kernarg_segment_align: 8
    .kernarg_segment_size: 296
    .language:       OpenCL C
    .language_version:
      - 2
      - 0
    .max_flat_workgroup_size: 1024
    .name:           _ZL13mul_mat_vec_qIN3c108BFloat16ELi32ELi8E10block_q8_0Li2EXadL_ZL17vec_dot_q8_0_q8_1PKvPK10block_q8_1RKiEEEvS4_S4_PT_iii
    .private_segment_fixed_size: 0
    .sgpr_count:     20
    .sgpr_spill_count: 0
    .symbol:         _ZL13mul_mat_vec_qIN3c108BFloat16ELi32ELi8E10block_q8_0Li2EXadL_ZL17vec_dot_q8_0_q8_1PKvPK10block_q8_1RKiEEEvS4_S4_PT_iii.kd
    .uniform_work_group_size: 1
    .uses_dynamic_stack: false
    .vgpr_count:     20
    .vgpr_spill_count: 0
    .wavefront_size: 64
  - .args:
      - .actual_access:  read_only
        .address_space:  global
        .offset:         0
        .size:           8
        .value_kind:     global_buffer
      - .actual_access:  read_only
        .address_space:  global
        .offset:         8
        .size:           8
        .value_kind:     global_buffer
      - .actual_access:  write_only
        .address_space:  global
        .offset:         16
        .size:           8
        .value_kind:     global_buffer
      - .offset:         24
        .size:           4
        .value_kind:     by_value
      - .offset:         28
        .size:           4
        .value_kind:     by_value
      - .offset:         32
        .size:           4
        .value_kind:     by_value
      - .offset:         40
        .size:           4
        .value_kind:     hidden_block_count_x
      - .offset:         44
        .size:           4
        .value_kind:     hidden_block_count_y
      - .offset:         48
        .size:           4
        .value_kind:     hidden_block_count_z
      - .offset:         52
        .size:           2
        .value_kind:     hidden_group_size_x
      - .offset:         54
        .size:           2
        .value_kind:     hidden_group_size_y
      - .offset:         56
        .size:           2
        .value_kind:     hidden_group_size_z
      - .offset:         58
        .size:           2
        .value_kind:     hidden_remainder_x
      - .offset:         60
        .size:           2
        .value_kind:     hidden_remainder_y
      - .offset:         62
        .size:           2
        .value_kind:     hidden_remainder_z
      - .offset:         80
        .size:           8
        .value_kind:     hidden_global_offset_x
      - .offset:         88
        .size:           8
        .value_kind:     hidden_global_offset_y
      - .offset:         96
        .size:           8
        .value_kind:     hidden_global_offset_z
      - .offset:         104
        .size:           2
        .value_kind:     hidden_grid_dims
    .group_segment_fixed_size: 0
    .kernarg_segment_align: 8
    .kernarg_segment_size: 296
    .language:       OpenCL C
    .language_version:
      - 2
      - 0
    .max_flat_workgroup_size: 1024
    .name:           _ZL13mul_mat_vec_qIN3c108BFloat16ELi256ELi16E10block_q2_KLi1EXadL_ZL17vec_dot_q2_K_q8_1PKvPK10block_q8_1RKiEEEvS4_S4_PT_iii
    .private_segment_fixed_size: 0
    .sgpr_count:     20
    .sgpr_spill_count: 0
    .symbol:         _ZL13mul_mat_vec_qIN3c108BFloat16ELi256ELi16E10block_q2_KLi1EXadL_ZL17vec_dot_q2_K_q8_1PKvPK10block_q8_1RKiEEEvS4_S4_PT_iii.kd
    .uniform_work_group_size: 1
    .uses_dynamic_stack: false
    .vgpr_count:     31
    .vgpr_spill_count: 0
    .wavefront_size: 64
  - .args:
      - .actual_access:  read_only
        .address_space:  global
        .offset:         0
        .size:           8
        .value_kind:     global_buffer
      - .actual_access:  read_only
        .address_space:  global
        .offset:         8
        .size:           8
        .value_kind:     global_buffer
      - .actual_access:  write_only
        .address_space:  global
        .offset:         16
        .size:           8
        .value_kind:     global_buffer
      - .offset:         24
        .size:           4
        .value_kind:     by_value
      - .offset:         28
        .size:           4
        .value_kind:     by_value
      - .offset:         32
        .size:           4
        .value_kind:     by_value
      - .offset:         40
        .size:           4
        .value_kind:     hidden_block_count_x
      - .offset:         44
        .size:           4
        .value_kind:     hidden_block_count_y
      - .offset:         48
        .size:           4
        .value_kind:     hidden_block_count_z
      - .offset:         52
        .size:           2
        .value_kind:     hidden_group_size_x
      - .offset:         54
        .size:           2
        .value_kind:     hidden_group_size_y
      - .offset:         56
        .size:           2
        .value_kind:     hidden_group_size_z
      - .offset:         58
        .size:           2
        .value_kind:     hidden_remainder_x
      - .offset:         60
        .size:           2
        .value_kind:     hidden_remainder_y
      - .offset:         62
        .size:           2
        .value_kind:     hidden_remainder_z
      - .offset:         80
        .size:           8
        .value_kind:     hidden_global_offset_x
      - .offset:         88
        .size:           8
        .value_kind:     hidden_global_offset_y
      - .offset:         96
        .size:           8
        .value_kind:     hidden_global_offset_z
      - .offset:         104
        .size:           2
        .value_kind:     hidden_grid_dims
    .group_segment_fixed_size: 0
    .kernarg_segment_align: 8
    .kernarg_segment_size: 296
    .language:       OpenCL C
    .language_version:
      - 2
      - 0
    .max_flat_workgroup_size: 1024
    .name:           _ZL13mul_mat_vec_qIN3c108BFloat16ELi256ELi16E10block_q3_KLi1EXadL_ZL17vec_dot_q3_K_q8_1PKvPK10block_q8_1RKiEEEvS4_S4_PT_iii
    .private_segment_fixed_size: 0
    .sgpr_count:     18
    .sgpr_spill_count: 0
    .symbol:         _ZL13mul_mat_vec_qIN3c108BFloat16ELi256ELi16E10block_q3_KLi1EXadL_ZL17vec_dot_q3_K_q8_1PKvPK10block_q8_1RKiEEEvS4_S4_PT_iii.kd
    .uniform_work_group_size: 1
    .uses_dynamic_stack: false
    .vgpr_count:     63
    .vgpr_spill_count: 0
    .wavefront_size: 64
  - .args:
      - .actual_access:  read_only
        .address_space:  global
        .offset:         0
        .size:           8
        .value_kind:     global_buffer
      - .actual_access:  read_only
        .address_space:  global
        .offset:         8
        .size:           8
        .value_kind:     global_buffer
      - .actual_access:  write_only
        .address_space:  global
        .offset:         16
        .size:           8
        .value_kind:     global_buffer
      - .offset:         24
        .size:           4
        .value_kind:     by_value
      - .offset:         28
        .size:           4
        .value_kind:     by_value
      - .offset:         32
        .size:           4
        .value_kind:     by_value
      - .offset:         40
        .size:           4
        .value_kind:     hidden_block_count_x
      - .offset:         44
        .size:           4
        .value_kind:     hidden_block_count_y
      - .offset:         48
        .size:           4
        .value_kind:     hidden_block_count_z
      - .offset:         52
        .size:           2
        .value_kind:     hidden_group_size_x
      - .offset:         54
        .size:           2
        .value_kind:     hidden_group_size_y
      - .offset:         56
        .size:           2
        .value_kind:     hidden_group_size_z
      - .offset:         58
        .size:           2
        .value_kind:     hidden_remainder_x
      - .offset:         60
        .size:           2
        .value_kind:     hidden_remainder_y
      - .offset:         62
        .size:           2
        .value_kind:     hidden_remainder_z
      - .offset:         80
        .size:           8
        .value_kind:     hidden_global_offset_x
      - .offset:         88
        .size:           8
        .value_kind:     hidden_global_offset_y
      - .offset:         96
        .size:           8
        .value_kind:     hidden_global_offset_z
      - .offset:         104
        .size:           2
        .value_kind:     hidden_grid_dims
    .group_segment_fixed_size: 0
    .kernarg_segment_align: 8
    .kernarg_segment_size: 296
    .language:       OpenCL C
    .language_version:
      - 2
      - 0
    .max_flat_workgroup_size: 1024
    .name:           _ZL13mul_mat_vec_qIN3c108BFloat16ELi256ELi32E10block_q4_KLi2EXadL_ZL17vec_dot_q4_K_q8_1PKvPK10block_q8_1RKiEEEvS4_S4_PT_iii
    .private_segment_fixed_size: 0
    .sgpr_count:     20
    .sgpr_spill_count: 0
    .symbol:         _ZL13mul_mat_vec_qIN3c108BFloat16ELi256ELi32E10block_q4_KLi2EXadL_ZL17vec_dot_q4_K_q8_1PKvPK10block_q8_1RKiEEEvS4_S4_PT_iii.kd
    .uniform_work_group_size: 1
    .uses_dynamic_stack: false
    .vgpr_count:     28
    .vgpr_spill_count: 0
    .wavefront_size: 64
  - .args:
      - .actual_access:  read_only
        .address_space:  global
        .offset:         0
        .size:           8
        .value_kind:     global_buffer
      - .actual_access:  read_only
        .address_space:  global
        .offset:         8
        .size:           8
        .value_kind:     global_buffer
      - .actual_access:  write_only
        .address_space:  global
        .offset:         16
        .size:           8
        .value_kind:     global_buffer
      - .offset:         24
        .size:           4
        .value_kind:     by_value
      - .offset:         28
        .size:           4
        .value_kind:     by_value
      - .offset:         32
        .size:           4
        .value_kind:     by_value
      - .offset:         40
        .size:           4
        .value_kind:     hidden_block_count_x
      - .offset:         44
        .size:           4
        .value_kind:     hidden_block_count_y
      - .offset:         48
        .size:           4
        .value_kind:     hidden_block_count_z
      - .offset:         52
        .size:           2
        .value_kind:     hidden_group_size_x
      - .offset:         54
        .size:           2
        .value_kind:     hidden_group_size_y
      - .offset:         56
        .size:           2
        .value_kind:     hidden_group_size_z
      - .offset:         58
        .size:           2
        .value_kind:     hidden_remainder_x
      - .offset:         60
        .size:           2
        .value_kind:     hidden_remainder_y
      - .offset:         62
        .size:           2
        .value_kind:     hidden_remainder_z
      - .offset:         80
        .size:           8
        .value_kind:     hidden_global_offset_x
      - .offset:         88
        .size:           8
        .value_kind:     hidden_global_offset_y
      - .offset:         96
        .size:           8
        .value_kind:     hidden_global_offset_z
      - .offset:         104
        .size:           2
        .value_kind:     hidden_grid_dims
    .group_segment_fixed_size: 0
    .kernarg_segment_align: 8
    .kernarg_segment_size: 296
    .language:       OpenCL C
    .language_version:
      - 2
      - 0
    .max_flat_workgroup_size: 1024
    .name:           _ZL13mul_mat_vec_qIN3c108BFloat16ELi256ELi32E10block_q5_KLi2EXadL_ZL17vec_dot_q5_K_q8_1PKvPK10block_q8_1RKiEEEvS4_S4_PT_iii
    .private_segment_fixed_size: 0
    .sgpr_count:     21
    .sgpr_spill_count: 0
    .symbol:         _ZL13mul_mat_vec_qIN3c108BFloat16ELi256ELi32E10block_q5_KLi2EXadL_ZL17vec_dot_q5_K_q8_1PKvPK10block_q8_1RKiEEEvS4_S4_PT_iii.kd
    .uniform_work_group_size: 1
    .uses_dynamic_stack: false
    .vgpr_count:     32
    .vgpr_spill_count: 0
    .wavefront_size: 64
  - .args:
      - .actual_access:  read_only
        .address_space:  global
        .offset:         0
        .size:           8
        .value_kind:     global_buffer
      - .actual_access:  read_only
        .address_space:  global
        .offset:         8
        .size:           8
        .value_kind:     global_buffer
      - .actual_access:  write_only
        .address_space:  global
        .offset:         16
        .size:           8
        .value_kind:     global_buffer
      - .offset:         24
        .size:           4
        .value_kind:     by_value
      - .offset:         28
        .size:           4
        .value_kind:     by_value
      - .offset:         32
        .size:           4
        .value_kind:     by_value
      - .offset:         40
        .size:           4
        .value_kind:     hidden_block_count_x
      - .offset:         44
        .size:           4
        .value_kind:     hidden_block_count_y
      - .offset:         48
        .size:           4
        .value_kind:     hidden_block_count_z
      - .offset:         52
        .size:           2
        .value_kind:     hidden_group_size_x
      - .offset:         54
        .size:           2
        .value_kind:     hidden_group_size_y
      - .offset:         56
        .size:           2
        .value_kind:     hidden_group_size_z
      - .offset:         58
        .size:           2
        .value_kind:     hidden_remainder_x
      - .offset:         60
        .size:           2
        .value_kind:     hidden_remainder_y
      - .offset:         62
        .size:           2
        .value_kind:     hidden_remainder_z
      - .offset:         80
        .size:           8
        .value_kind:     hidden_global_offset_x
      - .offset:         88
        .size:           8
        .value_kind:     hidden_global_offset_y
      - .offset:         96
        .size:           8
        .value_kind:     hidden_global_offset_z
      - .offset:         104
        .size:           2
        .value_kind:     hidden_grid_dims
    .group_segment_fixed_size: 0
    .kernarg_segment_align: 8
    .kernarg_segment_size: 296
    .language:       OpenCL C
    .language_version:
      - 2
      - 0
    .max_flat_workgroup_size: 1024
    .name:           _ZL13mul_mat_vec_qIN3c108BFloat16ELi256ELi32E10block_q6_KLi1EXadL_ZL17vec_dot_q6_K_q8_1PKvPK10block_q8_1RKiEEEvS4_S4_PT_iii
    .private_segment_fixed_size: 0
    .sgpr_count:     20
    .sgpr_spill_count: 0
    .symbol:         _ZL13mul_mat_vec_qIN3c108BFloat16ELi256ELi32E10block_q6_KLi1EXadL_ZL17vec_dot_q6_K_q8_1PKvPK10block_q8_1RKiEEEvS4_S4_PT_iii.kd
    .uniform_work_group_size: 1
    .uses_dynamic_stack: false
    .vgpr_count:     31
    .vgpr_spill_count: 0
    .wavefront_size: 64
  - .args:
      - .actual_access:  read_only
        .address_space:  global
        .offset:         0
        .size:           8
        .value_kind:     global_buffer
      - .actual_access:  read_only
        .address_space:  global
        .offset:         8
        .size:           8
        .value_kind:     global_buffer
      - .actual_access:  write_only
        .address_space:  global
        .offset:         16
        .size:           8
        .value_kind:     global_buffer
      - .offset:         24
        .size:           4
        .value_kind:     by_value
      - .offset:         28
        .size:           4
        .value_kind:     by_value
      - .offset:         32
        .size:           4
        .value_kind:     by_value
      - .offset:         40
        .size:           4
        .value_kind:     hidden_block_count_x
      - .offset:         44
        .size:           4
        .value_kind:     hidden_block_count_y
      - .offset:         48
        .size:           4
        .value_kind:     hidden_block_count_z
      - .offset:         52
        .size:           2
        .value_kind:     hidden_group_size_x
      - .offset:         54
        .size:           2
        .value_kind:     hidden_group_size_y
      - .offset:         56
        .size:           2
        .value_kind:     hidden_group_size_z
      - .offset:         58
        .size:           2
        .value_kind:     hidden_remainder_x
      - .offset:         60
        .size:           2
        .value_kind:     hidden_remainder_y
      - .offset:         62
        .size:           2
        .value_kind:     hidden_remainder_z
      - .offset:         80
        .size:           8
        .value_kind:     hidden_global_offset_x
      - .offset:         88
        .size:           8
        .value_kind:     hidden_global_offset_y
      - .offset:         96
        .size:           8
        .value_kind:     hidden_global_offset_z
      - .offset:         104
        .size:           2
        .value_kind:     hidden_grid_dims
    .group_segment_fixed_size: 0
    .kernarg_segment_align: 8
    .kernarg_segment_size: 296
    .language:       OpenCL C
    .language_version:
      - 2
      - 0
    .max_flat_workgroup_size: 1024
    .name:           _ZL13mul_mat_vec_qIN3c108BFloat16ELi256ELi8E13block_iq2_xxsLi1EXadL_ZL20vec_dot_iq2_xxs_q8_1PKvPK10block_q8_1RKiEEEvS4_S4_PT_iii
    .private_segment_fixed_size: 0
    .sgpr_count:     20
    .sgpr_spill_count: 0
    .symbol:         _ZL13mul_mat_vec_qIN3c108BFloat16ELi256ELi8E13block_iq2_xxsLi1EXadL_ZL20vec_dot_iq2_xxs_q8_1PKvPK10block_q8_1RKiEEEvS4_S4_PT_iii.kd
    .uniform_work_group_size: 1
    .uses_dynamic_stack: false
    .vgpr_count:     30
    .vgpr_spill_count: 0
    .wavefront_size: 64
  - .args:
      - .actual_access:  read_only
        .address_space:  global
        .offset:         0
        .size:           8
        .value_kind:     global_buffer
      - .actual_access:  read_only
        .address_space:  global
        .offset:         8
        .size:           8
        .value_kind:     global_buffer
      - .actual_access:  write_only
        .address_space:  global
        .offset:         16
        .size:           8
        .value_kind:     global_buffer
      - .offset:         24
        .size:           4
        .value_kind:     by_value
      - .offset:         28
        .size:           4
        .value_kind:     by_value
      - .offset:         32
        .size:           4
        .value_kind:     by_value
      - .offset:         40
        .size:           4
        .value_kind:     hidden_block_count_x
      - .offset:         44
        .size:           4
        .value_kind:     hidden_block_count_y
      - .offset:         48
        .size:           4
        .value_kind:     hidden_block_count_z
      - .offset:         52
        .size:           2
        .value_kind:     hidden_group_size_x
      - .offset:         54
        .size:           2
        .value_kind:     hidden_group_size_y
      - .offset:         56
        .size:           2
        .value_kind:     hidden_group_size_z
      - .offset:         58
        .size:           2
        .value_kind:     hidden_remainder_x
      - .offset:         60
        .size:           2
        .value_kind:     hidden_remainder_y
      - .offset:         62
        .size:           2
        .value_kind:     hidden_remainder_z
      - .offset:         80
        .size:           8
        .value_kind:     hidden_global_offset_x
      - .offset:         88
        .size:           8
        .value_kind:     hidden_global_offset_y
      - .offset:         96
        .size:           8
        .value_kind:     hidden_global_offset_z
      - .offset:         104
        .size:           2
        .value_kind:     hidden_grid_dims
    .group_segment_fixed_size: 0
    .kernarg_segment_align: 8
    .kernarg_segment_size: 296
    .language:       OpenCL C
    .language_version:
      - 2
      - 0
    .max_flat_workgroup_size: 1024
    .name:           _ZL13mul_mat_vec_qIN3c108BFloat16ELi256ELi8E12block_iq2_xsLi1EXadL_ZL19vec_dot_iq2_xs_q8_1PKvPK10block_q8_1RKiEEEvS4_S4_PT_iii
    .private_segment_fixed_size: 0
    .sgpr_count:     20
    .sgpr_spill_count: 0
    .symbol:         _ZL13mul_mat_vec_qIN3c108BFloat16ELi256ELi8E12block_iq2_xsLi1EXadL_ZL19vec_dot_iq2_xs_q8_1PKvPK10block_q8_1RKiEEEvS4_S4_PT_iii.kd
    .uniform_work_group_size: 1
    .uses_dynamic_stack: false
    .vgpr_count:     38
    .vgpr_spill_count: 0
    .wavefront_size: 64
  - .args:
      - .actual_access:  read_only
        .address_space:  global
        .offset:         0
        .size:           8
        .value_kind:     global_buffer
      - .actual_access:  read_only
        .address_space:  global
        .offset:         8
        .size:           8
        .value_kind:     global_buffer
      - .actual_access:  write_only
        .address_space:  global
        .offset:         16
        .size:           8
        .value_kind:     global_buffer
      - .offset:         24
        .size:           4
        .value_kind:     by_value
      - .offset:         28
        .size:           4
        .value_kind:     by_value
      - .offset:         32
        .size:           4
        .value_kind:     by_value
      - .offset:         40
        .size:           4
        .value_kind:     hidden_block_count_x
      - .offset:         44
        .size:           4
        .value_kind:     hidden_block_count_y
      - .offset:         48
        .size:           4
        .value_kind:     hidden_block_count_z
      - .offset:         52
        .size:           2
        .value_kind:     hidden_group_size_x
      - .offset:         54
        .size:           2
        .value_kind:     hidden_group_size_y
      - .offset:         56
        .size:           2
        .value_kind:     hidden_group_size_z
      - .offset:         58
        .size:           2
        .value_kind:     hidden_remainder_x
      - .offset:         60
        .size:           2
        .value_kind:     hidden_remainder_y
      - .offset:         62
        .size:           2
        .value_kind:     hidden_remainder_z
      - .offset:         80
        .size:           8
        .value_kind:     hidden_global_offset_x
      - .offset:         88
        .size:           8
        .value_kind:     hidden_global_offset_y
      - .offset:         96
        .size:           8
        .value_kind:     hidden_global_offset_z
      - .offset:         104
        .size:           2
        .value_kind:     hidden_grid_dims
    .group_segment_fixed_size: 0
    .kernarg_segment_align: 8
    .kernarg_segment_size: 296
    .language:       OpenCL C
    .language_version:
      - 2
      - 0
    .max_flat_workgroup_size: 1024
    .name:           _ZL13mul_mat_vec_qIN3c108BFloat16ELi256ELi8E13block_iq3_xxsLi1EXadL_ZL20vec_dot_iq3_xxs_q8_1PKvPK10block_q8_1RKiEEEvS4_S4_PT_iii
    .private_segment_fixed_size: 0
    .sgpr_count:     21
    .sgpr_spill_count: 0
    .symbol:         _ZL13mul_mat_vec_qIN3c108BFloat16ELi256ELi8E13block_iq3_xxsLi1EXadL_ZL20vec_dot_iq3_xxs_q8_1PKvPK10block_q8_1RKiEEEvS4_S4_PT_iii.kd
    .uniform_work_group_size: 1
    .uses_dynamic_stack: false
    .vgpr_count:     32
    .vgpr_spill_count: 0
    .wavefront_size: 64
  - .args:
      - .actual_access:  read_only
        .address_space:  global
        .offset:         0
        .size:           8
        .value_kind:     global_buffer
      - .actual_access:  read_only
        .address_space:  global
        .offset:         8
        .size:           8
        .value_kind:     global_buffer
      - .actual_access:  write_only
        .address_space:  global
        .offset:         16
        .size:           8
        .value_kind:     global_buffer
      - .offset:         24
        .size:           4
        .value_kind:     by_value
      - .offset:         28
        .size:           4
        .value_kind:     by_value
      - .offset:         32
        .size:           4
        .value_kind:     by_value
      - .offset:         40
        .size:           4
        .value_kind:     hidden_block_count_x
      - .offset:         44
        .size:           4
        .value_kind:     hidden_block_count_y
      - .offset:         48
        .size:           4
        .value_kind:     hidden_block_count_z
      - .offset:         52
        .size:           2
        .value_kind:     hidden_group_size_x
      - .offset:         54
        .size:           2
        .value_kind:     hidden_group_size_y
      - .offset:         56
        .size:           2
        .value_kind:     hidden_group_size_z
      - .offset:         58
        .size:           2
        .value_kind:     hidden_remainder_x
      - .offset:         60
        .size:           2
        .value_kind:     hidden_remainder_y
      - .offset:         62
        .size:           2
        .value_kind:     hidden_remainder_z
      - .offset:         80
        .size:           8
        .value_kind:     hidden_global_offset_x
      - .offset:         88
        .size:           8
        .value_kind:     hidden_global_offset_y
      - .offset:         96
        .size:           8
        .value_kind:     hidden_global_offset_z
      - .offset:         104
        .size:           2
        .value_kind:     hidden_grid_dims
    .group_segment_fixed_size: 0
    .kernarg_segment_align: 8
    .kernarg_segment_size: 296
    .language:       OpenCL C
    .language_version:
      - 2
      - 0
    .max_flat_workgroup_size: 1024
    .name:           _ZL13mul_mat_vec_qIN3c108BFloat16ELi256ELi8E11block_iq1_sLi1EXadL_ZL18vec_dot_iq1_s_q8_1PKvPK10block_q8_1RKiEEEvS4_S4_PT_iii
    .private_segment_fixed_size: 0
    .sgpr_count:     18
    .sgpr_spill_count: 0
    .symbol:         _ZL13mul_mat_vec_qIN3c108BFloat16ELi256ELi8E11block_iq1_sLi1EXadL_ZL18vec_dot_iq1_s_q8_1PKvPK10block_q8_1RKiEEEvS4_S4_PT_iii.kd
    .uniform_work_group_size: 1
    .uses_dynamic_stack: false
    .vgpr_count:     28
    .vgpr_spill_count: 0
    .wavefront_size: 64
  - .args:
      - .actual_access:  read_only
        .address_space:  global
        .offset:         0
        .size:           8
        .value_kind:     global_buffer
      - .actual_access:  read_only
        .address_space:  global
        .offset:         8
        .size:           8
        .value_kind:     global_buffer
      - .actual_access:  write_only
        .address_space:  global
        .offset:         16
        .size:           8
        .value_kind:     global_buffer
      - .offset:         24
        .size:           4
        .value_kind:     by_value
      - .offset:         28
        .size:           4
        .value_kind:     by_value
      - .offset:         32
        .size:           4
        .value_kind:     by_value
      - .offset:         40
        .size:           4
        .value_kind:     hidden_block_count_x
      - .offset:         44
        .size:           4
        .value_kind:     hidden_block_count_y
      - .offset:         48
        .size:           4
        .value_kind:     hidden_block_count_z
      - .offset:         52
        .size:           2
        .value_kind:     hidden_group_size_x
      - .offset:         54
        .size:           2
        .value_kind:     hidden_group_size_y
      - .offset:         56
        .size:           2
        .value_kind:     hidden_group_size_z
      - .offset:         58
        .size:           2
        .value_kind:     hidden_remainder_x
      - .offset:         60
        .size:           2
        .value_kind:     hidden_remainder_y
      - .offset:         62
        .size:           2
        .value_kind:     hidden_remainder_z
      - .offset:         80
        .size:           8
        .value_kind:     hidden_global_offset_x
      - .offset:         88
        .size:           8
        .value_kind:     hidden_global_offset_y
      - .offset:         96
        .size:           8
        .value_kind:     hidden_global_offset_z
      - .offset:         104
        .size:           2
        .value_kind:     hidden_grid_dims
    .group_segment_fixed_size: 0
    .kernarg_segment_align: 8
    .kernarg_segment_size: 296
    .language:       OpenCL C
    .language_version:
      - 2
      - 0
    .max_flat_workgroup_size: 1024
    .name:           _ZL13mul_mat_vec_qIN3c108BFloat16ELi32ELi4E12block_iq4_nlLi2EXadL_ZL19vec_dot_iq4_nl_q8_1PKvPK10block_q8_1RKiEEEvS4_S4_PT_iii
    .private_segment_fixed_size: 0
    .sgpr_count:     20
    .sgpr_spill_count: 0
    .symbol:         _ZL13mul_mat_vec_qIN3c108BFloat16ELi32ELi4E12block_iq4_nlLi2EXadL_ZL19vec_dot_iq4_nl_q8_1PKvPK10block_q8_1RKiEEEvS4_S4_PT_iii.kd
    .uniform_work_group_size: 1
    .uses_dynamic_stack: false
    .vgpr_count:     24
    .vgpr_spill_count: 0
    .wavefront_size: 64
  - .args:
      - .actual_access:  read_only
        .address_space:  global
        .offset:         0
        .size:           8
        .value_kind:     global_buffer
      - .actual_access:  read_only
        .address_space:  global
        .offset:         8
        .size:           8
        .value_kind:     global_buffer
      - .actual_access:  write_only
        .address_space:  global
        .offset:         16
        .size:           8
        .value_kind:     global_buffer
      - .offset:         24
        .size:           4
        .value_kind:     by_value
      - .offset:         28
        .size:           4
        .value_kind:     by_value
      - .offset:         32
        .size:           4
        .value_kind:     by_value
      - .offset:         40
        .size:           4
        .value_kind:     hidden_block_count_x
      - .offset:         44
        .size:           4
        .value_kind:     hidden_block_count_y
      - .offset:         48
        .size:           4
        .value_kind:     hidden_block_count_z
      - .offset:         52
        .size:           2
        .value_kind:     hidden_group_size_x
      - .offset:         54
        .size:           2
        .value_kind:     hidden_group_size_y
      - .offset:         56
        .size:           2
        .value_kind:     hidden_group_size_z
      - .offset:         58
        .size:           2
        .value_kind:     hidden_remainder_x
      - .offset:         60
        .size:           2
        .value_kind:     hidden_remainder_y
      - .offset:         62
        .size:           2
        .value_kind:     hidden_remainder_z
      - .offset:         80
        .size:           8
        .value_kind:     hidden_global_offset_x
      - .offset:         88
        .size:           8
        .value_kind:     hidden_global_offset_y
      - .offset:         96
        .size:           8
        .value_kind:     hidden_global_offset_z
      - .offset:         104
        .size:           2
        .value_kind:     hidden_grid_dims
    .group_segment_fixed_size: 0
    .kernarg_segment_align: 8
    .kernarg_segment_size: 296
    .language:       OpenCL C
    .language_version:
      - 2
      - 0
    .max_flat_workgroup_size: 1024
    .name:           _ZL13mul_mat_vec_qIN3c108BFloat16ELi256ELi8E11block_iq3_sLi1EXadL_ZL18vec_dot_iq3_s_q8_1PKvPK10block_q8_1RKiEEEvS4_S4_PT_iii
    .private_segment_fixed_size: 0
    .sgpr_count:     26
    .sgpr_spill_count: 0
    .symbol:         _ZL13mul_mat_vec_qIN3c108BFloat16ELi256ELi8E11block_iq3_sLi1EXadL_ZL18vec_dot_iq3_s_q8_1PKvPK10block_q8_1RKiEEEvS4_S4_PT_iii.kd
    .uniform_work_group_size: 1
    .uses_dynamic_stack: false
    .vgpr_count:     46
    .vgpr_spill_count: 0
    .wavefront_size: 64
  - .args:
      - .actual_access:  read_only
        .address_space:  global
        .offset:         0
        .size:           8
        .value_kind:     global_buffer
      - .actual_access:  read_only
        .address_space:  global
        .offset:         8
        .size:           8
        .value_kind:     global_buffer
      - .actual_access:  write_only
        .address_space:  global
        .offset:         16
        .size:           8
        .value_kind:     global_buffer
      - .offset:         24
        .size:           4
        .value_kind:     by_value
      - .offset:         28
        .size:           4
        .value_kind:     by_value
      - .offset:         32
        .size:           4
        .value_kind:     by_value
      - .offset:         40
        .size:           4
        .value_kind:     hidden_block_count_x
      - .offset:         44
        .size:           4
        .value_kind:     hidden_block_count_y
      - .offset:         48
        .size:           4
        .value_kind:     hidden_block_count_z
      - .offset:         52
        .size:           2
        .value_kind:     hidden_group_size_x
      - .offset:         54
        .size:           2
        .value_kind:     hidden_group_size_y
      - .offset:         56
        .size:           2
        .value_kind:     hidden_group_size_z
      - .offset:         58
        .size:           2
        .value_kind:     hidden_remainder_x
      - .offset:         60
        .size:           2
        .value_kind:     hidden_remainder_y
      - .offset:         62
        .size:           2
        .value_kind:     hidden_remainder_z
      - .offset:         80
        .size:           8
        .value_kind:     hidden_global_offset_x
      - .offset:         88
        .size:           8
        .value_kind:     hidden_global_offset_y
      - .offset:         96
        .size:           8
        .value_kind:     hidden_global_offset_z
      - .offset:         104
        .size:           2
        .value_kind:     hidden_grid_dims
    .group_segment_fixed_size: 0
    .kernarg_segment_align: 8
    .kernarg_segment_size: 296
    .language:       OpenCL C
    .language_version:
      - 2
      - 0
    .max_flat_workgroup_size: 1024
    .name:           _ZL13mul_mat_vec_qIN3c108BFloat16ELi256ELi8E11block_iq2_sLi1EXadL_ZL18vec_dot_iq2_s_q8_1PKvPK10block_q8_1RKiEEEvS4_S4_PT_iii
    .private_segment_fixed_size: 0
    .sgpr_count:     22
    .sgpr_spill_count: 0
    .symbol:         _ZL13mul_mat_vec_qIN3c108BFloat16ELi256ELi8E11block_iq2_sLi1EXadL_ZL18vec_dot_iq2_s_q8_1PKvPK10block_q8_1RKiEEEvS4_S4_PT_iii.kd
    .uniform_work_group_size: 1
    .uses_dynamic_stack: false
    .vgpr_count:     64
    .vgpr_spill_count: 0
    .wavefront_size: 64
  - .args:
      - .actual_access:  read_only
        .address_space:  global
        .offset:         0
        .size:           8
        .value_kind:     global_buffer
      - .actual_access:  read_only
        .address_space:  global
        .offset:         8
        .size:           8
        .value_kind:     global_buffer
      - .actual_access:  write_only
        .address_space:  global
        .offset:         16
        .size:           8
        .value_kind:     global_buffer
      - .offset:         24
        .size:           4
        .value_kind:     by_value
      - .offset:         28
        .size:           4
        .value_kind:     by_value
      - .offset:         32
        .size:           4
        .value_kind:     by_value
      - .offset:         40
        .size:           4
        .value_kind:     hidden_block_count_x
      - .offset:         44
        .size:           4
        .value_kind:     hidden_block_count_y
      - .offset:         48
        .size:           4
        .value_kind:     hidden_block_count_z
      - .offset:         52
        .size:           2
        .value_kind:     hidden_group_size_x
      - .offset:         54
        .size:           2
        .value_kind:     hidden_group_size_y
      - .offset:         56
        .size:           2
        .value_kind:     hidden_group_size_z
      - .offset:         58
        .size:           2
        .value_kind:     hidden_remainder_x
      - .offset:         60
        .size:           2
        .value_kind:     hidden_remainder_y
      - .offset:         62
        .size:           2
        .value_kind:     hidden_remainder_z
      - .offset:         80
        .size:           8
        .value_kind:     hidden_global_offset_x
      - .offset:         88
        .size:           8
        .value_kind:     hidden_global_offset_y
      - .offset:         96
        .size:           8
        .value_kind:     hidden_global_offset_z
      - .offset:         104
        .size:           2
        .value_kind:     hidden_grid_dims
    .group_segment_fixed_size: 0
    .kernarg_segment_align: 8
    .kernarg_segment_size: 296
    .language:       OpenCL C
    .language_version:
      - 2
      - 0
    .max_flat_workgroup_size: 1024
    .name:           _ZL13mul_mat_vec_qIN3c108BFloat16ELi256ELi8E12block_iq4_xsLi1EXadL_ZL19vec_dot_iq4_xs_q8_1PKvPK10block_q8_1RKiEEEvS4_S4_PT_iii
    .private_segment_fixed_size: 0
    .sgpr_count:     20
    .sgpr_spill_count: 0
    .symbol:         _ZL13mul_mat_vec_qIN3c108BFloat16ELi256ELi8E12block_iq4_xsLi1EXadL_ZL19vec_dot_iq4_xs_q8_1PKvPK10block_q8_1RKiEEEvS4_S4_PT_iii.kd
    .uniform_work_group_size: 1
    .uses_dynamic_stack: false
    .vgpr_count:     32
    .vgpr_spill_count: 0
    .wavefront_size: 64
  - .args:
      - .actual_access:  read_only
        .address_space:  global
        .offset:         0
        .size:           8
        .value_kind:     global_buffer
      - .actual_access:  read_only
        .address_space:  global
        .offset:         8
        .size:           8
        .value_kind:     global_buffer
      - .actual_access:  write_only
        .address_space:  global
        .offset:         16
        .size:           8
        .value_kind:     global_buffer
      - .offset:         24
        .size:           4
        .value_kind:     by_value
      - .offset:         28
        .size:           4
        .value_kind:     by_value
      - .offset:         32
        .size:           4
        .value_kind:     by_value
      - .offset:         40
        .size:           4
        .value_kind:     hidden_block_count_x
      - .offset:         44
        .size:           4
        .value_kind:     hidden_block_count_y
      - .offset:         48
        .size:           4
        .value_kind:     hidden_block_count_z
      - .offset:         52
        .size:           2
        .value_kind:     hidden_group_size_x
      - .offset:         54
        .size:           2
        .value_kind:     hidden_group_size_y
      - .offset:         56
        .size:           2
        .value_kind:     hidden_group_size_z
      - .offset:         58
        .size:           2
        .value_kind:     hidden_remainder_x
      - .offset:         60
        .size:           2
        .value_kind:     hidden_remainder_y
      - .offset:         62
        .size:           2
        .value_kind:     hidden_remainder_z
      - .offset:         80
        .size:           8
        .value_kind:     hidden_global_offset_x
      - .offset:         88
        .size:           8
        .value_kind:     hidden_global_offset_y
      - .offset:         96
        .size:           8
        .value_kind:     hidden_global_offset_z
      - .offset:         104
        .size:           2
        .value_kind:     hidden_grid_dims
    .group_segment_fixed_size: 0
    .kernarg_segment_align: 8
    .kernarg_segment_size: 296
    .language:       OpenCL C
    .language_version:
      - 2
      - 0
    .max_flat_workgroup_size: 1024
    .name:           _ZL13mul_mat_vec_qIN3c108BFloat16ELi256ELi8E11block_iq1_mLi1EXadL_ZL18vec_dot_iq1_m_q8_1PKvPK10block_q8_1RKiEEEvS4_S4_PT_iii
    .private_segment_fixed_size: 0
    .sgpr_count:     21
    .sgpr_spill_count: 0
    .symbol:         _ZL13mul_mat_vec_qIN3c108BFloat16ELi256ELi8E11block_iq1_mLi1EXadL_ZL18vec_dot_iq1_m_q8_1PKvPK10block_q8_1RKiEEEvS4_S4_PT_iii.kd
    .uniform_work_group_size: 1
    .uses_dynamic_stack: false
    .vgpr_count:     34
    .vgpr_spill_count: 0
    .wavefront_size: 64
  - .args:
      - .actual_access:  read_only
        .address_space:  global
        .offset:         0
        .size:           8
        .value_kind:     global_buffer
      - .actual_access:  read_only
        .address_space:  global
        .offset:         8
        .size:           8
        .value_kind:     global_buffer
      - .actual_access:  write_only
        .address_space:  global
        .offset:         16
        .size:           8
        .value_kind:     global_buffer
      - .offset:         24
        .size:           4
        .value_kind:     by_value
      - .offset:         28
        .size:           4
        .value_kind:     by_value
      - .offset:         32
        .size:           4
        .value_kind:     by_value
      - .offset:         36
        .size:           4
        .value_kind:     by_value
      - .offset:         40
        .size:           4
        .value_kind:     by_value
    .group_segment_fixed_size: 30336
    .kernarg_segment_align: 8
    .kernarg_segment_size: 44
    .language:       OpenCL C
    .language_version:
      - 2
      - 0
    .max_flat_workgroup_size: 256
    .name:           _ZL12mul_mat_q4_0IfLb0EEvPKvS1_PT_iiiii
    .private_segment_fixed_size: 116
    .sgpr_count:     28
    .sgpr_spill_count: 0
    .symbol:         _ZL12mul_mat_q4_0IfLb0EEvPKvS1_PT_iiiii.kd
    .uniform_work_group_size: 1
    .uses_dynamic_stack: false
    .vgpr_count:     128
    .vgpr_spill_count: 28
    .wavefront_size: 64
  - .args:
      - .actual_access:  read_only
        .address_space:  global
        .offset:         0
        .size:           8
        .value_kind:     global_buffer
      - .actual_access:  read_only
        .address_space:  global
        .offset:         8
        .size:           8
        .value_kind:     global_buffer
      - .actual_access:  write_only
        .address_space:  global
        .offset:         16
        .size:           8
        .value_kind:     global_buffer
      - .offset:         24
        .size:           4
        .value_kind:     by_value
      - .offset:         28
        .size:           4
        .value_kind:     by_value
      - .offset:         32
        .size:           4
        .value_kind:     by_value
      - .offset:         36
        .size:           4
        .value_kind:     by_value
      - .offset:         40
        .size:           4
        .value_kind:     by_value
    .group_segment_fixed_size: 30336
    .kernarg_segment_align: 8
    .kernarg_segment_size: 44
    .language:       OpenCL C
    .language_version:
      - 2
      - 0
    .max_flat_workgroup_size: 256
    .name:           _ZL12mul_mat_q4_0IfLb1EEvPKvS1_PT_iiiii
    .private_segment_fixed_size: 192
    .sgpr_count:     28
    .sgpr_spill_count: 0
    .symbol:         _ZL12mul_mat_q4_0IfLb1EEvPKvS1_PT_iiiii.kd
    .uniform_work_group_size: 1
    .uses_dynamic_stack: false
    .vgpr_count:     128
    .vgpr_spill_count: 47
    .wavefront_size: 64
  - .args:
      - .actual_access:  read_only
        .address_space:  global
        .offset:         0
        .size:           8
        .value_kind:     global_buffer
      - .actual_access:  read_only
        .address_space:  global
        .offset:         8
        .size:           8
        .value_kind:     global_buffer
      - .actual_access:  write_only
        .address_space:  global
        .offset:         16
        .size:           8
        .value_kind:     global_buffer
      - .offset:         24
        .size:           4
        .value_kind:     by_value
      - .offset:         28
        .size:           4
        .value_kind:     by_value
      - .offset:         32
        .size:           4
        .value_kind:     by_value
      - .offset:         36
        .size:           4
        .value_kind:     by_value
      - .offset:         40
        .size:           4
        .value_kind:     by_value
    .group_segment_fixed_size: 30336
    .kernarg_segment_align: 8
    .kernarg_segment_size: 44
    .language:       OpenCL C
    .language_version:
      - 2
      - 0
    .max_flat_workgroup_size: 256
    .name:           _ZL12mul_mat_q4_1IfLb0EEvPKvS1_PT_iiiii
    .private_segment_fixed_size: 116
    .sgpr_count:     28
    .sgpr_spill_count: 0
    .symbol:         _ZL12mul_mat_q4_1IfLb0EEvPKvS1_PT_iiiii.kd
    .uniform_work_group_size: 1
    .uses_dynamic_stack: false
    .vgpr_count:     128
    .vgpr_spill_count: 28
    .wavefront_size: 64
  - .args:
      - .actual_access:  read_only
        .address_space:  global
        .offset:         0
        .size:           8
        .value_kind:     global_buffer
      - .actual_access:  read_only
        .address_space:  global
        .offset:         8
        .size:           8
        .value_kind:     global_buffer
      - .actual_access:  write_only
        .address_space:  global
        .offset:         16
        .size:           8
        .value_kind:     global_buffer
      - .offset:         24
        .size:           4
        .value_kind:     by_value
      - .offset:         28
        .size:           4
        .value_kind:     by_value
      - .offset:         32
        .size:           4
        .value_kind:     by_value
      - .offset:         36
        .size:           4
        .value_kind:     by_value
      - .offset:         40
        .size:           4
        .value_kind:     by_value
    .group_segment_fixed_size: 30336
    .kernarg_segment_align: 8
    .kernarg_segment_size: 44
    .language:       OpenCL C
    .language_version:
      - 2
      - 0
    .max_flat_workgroup_size: 256
    .name:           _ZL12mul_mat_q4_1IfLb1EEvPKvS1_PT_iiiii
    .private_segment_fixed_size: 184
    .sgpr_count:     28
    .sgpr_spill_count: 0
    .symbol:         _ZL12mul_mat_q4_1IfLb1EEvPKvS1_PT_iiiii.kd
    .uniform_work_group_size: 1
    .uses_dynamic_stack: false
    .vgpr_count:     128
    .vgpr_spill_count: 45
    .wavefront_size: 64
  - .args:
      - .actual_access:  read_only
        .address_space:  global
        .offset:         0
        .size:           8
        .value_kind:     global_buffer
      - .actual_access:  read_only
        .address_space:  global
        .offset:         8
        .size:           8
        .value_kind:     global_buffer
      - .actual_access:  write_only
        .address_space:  global
        .offset:         16
        .size:           8
        .value_kind:     global_buffer
      - .offset:         24
        .size:           4
        .value_kind:     by_value
      - .offset:         28
        .size:           4
        .value_kind:     by_value
      - .offset:         32
        .size:           4
        .value_kind:     by_value
      - .offset:         36
        .size:           4
        .value_kind:     by_value
      - .offset:         40
        .size:           4
        .value_kind:     by_value
    .group_segment_fixed_size: 46720
    .kernarg_segment_align: 8
    .kernarg_segment_size: 44
    .language:       OpenCL C
    .language_version:
      - 2
      - 0
    .max_flat_workgroup_size: 256
    .name:           _ZL12mul_mat_q5_0IfLb0EEvPKvS1_PT_iiiii
    .private_segment_fixed_size: 0
    .sgpr_count:     24
    .sgpr_spill_count: 0
    .symbol:         _ZL12mul_mat_q5_0IfLb0EEvPKvS1_PT_iiiii.kd
    .uniform_work_group_size: 1
    .uses_dynamic_stack: false
    .vgpr_count:     171
    .vgpr_spill_count: 0
    .wavefront_size: 64
  - .args:
      - .actual_access:  read_only
        .address_space:  global
        .offset:         0
        .size:           8
        .value_kind:     global_buffer
      - .actual_access:  read_only
        .address_space:  global
        .offset:         8
        .size:           8
        .value_kind:     global_buffer
      - .actual_access:  write_only
        .address_space:  global
        .offset:         16
        .size:           8
        .value_kind:     global_buffer
      - .offset:         24
        .size:           4
        .value_kind:     by_value
      - .offset:         28
        .size:           4
        .value_kind:     by_value
      - .offset:         32
        .size:           4
        .value_kind:     by_value
      - .offset:         36
        .size:           4
        .value_kind:     by_value
      - .offset:         40
        .size:           4
        .value_kind:     by_value
    .group_segment_fixed_size: 46720
    .kernarg_segment_align: 8
    .kernarg_segment_size: 44
    .language:       OpenCL C
    .language_version:
      - 2
      - 0
    .max_flat_workgroup_size: 256
    .name:           _ZL12mul_mat_q5_0IfLb1EEvPKvS1_PT_iiiii
    .private_segment_fixed_size: 0
    .sgpr_count:     24
    .sgpr_spill_count: 0
    .symbol:         _ZL12mul_mat_q5_0IfLb1EEvPKvS1_PT_iiiii.kd
    .uniform_work_group_size: 1
    .uses_dynamic_stack: false
    .vgpr_count:     171
    .vgpr_spill_count: 0
    .wavefront_size: 64
  - .args:
      - .actual_access:  read_only
        .address_space:  global
        .offset:         0
        .size:           8
        .value_kind:     global_buffer
      - .actual_access:  read_only
        .address_space:  global
        .offset:         8
        .size:           8
        .value_kind:     global_buffer
      - .actual_access:  write_only
        .address_space:  global
        .offset:         16
        .size:           8
        .value_kind:     global_buffer
      - .offset:         24
        .size:           4
        .value_kind:     by_value
      - .offset:         28
        .size:           4
        .value_kind:     by_value
      - .offset:         32
        .size:           4
        .value_kind:     by_value
      - .offset:         36
        .size:           4
        .value_kind:     by_value
      - .offset:         40
        .size:           4
        .value_kind:     by_value
    .group_segment_fixed_size: 46720
    .kernarg_segment_align: 8
    .kernarg_segment_size: 44
    .language:       OpenCL C
    .language_version:
      - 2
      - 0
    .max_flat_workgroup_size: 256
    .name:           _ZL12mul_mat_q5_1IfLb0EEvPKvS1_PT_iiiii
    .private_segment_fixed_size: 0
    .sgpr_count:     22
    .sgpr_spill_count: 0
    .symbol:         _ZL12mul_mat_q5_1IfLb0EEvPKvS1_PT_iiiii.kd
    .uniform_work_group_size: 1
    .uses_dynamic_stack: false
    .vgpr_count:     168
    .vgpr_spill_count: 0
    .wavefront_size: 64
  - .args:
      - .actual_access:  read_only
        .address_space:  global
        .offset:         0
        .size:           8
        .value_kind:     global_buffer
      - .actual_access:  read_only
        .address_space:  global
        .offset:         8
        .size:           8
        .value_kind:     global_buffer
      - .actual_access:  write_only
        .address_space:  global
        .offset:         16
        .size:           8
        .value_kind:     global_buffer
      - .offset:         24
        .size:           4
        .value_kind:     by_value
      - .offset:         28
        .size:           4
        .value_kind:     by_value
      - .offset:         32
        .size:           4
        .value_kind:     by_value
      - .offset:         36
        .size:           4
        .value_kind:     by_value
      - .offset:         40
        .size:           4
        .value_kind:     by_value
    .group_segment_fixed_size: 46720
    .kernarg_segment_align: 8
    .kernarg_segment_size: 44
    .language:       OpenCL C
    .language_version:
      - 2
      - 0
    .max_flat_workgroup_size: 256
    .name:           _ZL12mul_mat_q5_1IfLb1EEvPKvS1_PT_iiiii
    .private_segment_fixed_size: 0
    .sgpr_count:     22
    .sgpr_spill_count: 0
    .symbol:         _ZL12mul_mat_q5_1IfLb1EEvPKvS1_PT_iiiii.kd
    .uniform_work_group_size: 1
    .uses_dynamic_stack: false
    .vgpr_count:     168
    .vgpr_spill_count: 0
    .wavefront_size: 64
  - .args:
      - .actual_access:  read_only
        .address_space:  global
        .offset:         0
        .size:           8
        .value_kind:     global_buffer
      - .actual_access:  read_only
        .address_space:  global
        .offset:         8
        .size:           8
        .value_kind:     global_buffer
      - .actual_access:  write_only
        .address_space:  global
        .offset:         16
        .size:           8
        .value_kind:     global_buffer
      - .offset:         24
        .size:           4
        .value_kind:     by_value
      - .offset:         28
        .size:           4
        .value_kind:     by_value
      - .offset:         32
        .size:           4
        .value_kind:     by_value
      - .offset:         36
        .size:           4
        .value_kind:     by_value
      - .offset:         40
        .size:           4
        .value_kind:     by_value
    .group_segment_fixed_size: 28224
    .kernarg_segment_align: 8
    .kernarg_segment_size: 44
    .language:       OpenCL C
    .language_version:
      - 2
      - 0
    .max_flat_workgroup_size: 256
    .name:           _ZL12mul_mat_q8_0IfLb0EEvPKvS1_PT_iiiii
    .private_segment_fixed_size: 52
    .sgpr_count:     24
    .sgpr_spill_count: 0
    .symbol:         _ZL12mul_mat_q8_0IfLb0EEvPKvS1_PT_iiiii.kd
    .uniform_work_group_size: 1
    .uses_dynamic_stack: false
    .vgpr_count:     128
    .vgpr_spill_count: 12
    .wavefront_size: 64
  - .args:
      - .actual_access:  read_only
        .address_space:  global
        .offset:         0
        .size:           8
        .value_kind:     global_buffer
      - .actual_access:  read_only
        .address_space:  global
        .offset:         8
        .size:           8
        .value_kind:     global_buffer
      - .actual_access:  write_only
        .address_space:  global
        .offset:         16
        .size:           8
        .value_kind:     global_buffer
      - .offset:         24
        .size:           4
        .value_kind:     by_value
      - .offset:         28
        .size:           4
        .value_kind:     by_value
      - .offset:         32
        .size:           4
        .value_kind:     by_value
      - .offset:         36
        .size:           4
        .value_kind:     by_value
      - .offset:         40
        .size:           4
        .value_kind:     by_value
    .group_segment_fixed_size: 28224
    .kernarg_segment_align: 8
    .kernarg_segment_size: 44
    .language:       OpenCL C
    .language_version:
      - 2
      - 0
    .max_flat_workgroup_size: 256
    .name:           _ZL12mul_mat_q8_0IfLb1EEvPKvS1_PT_iiiii
    .private_segment_fixed_size: 176
    .sgpr_count:     28
    .sgpr_spill_count: 0
    .symbol:         _ZL12mul_mat_q8_0IfLb1EEvPKvS1_PT_iiiii.kd
    .uniform_work_group_size: 1
    .uses_dynamic_stack: false
    .vgpr_count:     128
    .vgpr_spill_count: 43
    .wavefront_size: 64
  - .args:
      - .actual_access:  read_only
        .address_space:  global
        .offset:         0
        .size:           8
        .value_kind:     global_buffer
      - .actual_access:  read_only
        .address_space:  global
        .offset:         8
        .size:           8
        .value_kind:     global_buffer
      - .actual_access:  write_only
        .address_space:  global
        .offset:         16
        .size:           8
        .value_kind:     global_buffer
      - .offset:         24
        .size:           4
        .value_kind:     by_value
      - .offset:         28
        .size:           4
        .value_kind:     by_value
      - .offset:         32
        .size:           4
        .value_kind:     by_value
      - .offset:         36
        .size:           4
        .value_kind:     by_value
      - .offset:         40
        .size:           4
        .value_kind:     by_value
    .group_segment_fixed_size: 31392
    .kernarg_segment_align: 8
    .kernarg_segment_size: 44
    .language:       OpenCL C
    .language_version:
      - 2
      - 0
    .max_flat_workgroup_size: 256
    .name:           _ZL12mul_mat_q2_KIfLb0EEvPKvS1_PT_iiiii
    .private_segment_fixed_size: 264
    .sgpr_count:     28
    .sgpr_spill_count: 0
    .symbol:         _ZL12mul_mat_q2_KIfLb0EEvPKvS1_PT_iiiii.kd
    .uniform_work_group_size: 1
    .uses_dynamic_stack: false
    .vgpr_count:     128
    .vgpr_spill_count: 65
    .wavefront_size: 64
  - .args:
      - .actual_access:  read_only
        .address_space:  global
        .offset:         0
        .size:           8
        .value_kind:     global_buffer
      - .actual_access:  read_only
        .address_space:  global
        .offset:         8
        .size:           8
        .value_kind:     global_buffer
      - .actual_access:  write_only
        .address_space:  global
        .offset:         16
        .size:           8
        .value_kind:     global_buffer
      - .offset:         24
        .size:           4
        .value_kind:     by_value
      - .offset:         28
        .size:           4
        .value_kind:     by_value
      - .offset:         32
        .size:           4
        .value_kind:     by_value
      - .offset:         36
        .size:           4
        .value_kind:     by_value
      - .offset:         40
        .size:           4
        .value_kind:     by_value
    .group_segment_fixed_size: 31392
    .kernarg_segment_align: 8
    .kernarg_segment_size: 44
    .language:       OpenCL C
    .language_version:
      - 2
      - 0
    .max_flat_workgroup_size: 256
    .name:           _ZL12mul_mat_q2_KIfLb1EEvPKvS1_PT_iiiii
    .private_segment_fixed_size: 436
    .sgpr_count:     28
    .sgpr_spill_count: 0
    .symbol:         _ZL12mul_mat_q2_KIfLb1EEvPKvS1_PT_iiiii.kd
    .uniform_work_group_size: 1
    .uses_dynamic_stack: false
    .vgpr_count:     128
    .vgpr_spill_count: 108
    .wavefront_size: 64
  - .args:
      - .actual_access:  read_only
        .address_space:  global
        .offset:         0
        .size:           8
        .value_kind:     global_buffer
      - .actual_access:  read_only
        .address_space:  global
        .offset:         8
        .size:           8
        .value_kind:     global_buffer
      - .actual_access:  write_only
        .address_space:  global
        .offset:         16
        .size:           8
        .value_kind:     global_buffer
      - .offset:         24
        .size:           4
        .value_kind:     by_value
      - .offset:         28
        .size:           4
        .value_kind:     by_value
      - .offset:         32
        .size:           4
        .value_kind:     by_value
      - .offset:         36
        .size:           4
        .value_kind:     by_value
      - .offset:         40
        .size:           4
        .value_kind:     by_value
    .group_segment_fixed_size: 39840
    .kernarg_segment_align: 8
    .kernarg_segment_size: 44
    .language:       OpenCL C
    .language_version:
      - 2
      - 0
    .max_flat_workgroup_size: 256
    .name:           _ZL12mul_mat_q3_KIfLb0EEvPKvS1_PT_iiiii
    .private_segment_fixed_size: 0
    .sgpr_count:     29
    .sgpr_spill_count: 0
    .symbol:         _ZL12mul_mat_q3_KIfLb0EEvPKvS1_PT_iiiii.kd
    .uniform_work_group_size: 1
    .uses_dynamic_stack: false
    .vgpr_count:     242
    .vgpr_spill_count: 0
    .wavefront_size: 64
  - .args:
      - .actual_access:  read_only
        .address_space:  global
        .offset:         0
        .size:           8
        .value_kind:     global_buffer
      - .actual_access:  read_only
        .address_space:  global
        .offset:         8
        .size:           8
        .value_kind:     global_buffer
      - .actual_access:  write_only
        .address_space:  global
        .offset:         16
        .size:           8
        .value_kind:     global_buffer
      - .offset:         24
        .size:           4
        .value_kind:     by_value
      - .offset:         28
        .size:           4
        .value_kind:     by_value
      - .offset:         32
        .size:           4
        .value_kind:     by_value
      - .offset:         36
        .size:           4
        .value_kind:     by_value
      - .offset:         40
        .size:           4
        .value_kind:     by_value
    .group_segment_fixed_size: 39840
    .kernarg_segment_align: 8
    .kernarg_segment_size: 44
    .language:       OpenCL C
    .language_version:
      - 2
      - 0
    .max_flat_workgroup_size: 256
    .name:           _ZL12mul_mat_q3_KIfLb1EEvPKvS1_PT_iiiii
    .private_segment_fixed_size: 0
    .sgpr_count:     29
    .sgpr_spill_count: 0
    .symbol:         _ZL12mul_mat_q3_KIfLb1EEvPKvS1_PT_iiiii.kd
    .uniform_work_group_size: 1
    .uses_dynamic_stack: false
    .vgpr_count:     244
    .vgpr_spill_count: 0
    .wavefront_size: 64
  - .args:
      - .actual_access:  read_only
        .address_space:  global
        .offset:         0
        .size:           8
        .value_kind:     global_buffer
      - .actual_access:  read_only
        .address_space:  global
        .offset:         8
        .size:           8
        .value_kind:     global_buffer
      - .actual_access:  write_only
        .address_space:  global
        .offset:         16
        .size:           8
        .value_kind:     global_buffer
      - .offset:         24
        .size:           4
        .value_kind:     by_value
      - .offset:         28
        .size:           4
        .value_kind:     by_value
      - .offset:         32
        .size:           4
        .value_kind:     by_value
      - .offset:         36
        .size:           4
        .value_kind:     by_value
      - .offset:         40
        .size:           4
        .value_kind:     by_value
    .group_segment_fixed_size: 28752
    .kernarg_segment_align: 8
    .kernarg_segment_size: 44
    .language:       OpenCL C
    .language_version:
      - 2
      - 0
    .max_flat_workgroup_size: 256
    .name:           _ZL12mul_mat_q4_KIfLb0EEvPKvS1_PT_iiiii
    .private_segment_fixed_size: 432
    .sgpr_count:     28
    .sgpr_spill_count: 0
    .symbol:         _ZL12mul_mat_q4_KIfLb0EEvPKvS1_PT_iiiii.kd
    .uniform_work_group_size: 1
    .uses_dynamic_stack: false
    .vgpr_count:     128
    .vgpr_spill_count: 136
    .wavefront_size: 64
  - .args:
      - .actual_access:  read_only
        .address_space:  global
        .offset:         0
        .size:           8
        .value_kind:     global_buffer
      - .actual_access:  read_only
        .address_space:  global
        .offset:         8
        .size:           8
        .value_kind:     global_buffer
      - .actual_access:  write_only
        .address_space:  global
        .offset:         16
        .size:           8
        .value_kind:     global_buffer
      - .offset:         24
        .size:           4
        .value_kind:     by_value
      - .offset:         28
        .size:           4
        .value_kind:     by_value
      - .offset:         32
        .size:           4
        .value_kind:     by_value
      - .offset:         36
        .size:           4
        .value_kind:     by_value
      - .offset:         40
        .size:           4
        .value_kind:     by_value
    .group_segment_fixed_size: 28752
    .kernarg_segment_align: 8
    .kernarg_segment_size: 44
    .language:       OpenCL C
    .language_version:
      - 2
      - 0
    .max_flat_workgroup_size: 256
    .name:           _ZL12mul_mat_q4_KIfLb1EEvPKvS1_PT_iiiii
    .private_segment_fixed_size: 564
    .sgpr_count:     28
    .sgpr_spill_count: 0
    .symbol:         _ZL12mul_mat_q4_KIfLb1EEvPKvS1_PT_iiiii.kd
    .uniform_work_group_size: 1
    .uses_dynamic_stack: false
    .vgpr_count:     128
    .vgpr_spill_count: 167
    .wavefront_size: 64
  - .args:
      - .actual_access:  read_only
        .address_space:  global
        .offset:         0
        .size:           8
        .value_kind:     global_buffer
      - .actual_access:  read_only
        .address_space:  global
        .offset:         8
        .size:           8
        .value_kind:     global_buffer
      - .actual_access:  write_only
        .address_space:  global
        .offset:         16
        .size:           8
        .value_kind:     global_buffer
      - .offset:         24
        .size:           4
        .value_kind:     by_value
      - .offset:         28
        .size:           4
        .value_kind:     by_value
      - .offset:         32
        .size:           4
        .value_kind:     by_value
      - .offset:         36
        .size:           4
        .value_kind:     by_value
      - .offset:         40
        .size:           4
        .value_kind:     by_value
    .group_segment_fixed_size: 45136
    .kernarg_segment_align: 8
    .kernarg_segment_size: 44
    .language:       OpenCL C
    .language_version:
      - 2
      - 0
    .max_flat_workgroup_size: 256
    .name:           _ZL12mul_mat_q5_KIfLb0EEvPKvS1_PT_iiiii
    .private_segment_fixed_size: 0
    .sgpr_count:     25
    .sgpr_spill_count: 0
    .symbol:         _ZL12mul_mat_q5_KIfLb0EEvPKvS1_PT_iiiii.kd
    .uniform_work_group_size: 1
    .uses_dynamic_stack: false
    .vgpr_count:     241
    .vgpr_spill_count: 0
    .wavefront_size: 64
  - .args:
      - .actual_access:  read_only
        .address_space:  global
        .offset:         0
        .size:           8
        .value_kind:     global_buffer
      - .actual_access:  read_only
        .address_space:  global
        .offset:         8
        .size:           8
        .value_kind:     global_buffer
      - .actual_access:  write_only
        .address_space:  global
        .offset:         16
        .size:           8
        .value_kind:     global_buffer
      - .offset:         24
        .size:           4
        .value_kind:     by_value
      - .offset:         28
        .size:           4
        .value_kind:     by_value
      - .offset:         32
        .size:           4
        .value_kind:     by_value
      - .offset:         36
        .size:           4
        .value_kind:     by_value
      - .offset:         40
        .size:           4
        .value_kind:     by_value
    .group_segment_fixed_size: 45136
    .kernarg_segment_align: 8
    .kernarg_segment_size: 44
    .language:       OpenCL C
    .language_version:
      - 2
      - 0
    .max_flat_workgroup_size: 256
    .name:           _ZL12mul_mat_q5_KIfLb1EEvPKvS1_PT_iiiii
    .private_segment_fixed_size: 0
    .sgpr_count:     25
    .sgpr_spill_count: 0
    .symbol:         _ZL12mul_mat_q5_KIfLb1EEvPKvS1_PT_iiiii.kd
    .uniform_work_group_size: 1
    .uses_dynamic_stack: false
    .vgpr_count:     241
    .vgpr_spill_count: 0
    .wavefront_size: 64
  - .args:
      - .actual_access:  read_only
        .address_space:  global
        .offset:         0
        .size:           8
        .value_kind:     global_buffer
      - .actual_access:  read_only
        .address_space:  global
        .offset:         8
        .size:           8
        .value_kind:     global_buffer
      - .actual_access:  write_only
        .address_space:  global
        .offset:         16
        .size:           8
        .value_kind:     global_buffer
      - .offset:         24
        .size:           4
        .value_kind:     by_value
      - .offset:         28
        .size:           4
        .value_kind:     by_value
      - .offset:         32
        .size:           4
        .value_kind:     by_value
      - .offset:         36
        .size:           4
        .value_kind:     by_value
      - .offset:         40
        .size:           4
        .value_kind:     by_value
    .group_segment_fixed_size: 45136
    .kernarg_segment_align: 8
    .kernarg_segment_size: 44
    .language:       OpenCL C
    .language_version:
      - 2
      - 0
    .max_flat_workgroup_size: 256
    .name:           _ZL12mul_mat_q6_KIfLb0EEvPKvS1_PT_iiiii
    .private_segment_fixed_size: 116
    .sgpr_count:     32
    .sgpr_spill_count: 0
    .symbol:         _ZL12mul_mat_q6_KIfLb0EEvPKvS1_PT_iiiii.kd
    .uniform_work_group_size: 1
    .uses_dynamic_stack: false
    .vgpr_count:     256
    .vgpr_spill_count: 28
    .wavefront_size: 64
  - .args:
      - .actual_access:  read_only
        .address_space:  global
        .offset:         0
        .size:           8
        .value_kind:     global_buffer
      - .actual_access:  read_only
        .address_space:  global
        .offset:         8
        .size:           8
        .value_kind:     global_buffer
      - .actual_access:  write_only
        .address_space:  global
        .offset:         16
        .size:           8
        .value_kind:     global_buffer
      - .offset:         24
        .size:           4
        .value_kind:     by_value
      - .offset:         28
        .size:           4
        .value_kind:     by_value
      - .offset:         32
        .size:           4
        .value_kind:     by_value
      - .offset:         36
        .size:           4
        .value_kind:     by_value
      - .offset:         40
        .size:           4
        .value_kind:     by_value
    .group_segment_fixed_size: 45136
    .kernarg_segment_align: 8
    .kernarg_segment_size: 44
    .language:       OpenCL C
    .language_version:
      - 2
      - 0
    .max_flat_workgroup_size: 256
    .name:           _ZL12mul_mat_q6_KIfLb1EEvPKvS1_PT_iiiii
    .private_segment_fixed_size: 232
    .sgpr_count:     32
    .sgpr_spill_count: 0
    .symbol:         _ZL12mul_mat_q6_KIfLb1EEvPKvS1_PT_iiiii.kd
    .uniform_work_group_size: 1
    .uses_dynamic_stack: false
    .vgpr_count:     256
    .vgpr_spill_count: 57
    .wavefront_size: 64
  - .args:
      - .actual_access:  read_only
        .address_space:  global
        .offset:         0
        .size:           8
        .value_kind:     global_buffer
      - .actual_access:  read_only
        .address_space:  global
        .offset:         8
        .size:           8
        .value_kind:     global_buffer
      - .actual_access:  write_only
        .address_space:  global
        .offset:         16
        .size:           8
        .value_kind:     global_buffer
      - .offset:         24
        .size:           4
        .value_kind:     by_value
      - .offset:         28
        .size:           4
        .value_kind:     by_value
      - .offset:         32
        .size:           4
        .value_kind:     by_value
      - .offset:         36
        .size:           4
        .value_kind:     by_value
      - .offset:         40
        .size:           4
        .value_kind:     by_value
    .group_segment_fixed_size: 30336
    .kernarg_segment_align: 8
    .kernarg_segment_size: 44
    .language:       OpenCL C
    .language_version:
      - 2
      - 0
    .max_flat_workgroup_size: 256
    .name:           _ZL12mul_mat_q4_0IN3c104HalfELb0EEvPKvS3_PT_iiiii
    .private_segment_fixed_size: 128
    .sgpr_count:     28
    .sgpr_spill_count: 0
    .symbol:         _ZL12mul_mat_q4_0IN3c104HalfELb0EEvPKvS3_PT_iiiii.kd
    .uniform_work_group_size: 1
    .uses_dynamic_stack: false
    .vgpr_count:     128
    .vgpr_spill_count: 31
    .wavefront_size: 64
  - .args:
      - .actual_access:  read_only
        .address_space:  global
        .offset:         0
        .size:           8
        .value_kind:     global_buffer
      - .actual_access:  read_only
        .address_space:  global
        .offset:         8
        .size:           8
        .value_kind:     global_buffer
      - .actual_access:  write_only
        .address_space:  global
        .offset:         16
        .size:           8
        .value_kind:     global_buffer
      - .offset:         24
        .size:           4
        .value_kind:     by_value
      - .offset:         28
        .size:           4
        .value_kind:     by_value
      - .offset:         32
        .size:           4
        .value_kind:     by_value
      - .offset:         36
        .size:           4
        .value_kind:     by_value
      - .offset:         40
        .size:           4
        .value_kind:     by_value
    .group_segment_fixed_size: 30336
    .kernarg_segment_align: 8
    .kernarg_segment_size: 44
    .language:       OpenCL C
    .language_version:
      - 2
      - 0
    .max_flat_workgroup_size: 256
    .name:           _ZL12mul_mat_q4_0IN3c104HalfELb1EEvPKvS3_PT_iiiii
    .private_segment_fixed_size: 200
    .sgpr_count:     28
    .sgpr_spill_count: 0
    .symbol:         _ZL12mul_mat_q4_0IN3c104HalfELb1EEvPKvS3_PT_iiiii.kd
    .uniform_work_group_size: 1
    .uses_dynamic_stack: false
    .vgpr_count:     128
    .vgpr_spill_count: 49
    .wavefront_size: 64
  - .args:
      - .actual_access:  read_only
        .address_space:  global
        .offset:         0
        .size:           8
        .value_kind:     global_buffer
      - .actual_access:  read_only
        .address_space:  global
        .offset:         8
        .size:           8
        .value_kind:     global_buffer
      - .actual_access:  write_only
        .address_space:  global
        .offset:         16
        .size:           8
        .value_kind:     global_buffer
      - .offset:         24
        .size:           4
        .value_kind:     by_value
      - .offset:         28
        .size:           4
        .value_kind:     by_value
      - .offset:         32
        .size:           4
        .value_kind:     by_value
      - .offset:         36
        .size:           4
        .value_kind:     by_value
      - .offset:         40
        .size:           4
        .value_kind:     by_value
    .group_segment_fixed_size: 30336
    .kernarg_segment_align: 8
    .kernarg_segment_size: 44
    .language:       OpenCL C
    .language_version:
      - 2
      - 0
    .max_flat_workgroup_size: 256
    .name:           _ZL12mul_mat_q4_1IN3c104HalfELb0EEvPKvS3_PT_iiiii
    .private_segment_fixed_size: 116
    .sgpr_count:     28
    .sgpr_spill_count: 0
    .symbol:         _ZL12mul_mat_q4_1IN3c104HalfELb0EEvPKvS3_PT_iiiii.kd
    .uniform_work_group_size: 1
    .uses_dynamic_stack: false
    .vgpr_count:     128
    .vgpr_spill_count: 28
    .wavefront_size: 64
  - .args:
      - .actual_access:  read_only
        .address_space:  global
        .offset:         0
        .size:           8
        .value_kind:     global_buffer
      - .actual_access:  read_only
        .address_space:  global
        .offset:         8
        .size:           8
        .value_kind:     global_buffer
      - .actual_access:  write_only
        .address_space:  global
        .offset:         16
        .size:           8
        .value_kind:     global_buffer
      - .offset:         24
        .size:           4
        .value_kind:     by_value
      - .offset:         28
        .size:           4
        .value_kind:     by_value
      - .offset:         32
        .size:           4
        .value_kind:     by_value
      - .offset:         36
        .size:           4
        .value_kind:     by_value
      - .offset:         40
        .size:           4
        .value_kind:     by_value
    .group_segment_fixed_size: 30336
    .kernarg_segment_align: 8
    .kernarg_segment_size: 44
    .language:       OpenCL C
    .language_version:
      - 2
      - 0
    .max_flat_workgroup_size: 256
    .name:           _ZL12mul_mat_q4_1IN3c104HalfELb1EEvPKvS3_PT_iiiii
    .private_segment_fixed_size: 192
    .sgpr_count:     28
    .sgpr_spill_count: 0
    .symbol:         _ZL12mul_mat_q4_1IN3c104HalfELb1EEvPKvS3_PT_iiiii.kd
    .uniform_work_group_size: 1
    .uses_dynamic_stack: false
    .vgpr_count:     128
    .vgpr_spill_count: 47
    .wavefront_size: 64
  - .args:
      - .actual_access:  read_only
        .address_space:  global
        .offset:         0
        .size:           8
        .value_kind:     global_buffer
      - .actual_access:  read_only
        .address_space:  global
        .offset:         8
        .size:           8
        .value_kind:     global_buffer
      - .actual_access:  write_only
        .address_space:  global
        .offset:         16
        .size:           8
        .value_kind:     global_buffer
      - .offset:         24
        .size:           4
        .value_kind:     by_value
      - .offset:         28
        .size:           4
        .value_kind:     by_value
      - .offset:         32
        .size:           4
        .value_kind:     by_value
      - .offset:         36
        .size:           4
        .value_kind:     by_value
      - .offset:         40
        .size:           4
        .value_kind:     by_value
    .group_segment_fixed_size: 46720
    .kernarg_segment_align: 8
    .kernarg_segment_size: 44
    .language:       OpenCL C
    .language_version:
      - 2
      - 0
    .max_flat_workgroup_size: 256
    .name:           _ZL12mul_mat_q5_0IN3c104HalfELb0EEvPKvS3_PT_iiiii
    .private_segment_fixed_size: 0
    .sgpr_count:     24
    .sgpr_spill_count: 0
    .symbol:         _ZL12mul_mat_q5_0IN3c104HalfELb0EEvPKvS3_PT_iiiii.kd
    .uniform_work_group_size: 1
    .uses_dynamic_stack: false
    .vgpr_count:     176
    .vgpr_spill_count: 0
    .wavefront_size: 64
  - .args:
      - .actual_access:  read_only
        .address_space:  global
        .offset:         0
        .size:           8
        .value_kind:     global_buffer
      - .actual_access:  read_only
        .address_space:  global
        .offset:         8
        .size:           8
        .value_kind:     global_buffer
      - .actual_access:  write_only
        .address_space:  global
        .offset:         16
        .size:           8
        .value_kind:     global_buffer
      - .offset:         24
        .size:           4
        .value_kind:     by_value
      - .offset:         28
        .size:           4
        .value_kind:     by_value
      - .offset:         32
        .size:           4
        .value_kind:     by_value
      - .offset:         36
        .size:           4
        .value_kind:     by_value
      - .offset:         40
        .size:           4
        .value_kind:     by_value
    .group_segment_fixed_size: 46720
    .kernarg_segment_align: 8
    .kernarg_segment_size: 44
    .language:       OpenCL C
    .language_version:
      - 2
      - 0
    .max_flat_workgroup_size: 256
    .name:           _ZL12mul_mat_q5_0IN3c104HalfELb1EEvPKvS3_PT_iiiii
    .private_segment_fixed_size: 0
    .sgpr_count:     24
    .sgpr_spill_count: 0
    .symbol:         _ZL12mul_mat_q5_0IN3c104HalfELb1EEvPKvS3_PT_iiiii.kd
    .uniform_work_group_size: 1
    .uses_dynamic_stack: false
    .vgpr_count:     176
    .vgpr_spill_count: 0
    .wavefront_size: 64
  - .args:
      - .actual_access:  read_only
        .address_space:  global
        .offset:         0
        .size:           8
        .value_kind:     global_buffer
      - .actual_access:  read_only
        .address_space:  global
        .offset:         8
        .size:           8
        .value_kind:     global_buffer
      - .actual_access:  write_only
        .address_space:  global
        .offset:         16
        .size:           8
        .value_kind:     global_buffer
      - .offset:         24
        .size:           4
        .value_kind:     by_value
      - .offset:         28
        .size:           4
        .value_kind:     by_value
      - .offset:         32
        .size:           4
        .value_kind:     by_value
      - .offset:         36
        .size:           4
        .value_kind:     by_value
      - .offset:         40
        .size:           4
        .value_kind:     by_value
    .group_segment_fixed_size: 46720
    .kernarg_segment_align: 8
    .kernarg_segment_size: 44
    .language:       OpenCL C
    .language_version:
      - 2
      - 0
    .max_flat_workgroup_size: 256
    .name:           _ZL12mul_mat_q5_1IN3c104HalfELb0EEvPKvS3_PT_iiiii
    .private_segment_fixed_size: 0
    .sgpr_count:     22
    .sgpr_spill_count: 0
    .symbol:         _ZL12mul_mat_q5_1IN3c104HalfELb0EEvPKvS3_PT_iiiii.kd
    .uniform_work_group_size: 1
    .uses_dynamic_stack: false
    .vgpr_count:     168
    .vgpr_spill_count: 0
    .wavefront_size: 64
  - .args:
      - .actual_access:  read_only
        .address_space:  global
        .offset:         0
        .size:           8
        .value_kind:     global_buffer
      - .actual_access:  read_only
        .address_space:  global
        .offset:         8
        .size:           8
        .value_kind:     global_buffer
      - .actual_access:  write_only
        .address_space:  global
        .offset:         16
        .size:           8
        .value_kind:     global_buffer
      - .offset:         24
        .size:           4
        .value_kind:     by_value
      - .offset:         28
        .size:           4
        .value_kind:     by_value
      - .offset:         32
        .size:           4
        .value_kind:     by_value
      - .offset:         36
        .size:           4
        .value_kind:     by_value
      - .offset:         40
        .size:           4
        .value_kind:     by_value
    .group_segment_fixed_size: 46720
    .kernarg_segment_align: 8
    .kernarg_segment_size: 44
    .language:       OpenCL C
    .language_version:
      - 2
      - 0
    .max_flat_workgroup_size: 256
    .name:           _ZL12mul_mat_q5_1IN3c104HalfELb1EEvPKvS3_PT_iiiii
    .private_segment_fixed_size: 0
    .sgpr_count:     22
    .sgpr_spill_count: 0
    .symbol:         _ZL12mul_mat_q5_1IN3c104HalfELb1EEvPKvS3_PT_iiiii.kd
    .uniform_work_group_size: 1
    .uses_dynamic_stack: false
    .vgpr_count:     168
    .vgpr_spill_count: 0
    .wavefront_size: 64
  - .args:
      - .actual_access:  read_only
        .address_space:  global
        .offset:         0
        .size:           8
        .value_kind:     global_buffer
      - .actual_access:  read_only
        .address_space:  global
        .offset:         8
        .size:           8
        .value_kind:     global_buffer
      - .actual_access:  write_only
        .address_space:  global
        .offset:         16
        .size:           8
        .value_kind:     global_buffer
      - .offset:         24
        .size:           4
        .value_kind:     by_value
      - .offset:         28
        .size:           4
        .value_kind:     by_value
      - .offset:         32
        .size:           4
        .value_kind:     by_value
      - .offset:         36
        .size:           4
        .value_kind:     by_value
      - .offset:         40
        .size:           4
        .value_kind:     by_value
    .group_segment_fixed_size: 28224
    .kernarg_segment_align: 8
    .kernarg_segment_size: 44
    .language:       OpenCL C
    .language_version:
      - 2
      - 0
    .max_flat_workgroup_size: 256
    .name:           _ZL12mul_mat_q8_0IN3c104HalfELb0EEvPKvS3_PT_iiiii
    .private_segment_fixed_size: 52
    .sgpr_count:     24
    .sgpr_spill_count: 0
    .symbol:         _ZL12mul_mat_q8_0IN3c104HalfELb0EEvPKvS3_PT_iiiii.kd
    .uniform_work_group_size: 1
    .uses_dynamic_stack: false
    .vgpr_count:     128
    .vgpr_spill_count: 12
    .wavefront_size: 64
  - .args:
      - .actual_access:  read_only
        .address_space:  global
        .offset:         0
        .size:           8
        .value_kind:     global_buffer
      - .actual_access:  read_only
        .address_space:  global
        .offset:         8
        .size:           8
        .value_kind:     global_buffer
      - .actual_access:  write_only
        .address_space:  global
        .offset:         16
        .size:           8
        .value_kind:     global_buffer
      - .offset:         24
        .size:           4
        .value_kind:     by_value
      - .offset:         28
        .size:           4
        .value_kind:     by_value
      - .offset:         32
        .size:           4
        .value_kind:     by_value
      - .offset:         36
        .size:           4
        .value_kind:     by_value
      - .offset:         40
        .size:           4
        .value_kind:     by_value
    .group_segment_fixed_size: 28224
    .kernarg_segment_align: 8
    .kernarg_segment_size: 44
    .language:       OpenCL C
    .language_version:
      - 2
      - 0
    .max_flat_workgroup_size: 256
    .name:           _ZL12mul_mat_q8_0IN3c104HalfELb1EEvPKvS3_PT_iiiii
    .private_segment_fixed_size: 172
    .sgpr_count:     28
    .sgpr_spill_count: 0
    .symbol:         _ZL12mul_mat_q8_0IN3c104HalfELb1EEvPKvS3_PT_iiiii.kd
    .uniform_work_group_size: 1
    .uses_dynamic_stack: false
    .vgpr_count:     128
    .vgpr_spill_count: 42
    .wavefront_size: 64
  - .args:
      - .actual_access:  read_only
        .address_space:  global
        .offset:         0
        .size:           8
        .value_kind:     global_buffer
      - .actual_access:  read_only
        .address_space:  global
        .offset:         8
        .size:           8
        .value_kind:     global_buffer
      - .actual_access:  write_only
        .address_space:  global
        .offset:         16
        .size:           8
        .value_kind:     global_buffer
      - .offset:         24
        .size:           4
        .value_kind:     by_value
      - .offset:         28
        .size:           4
        .value_kind:     by_value
      - .offset:         32
        .size:           4
        .value_kind:     by_value
      - .offset:         36
        .size:           4
        .value_kind:     by_value
      - .offset:         40
        .size:           4
        .value_kind:     by_value
    .group_segment_fixed_size: 31392
    .kernarg_segment_align: 8
    .kernarg_segment_size: 44
    .language:       OpenCL C
    .language_version:
      - 2
      - 0
    .max_flat_workgroup_size: 256
    .name:           _ZL12mul_mat_q2_KIN3c104HalfELb0EEvPKvS3_PT_iiiii
    .private_segment_fixed_size: 300
    .sgpr_count:     28
    .sgpr_spill_count: 0
    .symbol:         _ZL12mul_mat_q2_KIN3c104HalfELb0EEvPKvS3_PT_iiiii.kd
    .uniform_work_group_size: 1
    .uses_dynamic_stack: false
    .vgpr_count:     128
    .vgpr_spill_count: 74
    .wavefront_size: 64
  - .args:
      - .actual_access:  read_only
        .address_space:  global
        .offset:         0
        .size:           8
        .value_kind:     global_buffer
      - .actual_access:  read_only
        .address_space:  global
        .offset:         8
        .size:           8
        .value_kind:     global_buffer
      - .actual_access:  write_only
        .address_space:  global
        .offset:         16
        .size:           8
        .value_kind:     global_buffer
      - .offset:         24
        .size:           4
        .value_kind:     by_value
      - .offset:         28
        .size:           4
        .value_kind:     by_value
      - .offset:         32
        .size:           4
        .value_kind:     by_value
      - .offset:         36
        .size:           4
        .value_kind:     by_value
      - .offset:         40
        .size:           4
        .value_kind:     by_value
    .group_segment_fixed_size: 31392
    .kernarg_segment_align: 8
    .kernarg_segment_size: 44
    .language:       OpenCL C
    .language_version:
      - 2
      - 0
    .max_flat_workgroup_size: 256
    .name:           _ZL12mul_mat_q2_KIN3c104HalfELb1EEvPKvS3_PT_iiiii
    .private_segment_fixed_size: 416
    .sgpr_count:     28
    .sgpr_spill_count: 0
    .symbol:         _ZL12mul_mat_q2_KIN3c104HalfELb1EEvPKvS3_PT_iiiii.kd
    .uniform_work_group_size: 1
    .uses_dynamic_stack: false
    .vgpr_count:     128
    .vgpr_spill_count: 103
    .wavefront_size: 64
  - .args:
      - .actual_access:  read_only
        .address_space:  global
        .offset:         0
        .size:           8
        .value_kind:     global_buffer
      - .actual_access:  read_only
        .address_space:  global
        .offset:         8
        .size:           8
        .value_kind:     global_buffer
      - .actual_access:  write_only
        .address_space:  global
        .offset:         16
        .size:           8
        .value_kind:     global_buffer
      - .offset:         24
        .size:           4
        .value_kind:     by_value
      - .offset:         28
        .size:           4
        .value_kind:     by_value
      - .offset:         32
        .size:           4
        .value_kind:     by_value
      - .offset:         36
        .size:           4
        .value_kind:     by_value
      - .offset:         40
        .size:           4
        .value_kind:     by_value
    .group_segment_fixed_size: 39840
    .kernarg_segment_align: 8
    .kernarg_segment_size: 44
    .language:       OpenCL C
    .language_version:
      - 2
      - 0
    .max_flat_workgroup_size: 256
    .name:           _ZL12mul_mat_q3_KIN3c104HalfELb0EEvPKvS3_PT_iiiii
    .private_segment_fixed_size: 0
    .sgpr_count:     29
    .sgpr_spill_count: 0
    .symbol:         _ZL12mul_mat_q3_KIN3c104HalfELb0EEvPKvS3_PT_iiiii.kd
    .uniform_work_group_size: 1
    .uses_dynamic_stack: false
    .vgpr_count:     225
    .vgpr_spill_count: 0
    .wavefront_size: 64
  - .args:
      - .actual_access:  read_only
        .address_space:  global
        .offset:         0
        .size:           8
        .value_kind:     global_buffer
      - .actual_access:  read_only
        .address_space:  global
        .offset:         8
        .size:           8
        .value_kind:     global_buffer
      - .actual_access:  write_only
        .address_space:  global
        .offset:         16
        .size:           8
        .value_kind:     global_buffer
      - .offset:         24
        .size:           4
        .value_kind:     by_value
      - .offset:         28
        .size:           4
        .value_kind:     by_value
      - .offset:         32
        .size:           4
        .value_kind:     by_value
      - .offset:         36
        .size:           4
        .value_kind:     by_value
      - .offset:         40
        .size:           4
        .value_kind:     by_value
    .group_segment_fixed_size: 39840
    .kernarg_segment_align: 8
    .kernarg_segment_size: 44
    .language:       OpenCL C
    .language_version:
      - 2
      - 0
    .max_flat_workgroup_size: 256
    .name:           _ZL12mul_mat_q3_KIN3c104HalfELb1EEvPKvS3_PT_iiiii
    .private_segment_fixed_size: 0
    .sgpr_count:     29
    .sgpr_spill_count: 0
    .symbol:         _ZL12mul_mat_q3_KIN3c104HalfELb1EEvPKvS3_PT_iiiii.kd
    .uniform_work_group_size: 1
    .uses_dynamic_stack: false
    .vgpr_count:     227
    .vgpr_spill_count: 0
    .wavefront_size: 64
  - .args:
      - .actual_access:  read_only
        .address_space:  global
        .offset:         0
        .size:           8
        .value_kind:     global_buffer
      - .actual_access:  read_only
        .address_space:  global
        .offset:         8
        .size:           8
        .value_kind:     global_buffer
      - .actual_access:  write_only
        .address_space:  global
        .offset:         16
        .size:           8
        .value_kind:     global_buffer
      - .offset:         24
        .size:           4
        .value_kind:     by_value
      - .offset:         28
        .size:           4
        .value_kind:     by_value
      - .offset:         32
        .size:           4
        .value_kind:     by_value
      - .offset:         36
        .size:           4
        .value_kind:     by_value
      - .offset:         40
        .size:           4
        .value_kind:     by_value
    .group_segment_fixed_size: 28752
    .kernarg_segment_align: 8
    .kernarg_segment_size: 44
    .language:       OpenCL C
    .language_version:
      - 2
      - 0
    .max_flat_workgroup_size: 256
    .name:           _ZL12mul_mat_q4_KIN3c104HalfELb0EEvPKvS3_PT_iiiii
    .private_segment_fixed_size: 536
    .sgpr_count:     28
    .sgpr_spill_count: 0
    .symbol:         _ZL12mul_mat_q4_KIN3c104HalfELb0EEvPKvS3_PT_iiiii.kd
    .uniform_work_group_size: 1
    .uses_dynamic_stack: false
    .vgpr_count:     128
    .vgpr_spill_count: 186
    .wavefront_size: 64
  - .args:
      - .actual_access:  read_only
        .address_space:  global
        .offset:         0
        .size:           8
        .value_kind:     global_buffer
      - .actual_access:  read_only
        .address_space:  global
        .offset:         8
        .size:           8
        .value_kind:     global_buffer
      - .actual_access:  write_only
        .address_space:  global
        .offset:         16
        .size:           8
        .value_kind:     global_buffer
      - .offset:         24
        .size:           4
        .value_kind:     by_value
      - .offset:         28
        .size:           4
        .value_kind:     by_value
      - .offset:         32
        .size:           4
        .value_kind:     by_value
      - .offset:         36
        .size:           4
        .value_kind:     by_value
      - .offset:         40
        .size:           4
        .value_kind:     by_value
    .group_segment_fixed_size: 28752
    .kernarg_segment_align: 8
    .kernarg_segment_size: 44
    .language:       OpenCL C
    .language_version:
      - 2
      - 0
    .max_flat_workgroup_size: 256
    .name:           _ZL12mul_mat_q4_KIN3c104HalfELb1EEvPKvS3_PT_iiiii
    .private_segment_fixed_size: 676
    .sgpr_count:     28
    .sgpr_spill_count: 0
    .symbol:         _ZL12mul_mat_q4_KIN3c104HalfELb1EEvPKvS3_PT_iiiii.kd
    .uniform_work_group_size: 1
    .uses_dynamic_stack: false
    .vgpr_count:     128
    .vgpr_spill_count: 220
    .wavefront_size: 64
  - .args:
      - .actual_access:  read_only
        .address_space:  global
        .offset:         0
        .size:           8
        .value_kind:     global_buffer
      - .actual_access:  read_only
        .address_space:  global
        .offset:         8
        .size:           8
        .value_kind:     global_buffer
      - .actual_access:  write_only
        .address_space:  global
        .offset:         16
        .size:           8
        .value_kind:     global_buffer
      - .offset:         24
        .size:           4
        .value_kind:     by_value
      - .offset:         28
        .size:           4
        .value_kind:     by_value
      - .offset:         32
        .size:           4
        .value_kind:     by_value
      - .offset:         36
        .size:           4
        .value_kind:     by_value
      - .offset:         40
        .size:           4
        .value_kind:     by_value
    .group_segment_fixed_size: 45136
    .kernarg_segment_align: 8
    .kernarg_segment_size: 44
    .language:       OpenCL C
    .language_version:
      - 2
      - 0
    .max_flat_workgroup_size: 256
    .name:           _ZL12mul_mat_q5_KIN3c104HalfELb0EEvPKvS3_PT_iiiii
    .private_segment_fixed_size: 0
    .sgpr_count:     25
    .sgpr_spill_count: 0
    .symbol:         _ZL12mul_mat_q5_KIN3c104HalfELb0EEvPKvS3_PT_iiiii.kd
    .uniform_work_group_size: 1
    .uses_dynamic_stack: false
    .vgpr_count:     255
    .vgpr_spill_count: 0
    .wavefront_size: 64
  - .args:
      - .actual_access:  read_only
        .address_space:  global
        .offset:         0
        .size:           8
        .value_kind:     global_buffer
      - .actual_access:  read_only
        .address_space:  global
        .offset:         8
        .size:           8
        .value_kind:     global_buffer
      - .actual_access:  write_only
        .address_space:  global
        .offset:         16
        .size:           8
        .value_kind:     global_buffer
      - .offset:         24
        .size:           4
        .value_kind:     by_value
      - .offset:         28
        .size:           4
        .value_kind:     by_value
      - .offset:         32
        .size:           4
        .value_kind:     by_value
      - .offset:         36
        .size:           4
        .value_kind:     by_value
      - .offset:         40
        .size:           4
        .value_kind:     by_value
    .group_segment_fixed_size: 45136
    .kernarg_segment_align: 8
    .kernarg_segment_size: 44
    .language:       OpenCL C
    .language_version:
      - 2
      - 0
    .max_flat_workgroup_size: 256
    .name:           _ZL12mul_mat_q5_KIN3c104HalfELb1EEvPKvS3_PT_iiiii
    .private_segment_fixed_size: 20
    .sgpr_count:     32
    .sgpr_spill_count: 0
    .symbol:         _ZL12mul_mat_q5_KIN3c104HalfELb1EEvPKvS3_PT_iiiii.kd
    .uniform_work_group_size: 1
    .uses_dynamic_stack: false
    .vgpr_count:     256
    .vgpr_spill_count: 4
    .wavefront_size: 64
  - .args:
      - .actual_access:  read_only
        .address_space:  global
        .offset:         0
        .size:           8
        .value_kind:     global_buffer
      - .actual_access:  read_only
        .address_space:  global
        .offset:         8
        .size:           8
        .value_kind:     global_buffer
      - .actual_access:  write_only
        .address_space:  global
        .offset:         16
        .size:           8
        .value_kind:     global_buffer
      - .offset:         24
        .size:           4
        .value_kind:     by_value
      - .offset:         28
        .size:           4
        .value_kind:     by_value
      - .offset:         32
        .size:           4
        .value_kind:     by_value
      - .offset:         36
        .size:           4
        .value_kind:     by_value
      - .offset:         40
        .size:           4
        .value_kind:     by_value
    .group_segment_fixed_size: 45136
    .kernarg_segment_align: 8
    .kernarg_segment_size: 44
    .language:       OpenCL C
    .language_version:
      - 2
      - 0
    .max_flat_workgroup_size: 256
    .name:           _ZL12mul_mat_q6_KIN3c104HalfELb0EEvPKvS3_PT_iiiii
    .private_segment_fixed_size: 0
    .sgpr_count:     26
    .sgpr_spill_count: 0
    .symbol:         _ZL12mul_mat_q6_KIN3c104HalfELb0EEvPKvS3_PT_iiiii.kd
    .uniform_work_group_size: 1
    .uses_dynamic_stack: false
    .vgpr_count:     256
    .vgpr_spill_count: 0
    .wavefront_size: 64
  - .args:
      - .actual_access:  read_only
        .address_space:  global
        .offset:         0
        .size:           8
        .value_kind:     global_buffer
      - .actual_access:  read_only
        .address_space:  global
        .offset:         8
        .size:           8
        .value_kind:     global_buffer
      - .actual_access:  write_only
        .address_space:  global
        .offset:         16
        .size:           8
        .value_kind:     global_buffer
      - .offset:         24
        .size:           4
        .value_kind:     by_value
      - .offset:         28
        .size:           4
        .value_kind:     by_value
      - .offset:         32
        .size:           4
        .value_kind:     by_value
      - .offset:         36
        .size:           4
        .value_kind:     by_value
      - .offset:         40
        .size:           4
        .value_kind:     by_value
    .group_segment_fixed_size: 45136
    .kernarg_segment_align: 8
    .kernarg_segment_size: 44
    .language:       OpenCL C
    .language_version:
      - 2
      - 0
    .max_flat_workgroup_size: 256
    .name:           _ZL12mul_mat_q6_KIN3c104HalfELb1EEvPKvS3_PT_iiiii
    .private_segment_fixed_size: 16
    .sgpr_count:     32
    .sgpr_spill_count: 0
    .symbol:         _ZL12mul_mat_q6_KIN3c104HalfELb1EEvPKvS3_PT_iiiii.kd
    .uniform_work_group_size: 1
    .uses_dynamic_stack: false
    .vgpr_count:     256
    .vgpr_spill_count: 3
    .wavefront_size: 64
  - .args:
      - .actual_access:  read_only
        .address_space:  global
        .offset:         0
        .size:           8
        .value_kind:     global_buffer
      - .actual_access:  read_only
        .address_space:  global
        .offset:         8
        .size:           8
        .value_kind:     global_buffer
      - .actual_access:  write_only
        .address_space:  global
        .offset:         16
        .size:           8
        .value_kind:     global_buffer
      - .offset:         24
        .size:           4
        .value_kind:     by_value
      - .offset:         28
        .size:           4
        .value_kind:     by_value
      - .offset:         32
        .size:           4
        .value_kind:     by_value
      - .offset:         36
        .size:           4
        .value_kind:     by_value
      - .offset:         40
        .size:           4
        .value_kind:     by_value
    .group_segment_fixed_size: 30336
    .kernarg_segment_align: 8
    .kernarg_segment_size: 44
    .language:       OpenCL C
    .language_version:
      - 2
      - 0
    .max_flat_workgroup_size: 256
    .name:           _ZL12mul_mat_q4_0IN3c108BFloat16ELb0EEvPKvS3_PT_iiiii
    .private_segment_fixed_size: 116
    .sgpr_count:     28
    .sgpr_spill_count: 0
    .symbol:         _ZL12mul_mat_q4_0IN3c108BFloat16ELb0EEvPKvS3_PT_iiiii.kd
    .uniform_work_group_size: 1
    .uses_dynamic_stack: false
    .vgpr_count:     128
    .vgpr_spill_count: 28
    .wavefront_size: 64
  - .args:
      - .actual_access:  read_only
        .address_space:  global
        .offset:         0
        .size:           8
        .value_kind:     global_buffer
      - .actual_access:  read_only
        .address_space:  global
        .offset:         8
        .size:           8
        .value_kind:     global_buffer
      - .actual_access:  write_only
        .address_space:  global
        .offset:         16
        .size:           8
        .value_kind:     global_buffer
      - .offset:         24
        .size:           4
        .value_kind:     by_value
      - .offset:         28
        .size:           4
        .value_kind:     by_value
      - .offset:         32
        .size:           4
        .value_kind:     by_value
      - .offset:         36
        .size:           4
        .value_kind:     by_value
      - .offset:         40
        .size:           4
        .value_kind:     by_value
    .group_segment_fixed_size: 30336
    .kernarg_segment_align: 8
    .kernarg_segment_size: 44
    .language:       OpenCL C
    .language_version:
      - 2
      - 0
    .max_flat_workgroup_size: 256
    .name:           _ZL12mul_mat_q4_0IN3c108BFloat16ELb1EEvPKvS3_PT_iiiii
    .private_segment_fixed_size: 192
    .sgpr_count:     28
    .sgpr_spill_count: 0
    .symbol:         _ZL12mul_mat_q4_0IN3c108BFloat16ELb1EEvPKvS3_PT_iiiii.kd
    .uniform_work_group_size: 1
    .uses_dynamic_stack: false
    .vgpr_count:     128
    .vgpr_spill_count: 47
    .wavefront_size: 64
  - .args:
      - .actual_access:  read_only
        .address_space:  global
        .offset:         0
        .size:           8
        .value_kind:     global_buffer
      - .actual_access:  read_only
        .address_space:  global
        .offset:         8
        .size:           8
        .value_kind:     global_buffer
      - .actual_access:  write_only
        .address_space:  global
        .offset:         16
        .size:           8
        .value_kind:     global_buffer
      - .offset:         24
        .size:           4
        .value_kind:     by_value
      - .offset:         28
        .size:           4
        .value_kind:     by_value
      - .offset:         32
        .size:           4
        .value_kind:     by_value
      - .offset:         36
        .size:           4
        .value_kind:     by_value
      - .offset:         40
        .size:           4
        .value_kind:     by_value
    .group_segment_fixed_size: 30336
    .kernarg_segment_align: 8
    .kernarg_segment_size: 44
    .language:       OpenCL C
    .language_version:
      - 2
      - 0
    .max_flat_workgroup_size: 256
    .name:           _ZL12mul_mat_q4_1IN3c108BFloat16ELb0EEvPKvS3_PT_iiiii
    .private_segment_fixed_size: 116
    .sgpr_count:     28
    .sgpr_spill_count: 0
    .symbol:         _ZL12mul_mat_q4_1IN3c108BFloat16ELb0EEvPKvS3_PT_iiiii.kd
    .uniform_work_group_size: 1
    .uses_dynamic_stack: false
    .vgpr_count:     128
    .vgpr_spill_count: 28
    .wavefront_size: 64
  - .args:
      - .actual_access:  read_only
        .address_space:  global
        .offset:         0
        .size:           8
        .value_kind:     global_buffer
      - .actual_access:  read_only
        .address_space:  global
        .offset:         8
        .size:           8
        .value_kind:     global_buffer
      - .actual_access:  write_only
        .address_space:  global
        .offset:         16
        .size:           8
        .value_kind:     global_buffer
      - .offset:         24
        .size:           4
        .value_kind:     by_value
      - .offset:         28
        .size:           4
        .value_kind:     by_value
      - .offset:         32
        .size:           4
        .value_kind:     by_value
      - .offset:         36
        .size:           4
        .value_kind:     by_value
      - .offset:         40
        .size:           4
        .value_kind:     by_value
    .group_segment_fixed_size: 30336
    .kernarg_segment_align: 8
    .kernarg_segment_size: 44
    .language:       OpenCL C
    .language_version:
      - 2
      - 0
    .max_flat_workgroup_size: 256
    .name:           _ZL12mul_mat_q4_1IN3c108BFloat16ELb1EEvPKvS3_PT_iiiii
    .private_segment_fixed_size: 184
    .sgpr_count:     28
    .sgpr_spill_count: 0
    .symbol:         _ZL12mul_mat_q4_1IN3c108BFloat16ELb1EEvPKvS3_PT_iiiii.kd
    .uniform_work_group_size: 1
    .uses_dynamic_stack: false
    .vgpr_count:     128
    .vgpr_spill_count: 45
    .wavefront_size: 64
  - .args:
      - .actual_access:  read_only
        .address_space:  global
        .offset:         0
        .size:           8
        .value_kind:     global_buffer
      - .actual_access:  read_only
        .address_space:  global
        .offset:         8
        .size:           8
        .value_kind:     global_buffer
      - .actual_access:  write_only
        .address_space:  global
        .offset:         16
        .size:           8
        .value_kind:     global_buffer
      - .offset:         24
        .size:           4
        .value_kind:     by_value
      - .offset:         28
        .size:           4
        .value_kind:     by_value
      - .offset:         32
        .size:           4
        .value_kind:     by_value
      - .offset:         36
        .size:           4
        .value_kind:     by_value
      - .offset:         40
        .size:           4
        .value_kind:     by_value
    .group_segment_fixed_size: 46720
    .kernarg_segment_align: 8
    .kernarg_segment_size: 44
    .language:       OpenCL C
    .language_version:
      - 2
      - 0
    .max_flat_workgroup_size: 256
    .name:           _ZL12mul_mat_q5_0IN3c108BFloat16ELb0EEvPKvS3_PT_iiiii
    .private_segment_fixed_size: 0
    .sgpr_count:     24
    .sgpr_spill_count: 0
    .symbol:         _ZL12mul_mat_q5_0IN3c108BFloat16ELb0EEvPKvS3_PT_iiiii.kd
    .uniform_work_group_size: 1
    .uses_dynamic_stack: false
    .vgpr_count:     171
    .vgpr_spill_count: 0
    .wavefront_size: 64
  - .args:
      - .actual_access:  read_only
        .address_space:  global
        .offset:         0
        .size:           8
        .value_kind:     global_buffer
      - .actual_access:  read_only
        .address_space:  global
        .offset:         8
        .size:           8
        .value_kind:     global_buffer
      - .actual_access:  write_only
        .address_space:  global
        .offset:         16
        .size:           8
        .value_kind:     global_buffer
      - .offset:         24
        .size:           4
        .value_kind:     by_value
      - .offset:         28
        .size:           4
        .value_kind:     by_value
      - .offset:         32
        .size:           4
        .value_kind:     by_value
      - .offset:         36
        .size:           4
        .value_kind:     by_value
      - .offset:         40
        .size:           4
        .value_kind:     by_value
    .group_segment_fixed_size: 46720
    .kernarg_segment_align: 8
    .kernarg_segment_size: 44
    .language:       OpenCL C
    .language_version:
      - 2
      - 0
    .max_flat_workgroup_size: 256
    .name:           _ZL12mul_mat_q5_0IN3c108BFloat16ELb1EEvPKvS3_PT_iiiii
    .private_segment_fixed_size: 0
    .sgpr_count:     24
    .sgpr_spill_count: 0
    .symbol:         _ZL12mul_mat_q5_0IN3c108BFloat16ELb1EEvPKvS3_PT_iiiii.kd
    .uniform_work_group_size: 1
    .uses_dynamic_stack: false
    .vgpr_count:     171
    .vgpr_spill_count: 0
    .wavefront_size: 64
  - .args:
      - .actual_access:  read_only
        .address_space:  global
        .offset:         0
        .size:           8
        .value_kind:     global_buffer
      - .actual_access:  read_only
        .address_space:  global
        .offset:         8
        .size:           8
        .value_kind:     global_buffer
      - .actual_access:  write_only
        .address_space:  global
        .offset:         16
        .size:           8
        .value_kind:     global_buffer
      - .offset:         24
        .size:           4
        .value_kind:     by_value
      - .offset:         28
        .size:           4
        .value_kind:     by_value
      - .offset:         32
        .size:           4
        .value_kind:     by_value
      - .offset:         36
        .size:           4
        .value_kind:     by_value
      - .offset:         40
        .size:           4
        .value_kind:     by_value
    .group_segment_fixed_size: 46720
    .kernarg_segment_align: 8
    .kernarg_segment_size: 44
    .language:       OpenCL C
    .language_version:
      - 2
      - 0
    .max_flat_workgroup_size: 256
    .name:           _ZL12mul_mat_q5_1IN3c108BFloat16ELb0EEvPKvS3_PT_iiiii
    .private_segment_fixed_size: 0
    .sgpr_count:     22
    .sgpr_spill_count: 0
    .symbol:         _ZL12mul_mat_q5_1IN3c108BFloat16ELb0EEvPKvS3_PT_iiiii.kd
    .uniform_work_group_size: 1
    .uses_dynamic_stack: false
    .vgpr_count:     168
    .vgpr_spill_count: 0
    .wavefront_size: 64
  - .args:
      - .actual_access:  read_only
        .address_space:  global
        .offset:         0
        .size:           8
        .value_kind:     global_buffer
      - .actual_access:  read_only
        .address_space:  global
        .offset:         8
        .size:           8
        .value_kind:     global_buffer
      - .actual_access:  write_only
        .address_space:  global
        .offset:         16
        .size:           8
        .value_kind:     global_buffer
      - .offset:         24
        .size:           4
        .value_kind:     by_value
      - .offset:         28
        .size:           4
        .value_kind:     by_value
      - .offset:         32
        .size:           4
        .value_kind:     by_value
      - .offset:         36
        .size:           4
        .value_kind:     by_value
      - .offset:         40
        .size:           4
        .value_kind:     by_value
    .group_segment_fixed_size: 46720
    .kernarg_segment_align: 8
    .kernarg_segment_size: 44
    .language:       OpenCL C
    .language_version:
      - 2
      - 0
    .max_flat_workgroup_size: 256
    .name:           _ZL12mul_mat_q5_1IN3c108BFloat16ELb1EEvPKvS3_PT_iiiii
    .private_segment_fixed_size: 0
    .sgpr_count:     22
    .sgpr_spill_count: 0
    .symbol:         _ZL12mul_mat_q5_1IN3c108BFloat16ELb1EEvPKvS3_PT_iiiii.kd
    .uniform_work_group_size: 1
    .uses_dynamic_stack: false
    .vgpr_count:     168
    .vgpr_spill_count: 0
    .wavefront_size: 64
  - .args:
      - .actual_access:  read_only
        .address_space:  global
        .offset:         0
        .size:           8
        .value_kind:     global_buffer
      - .actual_access:  read_only
        .address_space:  global
        .offset:         8
        .size:           8
        .value_kind:     global_buffer
      - .actual_access:  write_only
        .address_space:  global
        .offset:         16
        .size:           8
        .value_kind:     global_buffer
      - .offset:         24
        .size:           4
        .value_kind:     by_value
      - .offset:         28
        .size:           4
        .value_kind:     by_value
      - .offset:         32
        .size:           4
        .value_kind:     by_value
      - .offset:         36
        .size:           4
        .value_kind:     by_value
      - .offset:         40
        .size:           4
        .value_kind:     by_value
    .group_segment_fixed_size: 28224
    .kernarg_segment_align: 8
    .kernarg_segment_size: 44
    .language:       OpenCL C
    .language_version:
      - 2
      - 0
    .max_flat_workgroup_size: 256
    .name:           _ZL12mul_mat_q8_0IN3c108BFloat16ELb0EEvPKvS3_PT_iiiii
    .private_segment_fixed_size: 52
    .sgpr_count:     24
    .sgpr_spill_count: 0
    .symbol:         _ZL12mul_mat_q8_0IN3c108BFloat16ELb0EEvPKvS3_PT_iiiii.kd
    .uniform_work_group_size: 1
    .uses_dynamic_stack: false
    .vgpr_count:     128
    .vgpr_spill_count: 12
    .wavefront_size: 64
  - .args:
      - .actual_access:  read_only
        .address_space:  global
        .offset:         0
        .size:           8
        .value_kind:     global_buffer
      - .actual_access:  read_only
        .address_space:  global
        .offset:         8
        .size:           8
        .value_kind:     global_buffer
      - .actual_access:  write_only
        .address_space:  global
        .offset:         16
        .size:           8
        .value_kind:     global_buffer
      - .offset:         24
        .size:           4
        .value_kind:     by_value
      - .offset:         28
        .size:           4
        .value_kind:     by_value
      - .offset:         32
        .size:           4
        .value_kind:     by_value
      - .offset:         36
        .size:           4
        .value_kind:     by_value
      - .offset:         40
        .size:           4
        .value_kind:     by_value
    .group_segment_fixed_size: 28224
    .kernarg_segment_align: 8
    .kernarg_segment_size: 44
    .language:       OpenCL C
    .language_version:
      - 2
      - 0
    .max_flat_workgroup_size: 256
    .name:           _ZL12mul_mat_q8_0IN3c108BFloat16ELb1EEvPKvS3_PT_iiiii
    .private_segment_fixed_size: 172
    .sgpr_count:     28
    .sgpr_spill_count: 0
    .symbol:         _ZL12mul_mat_q8_0IN3c108BFloat16ELb1EEvPKvS3_PT_iiiii.kd
    .uniform_work_group_size: 1
    .uses_dynamic_stack: false
    .vgpr_count:     128
    .vgpr_spill_count: 42
    .wavefront_size: 64
  - .args:
      - .actual_access:  read_only
        .address_space:  global
        .offset:         0
        .size:           8
        .value_kind:     global_buffer
      - .actual_access:  read_only
        .address_space:  global
        .offset:         8
        .size:           8
        .value_kind:     global_buffer
      - .actual_access:  write_only
        .address_space:  global
        .offset:         16
        .size:           8
        .value_kind:     global_buffer
      - .offset:         24
        .size:           4
        .value_kind:     by_value
      - .offset:         28
        .size:           4
        .value_kind:     by_value
      - .offset:         32
        .size:           4
        .value_kind:     by_value
      - .offset:         36
        .size:           4
        .value_kind:     by_value
      - .offset:         40
        .size:           4
        .value_kind:     by_value
    .group_segment_fixed_size: 31392
    .kernarg_segment_align: 8
    .kernarg_segment_size: 44
    .language:       OpenCL C
    .language_version:
      - 2
      - 0
    .max_flat_workgroup_size: 256
    .name:           _ZL12mul_mat_q2_KIN3c108BFloat16ELb0EEvPKvS3_PT_iiiii
    .private_segment_fixed_size: 264
    .sgpr_count:     28
    .sgpr_spill_count: 0
    .symbol:         _ZL12mul_mat_q2_KIN3c108BFloat16ELb0EEvPKvS3_PT_iiiii.kd
    .uniform_work_group_size: 1
    .uses_dynamic_stack: false
    .vgpr_count:     128
    .vgpr_spill_count: 65
    .wavefront_size: 64
  - .args:
      - .actual_access:  read_only
        .address_space:  global
        .offset:         0
        .size:           8
        .value_kind:     global_buffer
      - .actual_access:  read_only
        .address_space:  global
        .offset:         8
        .size:           8
        .value_kind:     global_buffer
      - .actual_access:  write_only
        .address_space:  global
        .offset:         16
        .size:           8
        .value_kind:     global_buffer
      - .offset:         24
        .size:           4
        .value_kind:     by_value
      - .offset:         28
        .size:           4
        .value_kind:     by_value
      - .offset:         32
        .size:           4
        .value_kind:     by_value
      - .offset:         36
        .size:           4
        .value_kind:     by_value
      - .offset:         40
        .size:           4
        .value_kind:     by_value
    .group_segment_fixed_size: 31392
    .kernarg_segment_align: 8
    .kernarg_segment_size: 44
    .language:       OpenCL C
    .language_version:
      - 2
      - 0
    .max_flat_workgroup_size: 256
    .name:           _ZL12mul_mat_q2_KIN3c108BFloat16ELb1EEvPKvS3_PT_iiiii
    .private_segment_fixed_size: 436
    .sgpr_count:     28
    .sgpr_spill_count: 0
    .symbol:         _ZL12mul_mat_q2_KIN3c108BFloat16ELb1EEvPKvS3_PT_iiiii.kd
    .uniform_work_group_size: 1
    .uses_dynamic_stack: false
    .vgpr_count:     128
    .vgpr_spill_count: 108
    .wavefront_size: 64
  - .args:
      - .actual_access:  read_only
        .address_space:  global
        .offset:         0
        .size:           8
        .value_kind:     global_buffer
      - .actual_access:  read_only
        .address_space:  global
        .offset:         8
        .size:           8
        .value_kind:     global_buffer
      - .actual_access:  write_only
        .address_space:  global
        .offset:         16
        .size:           8
        .value_kind:     global_buffer
      - .offset:         24
        .size:           4
        .value_kind:     by_value
      - .offset:         28
        .size:           4
        .value_kind:     by_value
      - .offset:         32
        .size:           4
        .value_kind:     by_value
      - .offset:         36
        .size:           4
        .value_kind:     by_value
      - .offset:         40
        .size:           4
        .value_kind:     by_value
    .group_segment_fixed_size: 39840
    .kernarg_segment_align: 8
    .kernarg_segment_size: 44
    .language:       OpenCL C
    .language_version:
      - 2
      - 0
    .max_flat_workgroup_size: 256
    .name:           _ZL12mul_mat_q3_KIN3c108BFloat16ELb0EEvPKvS3_PT_iiiii
    .private_segment_fixed_size: 0
    .sgpr_count:     29
    .sgpr_spill_count: 0
    .symbol:         _ZL12mul_mat_q3_KIN3c108BFloat16ELb0EEvPKvS3_PT_iiiii.kd
    .uniform_work_group_size: 1
    .uses_dynamic_stack: false
    .vgpr_count:     242
    .vgpr_spill_count: 0
    .wavefront_size: 64
  - .args:
      - .actual_access:  read_only
        .address_space:  global
        .offset:         0
        .size:           8
        .value_kind:     global_buffer
      - .actual_access:  read_only
        .address_space:  global
        .offset:         8
        .size:           8
        .value_kind:     global_buffer
      - .actual_access:  write_only
        .address_space:  global
        .offset:         16
        .size:           8
        .value_kind:     global_buffer
      - .offset:         24
        .size:           4
        .value_kind:     by_value
      - .offset:         28
        .size:           4
        .value_kind:     by_value
      - .offset:         32
        .size:           4
        .value_kind:     by_value
      - .offset:         36
        .size:           4
        .value_kind:     by_value
      - .offset:         40
        .size:           4
        .value_kind:     by_value
    .group_segment_fixed_size: 39840
    .kernarg_segment_align: 8
    .kernarg_segment_size: 44
    .language:       OpenCL C
    .language_version:
      - 2
      - 0
    .max_flat_workgroup_size: 256
    .name:           _ZL12mul_mat_q3_KIN3c108BFloat16ELb1EEvPKvS3_PT_iiiii
    .private_segment_fixed_size: 0
    .sgpr_count:     29
    .sgpr_spill_count: 0
    .symbol:         _ZL12mul_mat_q3_KIN3c108BFloat16ELb1EEvPKvS3_PT_iiiii.kd
    .uniform_work_group_size: 1
    .uses_dynamic_stack: false
    .vgpr_count:     244
    .vgpr_spill_count: 0
    .wavefront_size: 64
  - .args:
      - .actual_access:  read_only
        .address_space:  global
        .offset:         0
        .size:           8
        .value_kind:     global_buffer
      - .actual_access:  read_only
        .address_space:  global
        .offset:         8
        .size:           8
        .value_kind:     global_buffer
      - .actual_access:  write_only
        .address_space:  global
        .offset:         16
        .size:           8
        .value_kind:     global_buffer
      - .offset:         24
        .size:           4
        .value_kind:     by_value
      - .offset:         28
        .size:           4
        .value_kind:     by_value
      - .offset:         32
        .size:           4
        .value_kind:     by_value
      - .offset:         36
        .size:           4
        .value_kind:     by_value
      - .offset:         40
        .size:           4
        .value_kind:     by_value
    .group_segment_fixed_size: 28752
    .kernarg_segment_align: 8
    .kernarg_segment_size: 44
    .language:       OpenCL C
    .language_version:
      - 2
      - 0
    .max_flat_workgroup_size: 256
    .name:           _ZL12mul_mat_q4_KIN3c108BFloat16ELb0EEvPKvS3_PT_iiiii
    .private_segment_fixed_size: 432
    .sgpr_count:     28
    .sgpr_spill_count: 0
    .symbol:         _ZL12mul_mat_q4_KIN3c108BFloat16ELb0EEvPKvS3_PT_iiiii.kd
    .uniform_work_group_size: 1
    .uses_dynamic_stack: false
    .vgpr_count:     128
    .vgpr_spill_count: 134
    .wavefront_size: 64
  - .args:
      - .actual_access:  read_only
        .address_space:  global
        .offset:         0
        .size:           8
        .value_kind:     global_buffer
      - .actual_access:  read_only
        .address_space:  global
        .offset:         8
        .size:           8
        .value_kind:     global_buffer
      - .actual_access:  write_only
        .address_space:  global
        .offset:         16
        .size:           8
        .value_kind:     global_buffer
      - .offset:         24
        .size:           4
        .value_kind:     by_value
      - .offset:         28
        .size:           4
        .value_kind:     by_value
      - .offset:         32
        .size:           4
        .value_kind:     by_value
      - .offset:         36
        .size:           4
        .value_kind:     by_value
      - .offset:         40
        .size:           4
        .value_kind:     by_value
    .group_segment_fixed_size: 28752
    .kernarg_segment_align: 8
    .kernarg_segment_size: 44
    .language:       OpenCL C
    .language_version:
      - 2
      - 0
    .max_flat_workgroup_size: 256
    .name:           _ZL12mul_mat_q4_KIN3c108BFloat16ELb1EEvPKvS3_PT_iiiii
    .private_segment_fixed_size: 568
    .sgpr_count:     28
    .sgpr_spill_count: 0
    .symbol:         _ZL12mul_mat_q4_KIN3c108BFloat16ELb1EEvPKvS3_PT_iiiii.kd
    .uniform_work_group_size: 1
    .uses_dynamic_stack: false
    .vgpr_count:     128
    .vgpr_spill_count: 168
    .wavefront_size: 64
  - .args:
      - .actual_access:  read_only
        .address_space:  global
        .offset:         0
        .size:           8
        .value_kind:     global_buffer
      - .actual_access:  read_only
        .address_space:  global
        .offset:         8
        .size:           8
        .value_kind:     global_buffer
      - .actual_access:  write_only
        .address_space:  global
        .offset:         16
        .size:           8
        .value_kind:     global_buffer
      - .offset:         24
        .size:           4
        .value_kind:     by_value
      - .offset:         28
        .size:           4
        .value_kind:     by_value
      - .offset:         32
        .size:           4
        .value_kind:     by_value
      - .offset:         36
        .size:           4
        .value_kind:     by_value
      - .offset:         40
        .size:           4
        .value_kind:     by_value
    .group_segment_fixed_size: 45136
    .kernarg_segment_align: 8
    .kernarg_segment_size: 44
    .language:       OpenCL C
    .language_version:
      - 2
      - 0
    .max_flat_workgroup_size: 256
    .name:           _ZL12mul_mat_q5_KIN3c108BFloat16ELb0EEvPKvS3_PT_iiiii
    .private_segment_fixed_size: 0
    .sgpr_count:     25
    .sgpr_spill_count: 0
    .symbol:         _ZL12mul_mat_q5_KIN3c108BFloat16ELb0EEvPKvS3_PT_iiiii.kd
    .uniform_work_group_size: 1
    .uses_dynamic_stack: false
    .vgpr_count:     241
    .vgpr_spill_count: 0
    .wavefront_size: 64
  - .args:
      - .actual_access:  read_only
        .address_space:  global
        .offset:         0
        .size:           8
        .value_kind:     global_buffer
      - .actual_access:  read_only
        .address_space:  global
        .offset:         8
        .size:           8
        .value_kind:     global_buffer
      - .actual_access:  write_only
        .address_space:  global
        .offset:         16
        .size:           8
        .value_kind:     global_buffer
      - .offset:         24
        .size:           4
        .value_kind:     by_value
      - .offset:         28
        .size:           4
        .value_kind:     by_value
      - .offset:         32
        .size:           4
        .value_kind:     by_value
      - .offset:         36
        .size:           4
        .value_kind:     by_value
      - .offset:         40
        .size:           4
        .value_kind:     by_value
    .group_segment_fixed_size: 45136
    .kernarg_segment_align: 8
    .kernarg_segment_size: 44
    .language:       OpenCL C
    .language_version:
      - 2
      - 0
    .max_flat_workgroup_size: 256
    .name:           _ZL12mul_mat_q5_KIN3c108BFloat16ELb1EEvPKvS3_PT_iiiii
    .private_segment_fixed_size: 0
    .sgpr_count:     25
    .sgpr_spill_count: 0
    .symbol:         _ZL12mul_mat_q5_KIN3c108BFloat16ELb1EEvPKvS3_PT_iiiii.kd
    .uniform_work_group_size: 1
    .uses_dynamic_stack: false
    .vgpr_count:     241
    .vgpr_spill_count: 0
    .wavefront_size: 64
  - .args:
      - .actual_access:  read_only
        .address_space:  global
        .offset:         0
        .size:           8
        .value_kind:     global_buffer
      - .actual_access:  read_only
        .address_space:  global
        .offset:         8
        .size:           8
        .value_kind:     global_buffer
      - .actual_access:  write_only
        .address_space:  global
        .offset:         16
        .size:           8
        .value_kind:     global_buffer
      - .offset:         24
        .size:           4
        .value_kind:     by_value
      - .offset:         28
        .size:           4
        .value_kind:     by_value
      - .offset:         32
        .size:           4
        .value_kind:     by_value
      - .offset:         36
        .size:           4
        .value_kind:     by_value
      - .offset:         40
        .size:           4
        .value_kind:     by_value
    .group_segment_fixed_size: 45136
    .kernarg_segment_align: 8
    .kernarg_segment_size: 44
    .language:       OpenCL C
    .language_version:
      - 2
      - 0
    .max_flat_workgroup_size: 256
    .name:           _ZL12mul_mat_q6_KIN3c108BFloat16ELb0EEvPKvS3_PT_iiiii
    .private_segment_fixed_size: 128
    .sgpr_count:     32
    .sgpr_spill_count: 0
    .symbol:         _ZL12mul_mat_q6_KIN3c108BFloat16ELb0EEvPKvS3_PT_iiiii.kd
    .uniform_work_group_size: 1
    .uses_dynamic_stack: false
    .vgpr_count:     256
    .vgpr_spill_count: 31
    .wavefront_size: 64
  - .args:
      - .actual_access:  read_only
        .address_space:  global
        .offset:         0
        .size:           8
        .value_kind:     global_buffer
      - .actual_access:  read_only
        .address_space:  global
        .offset:         8
        .size:           8
        .value_kind:     global_buffer
      - .actual_access:  write_only
        .address_space:  global
        .offset:         16
        .size:           8
        .value_kind:     global_buffer
      - .offset:         24
        .size:           4
        .value_kind:     by_value
      - .offset:         28
        .size:           4
        .value_kind:     by_value
      - .offset:         32
        .size:           4
        .value_kind:     by_value
      - .offset:         36
        .size:           4
        .value_kind:     by_value
      - .offset:         40
        .size:           4
        .value_kind:     by_value
    .group_segment_fixed_size: 45136
    .kernarg_segment_align: 8
    .kernarg_segment_size: 44
    .language:       OpenCL C
    .language_version:
      - 2
      - 0
    .max_flat_workgroup_size: 256
    .name:           _ZL12mul_mat_q6_KIN3c108BFloat16ELb1EEvPKvS3_PT_iiiii
    .private_segment_fixed_size: 248
    .sgpr_count:     32
    .sgpr_spill_count: 0
    .symbol:         _ZL12mul_mat_q6_KIN3c108BFloat16ELb1EEvPKvS3_PT_iiiii.kd
    .uniform_work_group_size: 1
    .uses_dynamic_stack: false
    .vgpr_count:     256
    .vgpr_spill_count: 61
    .wavefront_size: 64
  - .args:
      - .actual_access:  read_only
        .address_space:  global
        .offset:         0
        .size:           8
        .value_kind:     global_buffer
      - .actual_access:  read_only
        .address_space:  global
        .offset:         8
        .size:           8
        .value_kind:     global_buffer
      - .actual_access:  write_only
        .address_space:  global
        .offset:         16
        .size:           8
        .value_kind:     global_buffer
      - .address_space:  global
        .offset:         24
        .size:           8
        .value_kind:     global_buffer
      - .address_space:  global
        .offset:         32
        .size:           8
        .value_kind:     global_buffer
      - .address_space:  global
        .offset:         40
        .size:           8
        .value_kind:     global_buffer
      - .offset:         48
        .size:           4
        .value_kind:     by_value
      - .offset:         52
        .size:           4
        .value_kind:     by_value
      - .offset:         56
        .size:           4
        .value_kind:     by_value
      - .offset:         60
        .size:           4
        .value_kind:     by_value
      - .offset:         64
        .size:           4
        .value_kind:     by_value
      - .offset:         68
        .size:           4
        .value_kind:     by_value
      - .offset:         72
        .size:           4
        .value_kind:     by_value
    .group_segment_fixed_size: 22272
    .kernarg_segment_align: 8
    .kernarg_segment_size: 76
    .language:       OpenCL C
    .language_version:
      - 2
      - 0
    .max_flat_workgroup_size: 256
    .name:           _ZL8moe_q4_0IfLb0EEvPKvS1_PT_PKiS5_S5_iiiiiii
    .private_segment_fixed_size: 0
    .sgpr_count:     28
    .sgpr_spill_count: 0
    .symbol:         _ZL8moe_q4_0IfLb0EEvPKvS1_PT_PKiS5_S5_iiiiiii.kd
    .uniform_work_group_size: 1
    .uses_dynamic_stack: false
    .vgpr_count:     123
    .vgpr_spill_count: 0
    .wavefront_size: 64
  - .args:
      - .actual_access:  read_only
        .address_space:  global
        .offset:         0
        .size:           8
        .value_kind:     global_buffer
      - .actual_access:  read_only
        .address_space:  global
        .offset:         8
        .size:           8
        .value_kind:     global_buffer
      - .actual_access:  write_only
        .address_space:  global
        .offset:         16
        .size:           8
        .value_kind:     global_buffer
      - .address_space:  global
        .offset:         24
        .size:           8
        .value_kind:     global_buffer
      - .address_space:  global
        .offset:         32
        .size:           8
        .value_kind:     global_buffer
      - .address_space:  global
        .offset:         40
        .size:           8
        .value_kind:     global_buffer
      - .offset:         48
        .size:           4
        .value_kind:     by_value
      - .offset:         52
        .size:           4
        .value_kind:     by_value
      - .offset:         56
        .size:           4
        .value_kind:     by_value
      - .offset:         60
        .size:           4
        .value_kind:     by_value
      - .offset:         64
        .size:           4
        .value_kind:     by_value
      - .offset:         68
        .size:           4
        .value_kind:     by_value
      - .offset:         72
        .size:           4
        .value_kind:     by_value
    .group_segment_fixed_size: 22272
    .kernarg_segment_align: 8
    .kernarg_segment_size: 76
    .language:       OpenCL C
    .language_version:
      - 2
      - 0
    .max_flat_workgroup_size: 256
    .name:           _ZL8moe_q4_0IfLb1EEvPKvS1_PT_PKiS5_S5_iiiiiii
    .private_segment_fixed_size: 0
    .sgpr_count:     28
    .sgpr_spill_count: 0
    .symbol:         _ZL8moe_q4_0IfLb1EEvPKvS1_PT_PKiS5_S5_iiiiiii.kd
    .uniform_work_group_size: 1
    .uses_dynamic_stack: false
    .vgpr_count:     123
    .vgpr_spill_count: 0
    .wavefront_size: 64
  - .args:
      - .actual_access:  read_only
        .address_space:  global
        .offset:         0
        .size:           8
        .value_kind:     global_buffer
      - .actual_access:  read_only
        .address_space:  global
        .offset:         8
        .size:           8
        .value_kind:     global_buffer
      - .actual_access:  write_only
        .address_space:  global
        .offset:         16
        .size:           8
        .value_kind:     global_buffer
      - .address_space:  global
        .offset:         24
        .size:           8
        .value_kind:     global_buffer
      - .address_space:  global
        .offset:         32
        .size:           8
        .value_kind:     global_buffer
      - .address_space:  global
        .offset:         40
        .size:           8
        .value_kind:     global_buffer
      - .offset:         48
        .size:           4
        .value_kind:     by_value
      - .offset:         52
        .size:           4
        .value_kind:     by_value
      - .offset:         56
        .size:           4
        .value_kind:     by_value
      - .offset:         60
        .size:           4
        .value_kind:     by_value
      - .offset:         64
        .size:           4
        .value_kind:     by_value
      - .offset:         68
        .size:           4
        .value_kind:     by_value
      - .offset:         72
        .size:           4
        .value_kind:     by_value
    .group_segment_fixed_size: 22272
    .kernarg_segment_align: 8
    .kernarg_segment_size: 76
    .language:       OpenCL C
    .language_version:
      - 2
      - 0
    .max_flat_workgroup_size: 256
    .name:           _ZL8moe_q4_1IfLb0EEvPKvS1_PT_PKiS5_S5_iiiiiii
    .private_segment_fixed_size: 0
    .sgpr_count:     28
    .sgpr_spill_count: 0
    .symbol:         _ZL8moe_q4_1IfLb0EEvPKvS1_PT_PKiS5_S5_iiiiiii.kd
    .uniform_work_group_size: 1
    .uses_dynamic_stack: false
    .vgpr_count:     121
    .vgpr_spill_count: 0
    .wavefront_size: 64
  - .args:
      - .actual_access:  read_only
        .address_space:  global
        .offset:         0
        .size:           8
        .value_kind:     global_buffer
      - .actual_access:  read_only
        .address_space:  global
        .offset:         8
        .size:           8
        .value_kind:     global_buffer
      - .actual_access:  write_only
        .address_space:  global
        .offset:         16
        .size:           8
        .value_kind:     global_buffer
      - .address_space:  global
        .offset:         24
        .size:           8
        .value_kind:     global_buffer
      - .address_space:  global
        .offset:         32
        .size:           8
        .value_kind:     global_buffer
      - .address_space:  global
        .offset:         40
        .size:           8
        .value_kind:     global_buffer
      - .offset:         48
        .size:           4
        .value_kind:     by_value
      - .offset:         52
        .size:           4
        .value_kind:     by_value
      - .offset:         56
        .size:           4
        .value_kind:     by_value
      - .offset:         60
        .size:           4
        .value_kind:     by_value
      - .offset:         64
        .size:           4
        .value_kind:     by_value
      - .offset:         68
        .size:           4
        .value_kind:     by_value
      - .offset:         72
        .size:           4
        .value_kind:     by_value
    .group_segment_fixed_size: 22272
    .kernarg_segment_align: 8
    .kernarg_segment_size: 76
    .language:       OpenCL C
    .language_version:
      - 2
      - 0
    .max_flat_workgroup_size: 256
    .name:           _ZL8moe_q4_1IfLb1EEvPKvS1_PT_PKiS5_S5_iiiiiii
    .private_segment_fixed_size: 0
    .sgpr_count:     28
    .sgpr_spill_count: 0
    .symbol:         _ZL8moe_q4_1IfLb1EEvPKvS1_PT_PKiS5_S5_iiiiiii.kd
    .uniform_work_group_size: 1
    .uses_dynamic_stack: false
    .vgpr_count:     121
    .vgpr_spill_count: 0
    .wavefront_size: 64
  - .args:
      - .actual_access:  read_only
        .address_space:  global
        .offset:         0
        .size:           8
        .value_kind:     global_buffer
      - .actual_access:  read_only
        .address_space:  global
        .offset:         8
        .size:           8
        .value_kind:     global_buffer
      - .actual_access:  write_only
        .address_space:  global
        .offset:         16
        .size:           8
        .value_kind:     global_buffer
      - .address_space:  global
        .offset:         24
        .size:           8
        .value_kind:     global_buffer
      - .address_space:  global
        .offset:         32
        .size:           8
        .value_kind:     global_buffer
      - .address_space:  global
        .offset:         40
        .size:           8
        .value_kind:     global_buffer
      - .offset:         48
        .size:           4
        .value_kind:     by_value
      - .offset:         52
        .size:           4
        .value_kind:     by_value
      - .offset:         56
        .size:           4
        .value_kind:     by_value
      - .offset:         60
        .size:           4
        .value_kind:     by_value
      - .offset:         64
        .size:           4
        .value_kind:     by_value
      - .offset:         68
        .size:           4
        .value_kind:     by_value
      - .offset:         72
        .size:           4
        .value_kind:     by_value
    .group_segment_fixed_size: 38656
    .kernarg_segment_align: 8
    .kernarg_segment_size: 76
    .language:       OpenCL C
    .language_version:
      - 2
      - 0
    .max_flat_workgroup_size: 256
    .name:           _ZL8moe_q5_0IfLb0EEvPKvS1_PT_PKiS5_S5_iiiiiii
    .private_segment_fixed_size: 0
    .sgpr_count:     32
    .sgpr_spill_count: 0
    .symbol:         _ZL8moe_q5_0IfLb0EEvPKvS1_PT_PKiS5_S5_iiiiiii.kd
    .uniform_work_group_size: 1
    .uses_dynamic_stack: false
    .vgpr_count:     170
    .vgpr_spill_count: 0
    .wavefront_size: 64
  - .args:
      - .actual_access:  read_only
        .address_space:  global
        .offset:         0
        .size:           8
        .value_kind:     global_buffer
      - .actual_access:  read_only
        .address_space:  global
        .offset:         8
        .size:           8
        .value_kind:     global_buffer
      - .actual_access:  write_only
        .address_space:  global
        .offset:         16
        .size:           8
        .value_kind:     global_buffer
      - .address_space:  global
        .offset:         24
        .size:           8
        .value_kind:     global_buffer
      - .address_space:  global
        .offset:         32
        .size:           8
        .value_kind:     global_buffer
      - .address_space:  global
        .offset:         40
        .size:           8
        .value_kind:     global_buffer
      - .offset:         48
        .size:           4
        .value_kind:     by_value
      - .offset:         52
        .size:           4
        .value_kind:     by_value
      - .offset:         56
        .size:           4
        .value_kind:     by_value
      - .offset:         60
        .size:           4
        .value_kind:     by_value
      - .offset:         64
        .size:           4
        .value_kind:     by_value
      - .offset:         68
        .size:           4
        .value_kind:     by_value
      - .offset:         72
        .size:           4
        .value_kind:     by_value
    .group_segment_fixed_size: 38656
    .kernarg_segment_align: 8
    .kernarg_segment_size: 76
    .language:       OpenCL C
    .language_version:
      - 2
      - 0
    .max_flat_workgroup_size: 256
    .name:           _ZL8moe_q5_0IfLb1EEvPKvS1_PT_PKiS5_S5_iiiiiii
    .private_segment_fixed_size: 0
    .sgpr_count:     32
    .sgpr_spill_count: 0
    .symbol:         _ZL8moe_q5_0IfLb1EEvPKvS1_PT_PKiS5_S5_iiiiiii.kd
    .uniform_work_group_size: 1
    .uses_dynamic_stack: false
    .vgpr_count:     169
    .vgpr_spill_count: 0
    .wavefront_size: 64
  - .args:
      - .actual_access:  read_only
        .address_space:  global
        .offset:         0
        .size:           8
        .value_kind:     global_buffer
      - .actual_access:  read_only
        .address_space:  global
        .offset:         8
        .size:           8
        .value_kind:     global_buffer
      - .actual_access:  write_only
        .address_space:  global
        .offset:         16
        .size:           8
        .value_kind:     global_buffer
      - .address_space:  global
        .offset:         24
        .size:           8
        .value_kind:     global_buffer
      - .address_space:  global
        .offset:         32
        .size:           8
        .value_kind:     global_buffer
      - .address_space:  global
        .offset:         40
        .size:           8
        .value_kind:     global_buffer
      - .offset:         48
        .size:           4
        .value_kind:     by_value
      - .offset:         52
        .size:           4
        .value_kind:     by_value
      - .offset:         56
        .size:           4
        .value_kind:     by_value
      - .offset:         60
        .size:           4
        .value_kind:     by_value
      - .offset:         64
        .size:           4
        .value_kind:     by_value
      - .offset:         68
        .size:           4
        .value_kind:     by_value
      - .offset:         72
        .size:           4
        .value_kind:     by_value
    .group_segment_fixed_size: 38656
    .kernarg_segment_align: 8
    .kernarg_segment_size: 76
    .language:       OpenCL C
    .language_version:
      - 2
      - 0
    .max_flat_workgroup_size: 256
    .name:           _ZL8moe_q5_1IfLb0EEvPKvS1_PT_PKiS5_S5_iiiiiii
    .private_segment_fixed_size: 0
    .sgpr_count:     28
    .sgpr_spill_count: 0
    .symbol:         _ZL8moe_q5_1IfLb0EEvPKvS1_PT_PKiS5_S5_iiiiiii.kd
    .uniform_work_group_size: 1
    .uses_dynamic_stack: false
    .vgpr_count:     122
    .vgpr_spill_count: 0
    .wavefront_size: 64
  - .args:
      - .actual_access:  read_only
        .address_space:  global
        .offset:         0
        .size:           8
        .value_kind:     global_buffer
      - .actual_access:  read_only
        .address_space:  global
        .offset:         8
        .size:           8
        .value_kind:     global_buffer
      - .actual_access:  write_only
        .address_space:  global
        .offset:         16
        .size:           8
        .value_kind:     global_buffer
      - .address_space:  global
        .offset:         24
        .size:           8
        .value_kind:     global_buffer
      - .address_space:  global
        .offset:         32
        .size:           8
        .value_kind:     global_buffer
      - .address_space:  global
        .offset:         40
        .size:           8
        .value_kind:     global_buffer
      - .offset:         48
        .size:           4
        .value_kind:     by_value
      - .offset:         52
        .size:           4
        .value_kind:     by_value
      - .offset:         56
        .size:           4
        .value_kind:     by_value
      - .offset:         60
        .size:           4
        .value_kind:     by_value
      - .offset:         64
        .size:           4
        .value_kind:     by_value
      - .offset:         68
        .size:           4
        .value_kind:     by_value
      - .offset:         72
        .size:           4
        .value_kind:     by_value
    .group_segment_fixed_size: 38656
    .kernarg_segment_align: 8
    .kernarg_segment_size: 76
    .language:       OpenCL C
    .language_version:
      - 2
      - 0
    .max_flat_workgroup_size: 256
    .name:           _ZL8moe_q5_1IfLb1EEvPKvS1_PT_PKiS5_S5_iiiiiii
    .private_segment_fixed_size: 0
    .sgpr_count:     28
    .sgpr_spill_count: 0
    .symbol:         _ZL8moe_q5_1IfLb1EEvPKvS1_PT_PKiS5_S5_iiiiiii.kd
    .uniform_work_group_size: 1
    .uses_dynamic_stack: false
    .vgpr_count:     122
    .vgpr_spill_count: 0
    .wavefront_size: 64
  - .args:
      - .actual_access:  read_only
        .address_space:  global
        .offset:         0
        .size:           8
        .value_kind:     global_buffer
      - .actual_access:  read_only
        .address_space:  global
        .offset:         8
        .size:           8
        .value_kind:     global_buffer
      - .actual_access:  write_only
        .address_space:  global
        .offset:         16
        .size:           8
        .value_kind:     global_buffer
      - .address_space:  global
        .offset:         24
        .size:           8
        .value_kind:     global_buffer
      - .address_space:  global
        .offset:         32
        .size:           8
        .value_kind:     global_buffer
      - .address_space:  global
        .offset:         40
        .size:           8
        .value_kind:     global_buffer
      - .offset:         48
        .size:           4
        .value_kind:     by_value
      - .offset:         52
        .size:           4
        .value_kind:     by_value
      - .offset:         56
        .size:           4
        .value_kind:     by_value
      - .offset:         60
        .size:           4
        .value_kind:     by_value
      - .offset:         64
        .size:           4
        .value_kind:     by_value
      - .offset:         68
        .size:           4
        .value_kind:     by_value
      - .offset:         72
        .size:           4
        .value_kind:     by_value
    .group_segment_fixed_size: 20160
    .kernarg_segment_align: 8
    .kernarg_segment_size: 76
    .language:       OpenCL C
    .language_version:
      - 2
      - 0
    .max_flat_workgroup_size: 256
    .name:           _ZL8moe_q8_0IfLb0EEvPKvS1_PT_PKiS5_S5_iiiiiii
    .private_segment_fixed_size: 0
    .sgpr_count:     24
    .sgpr_spill_count: 0
    .symbol:         _ZL8moe_q8_0IfLb0EEvPKvS1_PT_PKiS5_S5_iiiiiii.kd
    .uniform_work_group_size: 1
    .uses_dynamic_stack: false
    .vgpr_count:     84
    .vgpr_spill_count: 0
    .wavefront_size: 64
  - .args:
      - .actual_access:  read_only
        .address_space:  global
        .offset:         0
        .size:           8
        .value_kind:     global_buffer
      - .actual_access:  read_only
        .address_space:  global
        .offset:         8
        .size:           8
        .value_kind:     global_buffer
      - .actual_access:  write_only
        .address_space:  global
        .offset:         16
        .size:           8
        .value_kind:     global_buffer
      - .address_space:  global
        .offset:         24
        .size:           8
        .value_kind:     global_buffer
      - .address_space:  global
        .offset:         32
        .size:           8
        .value_kind:     global_buffer
      - .address_space:  global
        .offset:         40
        .size:           8
        .value_kind:     global_buffer
      - .offset:         48
        .size:           4
        .value_kind:     by_value
      - .offset:         52
        .size:           4
        .value_kind:     by_value
      - .offset:         56
        .size:           4
        .value_kind:     by_value
      - .offset:         60
        .size:           4
        .value_kind:     by_value
      - .offset:         64
        .size:           4
        .value_kind:     by_value
      - .offset:         68
        .size:           4
        .value_kind:     by_value
      - .offset:         72
        .size:           4
        .value_kind:     by_value
    .group_segment_fixed_size: 20160
    .kernarg_segment_align: 8
    .kernarg_segment_size: 76
    .language:       OpenCL C
    .language_version:
      - 2
      - 0
    .max_flat_workgroup_size: 256
    .name:           _ZL8moe_q8_0IfLb1EEvPKvS1_PT_PKiS5_S5_iiiiiii
    .private_segment_fixed_size: 0
    .sgpr_count:     24
    .sgpr_spill_count: 0
    .symbol:         _ZL8moe_q8_0IfLb1EEvPKvS1_PT_PKiS5_S5_iiiiiii.kd
    .uniform_work_group_size: 1
    .uses_dynamic_stack: false
    .vgpr_count:     84
    .vgpr_spill_count: 0
    .wavefront_size: 64
  - .args:
      - .actual_access:  read_only
        .address_space:  global
        .offset:         0
        .size:           8
        .value_kind:     global_buffer
      - .actual_access:  read_only
        .address_space:  global
        .offset:         8
        .size:           8
        .value_kind:     global_buffer
      - .actual_access:  write_only
        .address_space:  global
        .offset:         16
        .size:           8
        .value_kind:     global_buffer
      - .address_space:  global
        .offset:         24
        .size:           8
        .value_kind:     global_buffer
      - .address_space:  global
        .offset:         32
        .size:           8
        .value_kind:     global_buffer
      - .address_space:  global
        .offset:         40
        .size:           8
        .value_kind:     global_buffer
      - .offset:         48
        .size:           4
        .value_kind:     by_value
      - .offset:         52
        .size:           4
        .value_kind:     by_value
      - .offset:         56
        .size:           4
        .value_kind:     by_value
      - .offset:         60
        .size:           4
        .value_kind:     by_value
      - .offset:         64
        .size:           4
        .value_kind:     by_value
      - .offset:         68
        .size:           4
        .value_kind:     by_value
      - .offset:         72
        .size:           4
        .value_kind:     by_value
    .group_segment_fixed_size: 23328
    .kernarg_segment_align: 8
    .kernarg_segment_size: 76
    .language:       OpenCL C
    .language_version:
      - 2
      - 0
    .max_flat_workgroup_size: 256
    .name:           _ZL8moe_q2_KIfLb0EEvPKvS1_PT_PKiS5_S5_iiiiiii
    .private_segment_fixed_size: 0
    .sgpr_count:     32
    .sgpr_spill_count: 0
    .symbol:         _ZL8moe_q2_KIfLb0EEvPKvS1_PT_PKiS5_S5_iiiiiii.kd
    .uniform_work_group_size: 1
    .uses_dynamic_stack: false
    .vgpr_count:     109
    .vgpr_spill_count: 0
    .wavefront_size: 64
  - .args:
      - .actual_access:  read_only
        .address_space:  global
        .offset:         0
        .size:           8
        .value_kind:     global_buffer
      - .actual_access:  read_only
        .address_space:  global
        .offset:         8
        .size:           8
        .value_kind:     global_buffer
      - .actual_access:  write_only
        .address_space:  global
        .offset:         16
        .size:           8
        .value_kind:     global_buffer
      - .address_space:  global
        .offset:         24
        .size:           8
        .value_kind:     global_buffer
      - .address_space:  global
        .offset:         32
        .size:           8
        .value_kind:     global_buffer
      - .address_space:  global
        .offset:         40
        .size:           8
        .value_kind:     global_buffer
      - .offset:         48
        .size:           4
        .value_kind:     by_value
      - .offset:         52
        .size:           4
        .value_kind:     by_value
      - .offset:         56
        .size:           4
        .value_kind:     by_value
      - .offset:         60
        .size:           4
        .value_kind:     by_value
      - .offset:         64
        .size:           4
        .value_kind:     by_value
      - .offset:         68
        .size:           4
        .value_kind:     by_value
      - .offset:         72
        .size:           4
        .value_kind:     by_value
    .group_segment_fixed_size: 23328
    .kernarg_segment_align: 8
    .kernarg_segment_size: 76
    .language:       OpenCL C
    .language_version:
      - 2
      - 0
    .max_flat_workgroup_size: 256
    .name:           _ZL8moe_q2_KIfLb1EEvPKvS1_PT_PKiS5_S5_iiiiiii
    .private_segment_fixed_size: 0
    .sgpr_count:     32
    .sgpr_spill_count: 0
    .symbol:         _ZL8moe_q2_KIfLb1EEvPKvS1_PT_PKiS5_S5_iiiiiii.kd
    .uniform_work_group_size: 1
    .uses_dynamic_stack: false
    .vgpr_count:     109
    .vgpr_spill_count: 0
    .wavefront_size: 64
  - .args:
      - .actual_access:  read_only
        .address_space:  global
        .offset:         0
        .size:           8
        .value_kind:     global_buffer
      - .actual_access:  read_only
        .address_space:  global
        .offset:         8
        .size:           8
        .value_kind:     global_buffer
      - .actual_access:  write_only
        .address_space:  global
        .offset:         16
        .size:           8
        .value_kind:     global_buffer
      - .address_space:  global
        .offset:         24
        .size:           8
        .value_kind:     global_buffer
      - .address_space:  global
        .offset:         32
        .size:           8
        .value_kind:     global_buffer
      - .address_space:  global
        .offset:         40
        .size:           8
        .value_kind:     global_buffer
      - .offset:         48
        .size:           4
        .value_kind:     by_value
      - .offset:         52
        .size:           4
        .value_kind:     by_value
      - .offset:         56
        .size:           4
        .value_kind:     by_value
      - .offset:         60
        .size:           4
        .value_kind:     by_value
      - .offset:         64
        .size:           4
        .value_kind:     by_value
      - .offset:         68
        .size:           4
        .value_kind:     by_value
      - .offset:         72
        .size:           4
        .value_kind:     by_value
    .group_segment_fixed_size: 31776
    .kernarg_segment_align: 8
    .kernarg_segment_size: 76
    .language:       OpenCL C
    .language_version:
      - 2
      - 0
    .max_flat_workgroup_size: 256
    .name:           _ZL8moe_q3_KIfLb0EEvPKvS1_PT_PKiS5_S5_iiiiiii
    .private_segment_fixed_size: 0
    .sgpr_count:     40
    .sgpr_spill_count: 0
    .symbol:         _ZL8moe_q3_KIfLb0EEvPKvS1_PT_PKiS5_S5_iiiiiii.kd
    .uniform_work_group_size: 1
    .uses_dynamic_stack: false
    .vgpr_count:     127
    .vgpr_spill_count: 0
    .wavefront_size: 64
  - .args:
      - .actual_access:  read_only
        .address_space:  global
        .offset:         0
        .size:           8
        .value_kind:     global_buffer
      - .actual_access:  read_only
        .address_space:  global
        .offset:         8
        .size:           8
        .value_kind:     global_buffer
      - .actual_access:  write_only
        .address_space:  global
        .offset:         16
        .size:           8
        .value_kind:     global_buffer
      - .address_space:  global
        .offset:         24
        .size:           8
        .value_kind:     global_buffer
      - .address_space:  global
        .offset:         32
        .size:           8
        .value_kind:     global_buffer
      - .address_space:  global
        .offset:         40
        .size:           8
        .value_kind:     global_buffer
      - .offset:         48
        .size:           4
        .value_kind:     by_value
      - .offset:         52
        .size:           4
        .value_kind:     by_value
      - .offset:         56
        .size:           4
        .value_kind:     by_value
      - .offset:         60
        .size:           4
        .value_kind:     by_value
      - .offset:         64
        .size:           4
        .value_kind:     by_value
      - .offset:         68
        .size:           4
        .value_kind:     by_value
      - .offset:         72
        .size:           4
        .value_kind:     by_value
    .group_segment_fixed_size: 31776
    .kernarg_segment_align: 8
    .kernarg_segment_size: 76
    .language:       OpenCL C
    .language_version:
      - 2
      - 0
    .max_flat_workgroup_size: 256
    .name:           _ZL8moe_q3_KIfLb1EEvPKvS1_PT_PKiS5_S5_iiiiiii
    .private_segment_fixed_size: 24
    .sgpr_count:     44
    .sgpr_spill_count: 0
    .symbol:         _ZL8moe_q3_KIfLb1EEvPKvS1_PT_PKiS5_S5_iiiiiii.kd
    .uniform_work_group_size: 1
    .uses_dynamic_stack: false
    .vgpr_count:     128
    .vgpr_spill_count: 5
    .wavefront_size: 64
  - .args:
      - .actual_access:  read_only
        .address_space:  global
        .offset:         0
        .size:           8
        .value_kind:     global_buffer
      - .actual_access:  read_only
        .address_space:  global
        .offset:         8
        .size:           8
        .value_kind:     global_buffer
      - .actual_access:  write_only
        .address_space:  global
        .offset:         16
        .size:           8
        .value_kind:     global_buffer
      - .address_space:  global
        .offset:         24
        .size:           8
        .value_kind:     global_buffer
      - .address_space:  global
        .offset:         32
        .size:           8
        .value_kind:     global_buffer
      - .address_space:  global
        .offset:         40
        .size:           8
        .value_kind:     global_buffer
      - .offset:         48
        .size:           4
        .value_kind:     by_value
      - .offset:         52
        .size:           4
        .value_kind:     by_value
      - .offset:         56
        .size:           4
        .value_kind:     by_value
      - .offset:         60
        .size:           4
        .value_kind:     by_value
      - .offset:         64
        .size:           4
        .value_kind:     by_value
      - .offset:         68
        .size:           4
        .value_kind:     by_value
      - .offset:         72
        .size:           4
        .value_kind:     by_value
    .group_segment_fixed_size: 20688
    .kernarg_segment_align: 8
    .kernarg_segment_size: 76
    .language:       OpenCL C
    .language_version:
      - 2
      - 0
    .max_flat_workgroup_size: 256
    .name:           _ZL8moe_q4_KIfLb0EEvPKvS1_PT_PKiS5_S5_iiiiiii
    .private_segment_fixed_size: 0
    .sgpr_count:     30
    .sgpr_spill_count: 0
    .symbol:         _ZL8moe_q4_KIfLb0EEvPKvS1_PT_PKiS5_S5_iiiiiii.kd
    .uniform_work_group_size: 1
    .uses_dynamic_stack: false
    .vgpr_count:     128
    .vgpr_spill_count: 0
    .wavefront_size: 64
  - .args:
      - .actual_access:  read_only
        .address_space:  global
        .offset:         0
        .size:           8
        .value_kind:     global_buffer
      - .actual_access:  read_only
        .address_space:  global
        .offset:         8
        .size:           8
        .value_kind:     global_buffer
      - .actual_access:  write_only
        .address_space:  global
        .offset:         16
        .size:           8
        .value_kind:     global_buffer
      - .address_space:  global
        .offset:         24
        .size:           8
        .value_kind:     global_buffer
      - .address_space:  global
        .offset:         32
        .size:           8
        .value_kind:     global_buffer
      - .address_space:  global
        .offset:         40
        .size:           8
        .value_kind:     global_buffer
      - .offset:         48
        .size:           4
        .value_kind:     by_value
      - .offset:         52
        .size:           4
        .value_kind:     by_value
      - .offset:         56
        .size:           4
        .value_kind:     by_value
      - .offset:         60
        .size:           4
        .value_kind:     by_value
      - .offset:         64
        .size:           4
        .value_kind:     by_value
      - .offset:         68
        .size:           4
        .value_kind:     by_value
      - .offset:         72
        .size:           4
        .value_kind:     by_value
    .group_segment_fixed_size: 20688
    .kernarg_segment_align: 8
    .kernarg_segment_size: 76
    .language:       OpenCL C
    .language_version:
      - 2
      - 0
    .max_flat_workgroup_size: 256
    .name:           _ZL8moe_q4_KIfLb1EEvPKvS1_PT_PKiS5_S5_iiiiiii
    .private_segment_fixed_size: 76
    .sgpr_count:     36
    .sgpr_spill_count: 0
    .symbol:         _ZL8moe_q4_KIfLb1EEvPKvS1_PT_PKiS5_S5_iiiiiii.kd
    .uniform_work_group_size: 1
    .uses_dynamic_stack: false
    .vgpr_count:     128
    .vgpr_spill_count: 18
    .wavefront_size: 64
  - .args:
      - .actual_access:  read_only
        .address_space:  global
        .offset:         0
        .size:           8
        .value_kind:     global_buffer
      - .actual_access:  read_only
        .address_space:  global
        .offset:         8
        .size:           8
        .value_kind:     global_buffer
      - .actual_access:  write_only
        .address_space:  global
        .offset:         16
        .size:           8
        .value_kind:     global_buffer
      - .address_space:  global
        .offset:         24
        .size:           8
        .value_kind:     global_buffer
      - .address_space:  global
        .offset:         32
        .size:           8
        .value_kind:     global_buffer
      - .address_space:  global
        .offset:         40
        .size:           8
        .value_kind:     global_buffer
      - .offset:         48
        .size:           4
        .value_kind:     by_value
      - .offset:         52
        .size:           4
        .value_kind:     by_value
      - .offset:         56
        .size:           4
        .value_kind:     by_value
      - .offset:         60
        .size:           4
        .value_kind:     by_value
      - .offset:         64
        .size:           4
        .value_kind:     by_value
      - .offset:         68
        .size:           4
        .value_kind:     by_value
      - .offset:         72
        .size:           4
        .value_kind:     by_value
    .group_segment_fixed_size: 37072
    .kernarg_segment_align: 8
    .kernarg_segment_size: 76
    .language:       OpenCL C
    .language_version:
      - 2
      - 0
    .max_flat_workgroup_size: 256
    .name:           _ZL8moe_q5_KIfLb0EEvPKvS1_PT_PKiS5_S5_iiiiiii
    .private_segment_fixed_size: 0
    .sgpr_count:     30
    .sgpr_spill_count: 0
    .symbol:         _ZL8moe_q5_KIfLb0EEvPKvS1_PT_PKiS5_S5_iiiiiii.kd
    .uniform_work_group_size: 1
    .uses_dynamic_stack: false
    .vgpr_count:     185
    .vgpr_spill_count: 0
    .wavefront_size: 64
  - .args:
      - .actual_access:  read_only
        .address_space:  global
        .offset:         0
        .size:           8
        .value_kind:     global_buffer
      - .actual_access:  read_only
        .address_space:  global
        .offset:         8
        .size:           8
        .value_kind:     global_buffer
      - .actual_access:  write_only
        .address_space:  global
        .offset:         16
        .size:           8
        .value_kind:     global_buffer
      - .address_space:  global
        .offset:         24
        .size:           8
        .value_kind:     global_buffer
      - .address_space:  global
        .offset:         32
        .size:           8
        .value_kind:     global_buffer
      - .address_space:  global
        .offset:         40
        .size:           8
        .value_kind:     global_buffer
      - .offset:         48
        .size:           4
        .value_kind:     by_value
      - .offset:         52
        .size:           4
        .value_kind:     by_value
      - .offset:         56
        .size:           4
        .value_kind:     by_value
      - .offset:         60
        .size:           4
        .value_kind:     by_value
      - .offset:         64
        .size:           4
        .value_kind:     by_value
      - .offset:         68
        .size:           4
        .value_kind:     by_value
      - .offset:         72
        .size:           4
        .value_kind:     by_value
    .group_segment_fixed_size: 37072
    .kernarg_segment_align: 8
    .kernarg_segment_size: 76
    .language:       OpenCL C
    .language_version:
      - 2
      - 0
    .max_flat_workgroup_size: 256
    .name:           _ZL8moe_q5_KIfLb1EEvPKvS1_PT_PKiS5_S5_iiiiiii
    .private_segment_fixed_size: 0
    .sgpr_count:     30
    .sgpr_spill_count: 0
    .symbol:         _ZL8moe_q5_KIfLb1EEvPKvS1_PT_PKiS5_S5_iiiiiii.kd
    .uniform_work_group_size: 1
    .uses_dynamic_stack: false
    .vgpr_count:     184
    .vgpr_spill_count: 0
    .wavefront_size: 64
  - .args:
      - .actual_access:  read_only
        .address_space:  global
        .offset:         0
        .size:           8
        .value_kind:     global_buffer
      - .actual_access:  read_only
        .address_space:  global
        .offset:         8
        .size:           8
        .value_kind:     global_buffer
      - .actual_access:  write_only
        .address_space:  global
        .offset:         16
        .size:           8
        .value_kind:     global_buffer
      - .address_space:  global
        .offset:         24
        .size:           8
        .value_kind:     global_buffer
      - .address_space:  global
        .offset:         32
        .size:           8
        .value_kind:     global_buffer
      - .address_space:  global
        .offset:         40
        .size:           8
        .value_kind:     global_buffer
      - .offset:         48
        .size:           4
        .value_kind:     by_value
      - .offset:         52
        .size:           4
        .value_kind:     by_value
      - .offset:         56
        .size:           4
        .value_kind:     by_value
      - .offset:         60
        .size:           4
        .value_kind:     by_value
      - .offset:         64
        .size:           4
        .value_kind:     by_value
      - .offset:         68
        .size:           4
        .value_kind:     by_value
      - .offset:         72
        .size:           4
        .value_kind:     by_value
    .group_segment_fixed_size: 37072
    .kernarg_segment_align: 8
    .kernarg_segment_size: 76
    .language:       OpenCL C
    .language_version:
      - 2
      - 0
    .max_flat_workgroup_size: 256
    .name:           _ZL8moe_q6_KIfLb0EEvPKvS1_PT_PKiS5_S5_iiiiiii
    .private_segment_fixed_size: 0
    .sgpr_count:     32
    .sgpr_spill_count: 0
    .symbol:         _ZL8moe_q6_KIfLb0EEvPKvS1_PT_PKiS5_S5_iiiiiii.kd
    .uniform_work_group_size: 1
    .uses_dynamic_stack: false
    .vgpr_count:     180
    .vgpr_spill_count: 0
    .wavefront_size: 64
  - .args:
      - .actual_access:  read_only
        .address_space:  global
        .offset:         0
        .size:           8
        .value_kind:     global_buffer
      - .actual_access:  read_only
        .address_space:  global
        .offset:         8
        .size:           8
        .value_kind:     global_buffer
      - .actual_access:  write_only
        .address_space:  global
        .offset:         16
        .size:           8
        .value_kind:     global_buffer
      - .address_space:  global
        .offset:         24
        .size:           8
        .value_kind:     global_buffer
      - .address_space:  global
        .offset:         32
        .size:           8
        .value_kind:     global_buffer
      - .address_space:  global
        .offset:         40
        .size:           8
        .value_kind:     global_buffer
      - .offset:         48
        .size:           4
        .value_kind:     by_value
      - .offset:         52
        .size:           4
        .value_kind:     by_value
      - .offset:         56
        .size:           4
        .value_kind:     by_value
      - .offset:         60
        .size:           4
        .value_kind:     by_value
      - .offset:         64
        .size:           4
        .value_kind:     by_value
      - .offset:         68
        .size:           4
        .value_kind:     by_value
      - .offset:         72
        .size:           4
        .value_kind:     by_value
    .group_segment_fixed_size: 37072
    .kernarg_segment_align: 8
    .kernarg_segment_size: 76
    .language:       OpenCL C
    .language_version:
      - 2
      - 0
    .max_flat_workgroup_size: 256
    .name:           _ZL8moe_q6_KIfLb1EEvPKvS1_PT_PKiS5_S5_iiiiiii
    .private_segment_fixed_size: 0
    .sgpr_count:     32
    .sgpr_spill_count: 0
    .symbol:         _ZL8moe_q6_KIfLb1EEvPKvS1_PT_PKiS5_S5_iiiiiii.kd
    .uniform_work_group_size: 1
    .uses_dynamic_stack: false
    .vgpr_count:     180
    .vgpr_spill_count: 0
    .wavefront_size: 64
  - .args:
      - .actual_access:  read_only
        .address_space:  global
        .offset:         0
        .size:           8
        .value_kind:     global_buffer
      - .actual_access:  read_only
        .address_space:  global
        .offset:         8
        .size:           8
        .value_kind:     global_buffer
      - .actual_access:  write_only
        .address_space:  global
        .offset:         16
        .size:           8
        .value_kind:     global_buffer
      - .address_space:  global
        .offset:         24
        .size:           8
        .value_kind:     global_buffer
      - .address_space:  global
        .offset:         32
        .size:           8
        .value_kind:     global_buffer
      - .address_space:  global
        .offset:         40
        .size:           8
        .value_kind:     global_buffer
      - .offset:         48
        .size:           4
        .value_kind:     by_value
      - .offset:         52
        .size:           4
        .value_kind:     by_value
      - .offset:         56
        .size:           4
        .value_kind:     by_value
      - .offset:         60
        .size:           4
        .value_kind:     by_value
      - .offset:         64
        .size:           4
        .value_kind:     by_value
      - .offset:         68
        .size:           4
        .value_kind:     by_value
      - .offset:         72
        .size:           4
        .value_kind:     by_value
    .group_segment_fixed_size: 22272
    .kernarg_segment_align: 8
    .kernarg_segment_size: 76
    .language:       OpenCL C
    .language_version:
      - 2
      - 0
    .max_flat_workgroup_size: 256
    .name:           _ZL8moe_q4_0IN3c104HalfELb0EEvPKvS3_PT_PKiS7_S7_iiiiiii
    .private_segment_fixed_size: 0
    .sgpr_count:     28
    .sgpr_spill_count: 0
    .symbol:         _ZL8moe_q4_0IN3c104HalfELb0EEvPKvS3_PT_PKiS7_S7_iiiiiii.kd
    .uniform_work_group_size: 1
    .uses_dynamic_stack: false
    .vgpr_count:     123
    .vgpr_spill_count: 0
    .wavefront_size: 64
  - .args:
      - .actual_access:  read_only
        .address_space:  global
        .offset:         0
        .size:           8
        .value_kind:     global_buffer
      - .actual_access:  read_only
        .address_space:  global
        .offset:         8
        .size:           8
        .value_kind:     global_buffer
      - .actual_access:  write_only
        .address_space:  global
        .offset:         16
        .size:           8
        .value_kind:     global_buffer
      - .address_space:  global
        .offset:         24
        .size:           8
        .value_kind:     global_buffer
      - .address_space:  global
        .offset:         32
        .size:           8
        .value_kind:     global_buffer
      - .address_space:  global
        .offset:         40
        .size:           8
        .value_kind:     global_buffer
      - .offset:         48
        .size:           4
        .value_kind:     by_value
      - .offset:         52
        .size:           4
        .value_kind:     by_value
      - .offset:         56
        .size:           4
        .value_kind:     by_value
      - .offset:         60
        .size:           4
        .value_kind:     by_value
      - .offset:         64
        .size:           4
        .value_kind:     by_value
      - .offset:         68
        .size:           4
        .value_kind:     by_value
      - .offset:         72
        .size:           4
        .value_kind:     by_value
    .group_segment_fixed_size: 22272
    .kernarg_segment_align: 8
    .kernarg_segment_size: 76
    .language:       OpenCL C
    .language_version:
      - 2
      - 0
    .max_flat_workgroup_size: 256
    .name:           _ZL8moe_q4_0IN3c104HalfELb1EEvPKvS3_PT_PKiS7_S7_iiiiiii
    .private_segment_fixed_size: 0
    .sgpr_count:     28
    .sgpr_spill_count: 0
    .symbol:         _ZL8moe_q4_0IN3c104HalfELb1EEvPKvS3_PT_PKiS7_S7_iiiiiii.kd
    .uniform_work_group_size: 1
    .uses_dynamic_stack: false
    .vgpr_count:     123
    .vgpr_spill_count: 0
    .wavefront_size: 64
  - .args:
      - .actual_access:  read_only
        .address_space:  global
        .offset:         0
        .size:           8
        .value_kind:     global_buffer
      - .actual_access:  read_only
        .address_space:  global
        .offset:         8
        .size:           8
        .value_kind:     global_buffer
      - .actual_access:  write_only
        .address_space:  global
        .offset:         16
        .size:           8
        .value_kind:     global_buffer
      - .address_space:  global
        .offset:         24
        .size:           8
        .value_kind:     global_buffer
      - .address_space:  global
        .offset:         32
        .size:           8
        .value_kind:     global_buffer
      - .address_space:  global
        .offset:         40
        .size:           8
        .value_kind:     global_buffer
      - .offset:         48
        .size:           4
        .value_kind:     by_value
      - .offset:         52
        .size:           4
        .value_kind:     by_value
      - .offset:         56
        .size:           4
        .value_kind:     by_value
      - .offset:         60
        .size:           4
        .value_kind:     by_value
      - .offset:         64
        .size:           4
        .value_kind:     by_value
      - .offset:         68
        .size:           4
        .value_kind:     by_value
      - .offset:         72
        .size:           4
        .value_kind:     by_value
    .group_segment_fixed_size: 22272
    .kernarg_segment_align: 8
    .kernarg_segment_size: 76
    .language:       OpenCL C
    .language_version:
      - 2
      - 0
    .max_flat_workgroup_size: 256
    .name:           _ZL8moe_q4_1IN3c104HalfELb0EEvPKvS3_PT_PKiS7_S7_iiiiiii
    .private_segment_fixed_size: 0
    .sgpr_count:     28
    .sgpr_spill_count: 0
    .symbol:         _ZL8moe_q4_1IN3c104HalfELb0EEvPKvS3_PT_PKiS7_S7_iiiiiii.kd
    .uniform_work_group_size: 1
    .uses_dynamic_stack: false
    .vgpr_count:     121
    .vgpr_spill_count: 0
    .wavefront_size: 64
  - .args:
      - .actual_access:  read_only
        .address_space:  global
        .offset:         0
        .size:           8
        .value_kind:     global_buffer
      - .actual_access:  read_only
        .address_space:  global
        .offset:         8
        .size:           8
        .value_kind:     global_buffer
      - .actual_access:  write_only
        .address_space:  global
        .offset:         16
        .size:           8
        .value_kind:     global_buffer
      - .address_space:  global
        .offset:         24
        .size:           8
        .value_kind:     global_buffer
      - .address_space:  global
        .offset:         32
        .size:           8
        .value_kind:     global_buffer
      - .address_space:  global
        .offset:         40
        .size:           8
        .value_kind:     global_buffer
      - .offset:         48
        .size:           4
        .value_kind:     by_value
      - .offset:         52
        .size:           4
        .value_kind:     by_value
      - .offset:         56
        .size:           4
        .value_kind:     by_value
      - .offset:         60
        .size:           4
        .value_kind:     by_value
      - .offset:         64
        .size:           4
        .value_kind:     by_value
      - .offset:         68
        .size:           4
        .value_kind:     by_value
      - .offset:         72
        .size:           4
        .value_kind:     by_value
    .group_segment_fixed_size: 22272
    .kernarg_segment_align: 8
    .kernarg_segment_size: 76
    .language:       OpenCL C
    .language_version:
      - 2
      - 0
    .max_flat_workgroup_size: 256
    .name:           _ZL8moe_q4_1IN3c104HalfELb1EEvPKvS3_PT_PKiS7_S7_iiiiiii
    .private_segment_fixed_size: 0
    .sgpr_count:     28
    .sgpr_spill_count: 0
    .symbol:         _ZL8moe_q4_1IN3c104HalfELb1EEvPKvS3_PT_PKiS7_S7_iiiiiii.kd
    .uniform_work_group_size: 1
    .uses_dynamic_stack: false
    .vgpr_count:     121
    .vgpr_spill_count: 0
    .wavefront_size: 64
  - .args:
      - .actual_access:  read_only
        .address_space:  global
        .offset:         0
        .size:           8
        .value_kind:     global_buffer
      - .actual_access:  read_only
        .address_space:  global
        .offset:         8
        .size:           8
        .value_kind:     global_buffer
      - .actual_access:  write_only
        .address_space:  global
        .offset:         16
        .size:           8
        .value_kind:     global_buffer
      - .address_space:  global
        .offset:         24
        .size:           8
        .value_kind:     global_buffer
      - .address_space:  global
        .offset:         32
        .size:           8
        .value_kind:     global_buffer
      - .address_space:  global
        .offset:         40
        .size:           8
        .value_kind:     global_buffer
      - .offset:         48
        .size:           4
        .value_kind:     by_value
      - .offset:         52
        .size:           4
        .value_kind:     by_value
      - .offset:         56
        .size:           4
        .value_kind:     by_value
      - .offset:         60
        .size:           4
        .value_kind:     by_value
      - .offset:         64
        .size:           4
        .value_kind:     by_value
      - .offset:         68
        .size:           4
        .value_kind:     by_value
      - .offset:         72
        .size:           4
        .value_kind:     by_value
    .group_segment_fixed_size: 38656
    .kernarg_segment_align: 8
    .kernarg_segment_size: 76
    .language:       OpenCL C
    .language_version:
      - 2
      - 0
    .max_flat_workgroup_size: 256
    .name:           _ZL8moe_q5_0IN3c104HalfELb0EEvPKvS3_PT_PKiS7_S7_iiiiiii
    .private_segment_fixed_size: 0
    .sgpr_count:     32
    .sgpr_spill_count: 0
    .symbol:         _ZL8moe_q5_0IN3c104HalfELb0EEvPKvS3_PT_PKiS7_S7_iiiiiii.kd
    .uniform_work_group_size: 1
    .uses_dynamic_stack: false
    .vgpr_count:     170
    .vgpr_spill_count: 0
    .wavefront_size: 64
  - .args:
      - .actual_access:  read_only
        .address_space:  global
        .offset:         0
        .size:           8
        .value_kind:     global_buffer
      - .actual_access:  read_only
        .address_space:  global
        .offset:         8
        .size:           8
        .value_kind:     global_buffer
      - .actual_access:  write_only
        .address_space:  global
        .offset:         16
        .size:           8
        .value_kind:     global_buffer
      - .address_space:  global
        .offset:         24
        .size:           8
        .value_kind:     global_buffer
      - .address_space:  global
        .offset:         32
        .size:           8
        .value_kind:     global_buffer
      - .address_space:  global
        .offset:         40
        .size:           8
        .value_kind:     global_buffer
      - .offset:         48
        .size:           4
        .value_kind:     by_value
      - .offset:         52
        .size:           4
        .value_kind:     by_value
      - .offset:         56
        .size:           4
        .value_kind:     by_value
      - .offset:         60
        .size:           4
        .value_kind:     by_value
      - .offset:         64
        .size:           4
        .value_kind:     by_value
      - .offset:         68
        .size:           4
        .value_kind:     by_value
      - .offset:         72
        .size:           4
        .value_kind:     by_value
    .group_segment_fixed_size: 38656
    .kernarg_segment_align: 8
    .kernarg_segment_size: 76
    .language:       OpenCL C
    .language_version:
      - 2
      - 0
    .max_flat_workgroup_size: 256
    .name:           _ZL8moe_q5_0IN3c104HalfELb1EEvPKvS3_PT_PKiS7_S7_iiiiiii
    .private_segment_fixed_size: 0
    .sgpr_count:     32
    .sgpr_spill_count: 0
    .symbol:         _ZL8moe_q5_0IN3c104HalfELb1EEvPKvS3_PT_PKiS7_S7_iiiiiii.kd
    .uniform_work_group_size: 1
    .uses_dynamic_stack: false
    .vgpr_count:     169
    .vgpr_spill_count: 0
    .wavefront_size: 64
  - .args:
      - .actual_access:  read_only
        .address_space:  global
        .offset:         0
        .size:           8
        .value_kind:     global_buffer
      - .actual_access:  read_only
        .address_space:  global
        .offset:         8
        .size:           8
        .value_kind:     global_buffer
      - .actual_access:  write_only
        .address_space:  global
        .offset:         16
        .size:           8
        .value_kind:     global_buffer
      - .address_space:  global
        .offset:         24
        .size:           8
        .value_kind:     global_buffer
      - .address_space:  global
        .offset:         32
        .size:           8
        .value_kind:     global_buffer
      - .address_space:  global
        .offset:         40
        .size:           8
        .value_kind:     global_buffer
      - .offset:         48
        .size:           4
        .value_kind:     by_value
      - .offset:         52
        .size:           4
        .value_kind:     by_value
      - .offset:         56
        .size:           4
        .value_kind:     by_value
      - .offset:         60
        .size:           4
        .value_kind:     by_value
      - .offset:         64
        .size:           4
        .value_kind:     by_value
      - .offset:         68
        .size:           4
        .value_kind:     by_value
      - .offset:         72
        .size:           4
        .value_kind:     by_value
    .group_segment_fixed_size: 38656
    .kernarg_segment_align: 8
    .kernarg_segment_size: 76
    .language:       OpenCL C
    .language_version:
      - 2
      - 0
    .max_flat_workgroup_size: 256
    .name:           _ZL8moe_q5_1IN3c104HalfELb0EEvPKvS3_PT_PKiS7_S7_iiiiiii
    .private_segment_fixed_size: 0
    .sgpr_count:     28
    .sgpr_spill_count: 0
    .symbol:         _ZL8moe_q5_1IN3c104HalfELb0EEvPKvS3_PT_PKiS7_S7_iiiiiii.kd
    .uniform_work_group_size: 1
    .uses_dynamic_stack: false
    .vgpr_count:     122
    .vgpr_spill_count: 0
    .wavefront_size: 64
  - .args:
      - .actual_access:  read_only
        .address_space:  global
        .offset:         0
        .size:           8
        .value_kind:     global_buffer
      - .actual_access:  read_only
        .address_space:  global
        .offset:         8
        .size:           8
        .value_kind:     global_buffer
      - .actual_access:  write_only
        .address_space:  global
        .offset:         16
        .size:           8
        .value_kind:     global_buffer
      - .address_space:  global
        .offset:         24
        .size:           8
        .value_kind:     global_buffer
      - .address_space:  global
        .offset:         32
        .size:           8
        .value_kind:     global_buffer
      - .address_space:  global
        .offset:         40
        .size:           8
        .value_kind:     global_buffer
      - .offset:         48
        .size:           4
        .value_kind:     by_value
      - .offset:         52
        .size:           4
        .value_kind:     by_value
      - .offset:         56
        .size:           4
        .value_kind:     by_value
      - .offset:         60
        .size:           4
        .value_kind:     by_value
      - .offset:         64
        .size:           4
        .value_kind:     by_value
      - .offset:         68
        .size:           4
        .value_kind:     by_value
      - .offset:         72
        .size:           4
        .value_kind:     by_value
    .group_segment_fixed_size: 38656
    .kernarg_segment_align: 8
    .kernarg_segment_size: 76
    .language:       OpenCL C
    .language_version:
      - 2
      - 0
    .max_flat_workgroup_size: 256
    .name:           _ZL8moe_q5_1IN3c104HalfELb1EEvPKvS3_PT_PKiS7_S7_iiiiiii
    .private_segment_fixed_size: 0
    .sgpr_count:     28
    .sgpr_spill_count: 0
    .symbol:         _ZL8moe_q5_1IN3c104HalfELb1EEvPKvS3_PT_PKiS7_S7_iiiiiii.kd
    .uniform_work_group_size: 1
    .uses_dynamic_stack: false
    .vgpr_count:     122
    .vgpr_spill_count: 0
    .wavefront_size: 64
  - .args:
      - .actual_access:  read_only
        .address_space:  global
        .offset:         0
        .size:           8
        .value_kind:     global_buffer
      - .actual_access:  read_only
        .address_space:  global
        .offset:         8
        .size:           8
        .value_kind:     global_buffer
      - .actual_access:  write_only
        .address_space:  global
        .offset:         16
        .size:           8
        .value_kind:     global_buffer
      - .address_space:  global
        .offset:         24
        .size:           8
        .value_kind:     global_buffer
      - .address_space:  global
        .offset:         32
        .size:           8
        .value_kind:     global_buffer
      - .address_space:  global
        .offset:         40
        .size:           8
        .value_kind:     global_buffer
      - .offset:         48
        .size:           4
        .value_kind:     by_value
      - .offset:         52
        .size:           4
        .value_kind:     by_value
      - .offset:         56
        .size:           4
        .value_kind:     by_value
      - .offset:         60
        .size:           4
        .value_kind:     by_value
      - .offset:         64
        .size:           4
        .value_kind:     by_value
      - .offset:         68
        .size:           4
        .value_kind:     by_value
      - .offset:         72
        .size:           4
        .value_kind:     by_value
    .group_segment_fixed_size: 20160
    .kernarg_segment_align: 8
    .kernarg_segment_size: 76
    .language:       OpenCL C
    .language_version:
      - 2
      - 0
    .max_flat_workgroup_size: 256
    .name:           _ZL8moe_q8_0IN3c104HalfELb0EEvPKvS3_PT_PKiS7_S7_iiiiiii
    .private_segment_fixed_size: 0
    .sgpr_count:     24
    .sgpr_spill_count: 0
    .symbol:         _ZL8moe_q8_0IN3c104HalfELb0EEvPKvS3_PT_PKiS7_S7_iiiiiii.kd
    .uniform_work_group_size: 1
    .uses_dynamic_stack: false
    .vgpr_count:     84
    .vgpr_spill_count: 0
    .wavefront_size: 64
  - .args:
      - .actual_access:  read_only
        .address_space:  global
        .offset:         0
        .size:           8
        .value_kind:     global_buffer
      - .actual_access:  read_only
        .address_space:  global
        .offset:         8
        .size:           8
        .value_kind:     global_buffer
      - .actual_access:  write_only
        .address_space:  global
        .offset:         16
        .size:           8
        .value_kind:     global_buffer
      - .address_space:  global
        .offset:         24
        .size:           8
        .value_kind:     global_buffer
      - .address_space:  global
        .offset:         32
        .size:           8
        .value_kind:     global_buffer
      - .address_space:  global
        .offset:         40
        .size:           8
        .value_kind:     global_buffer
      - .offset:         48
        .size:           4
        .value_kind:     by_value
      - .offset:         52
        .size:           4
        .value_kind:     by_value
      - .offset:         56
        .size:           4
        .value_kind:     by_value
      - .offset:         60
        .size:           4
        .value_kind:     by_value
      - .offset:         64
        .size:           4
        .value_kind:     by_value
      - .offset:         68
        .size:           4
        .value_kind:     by_value
      - .offset:         72
        .size:           4
        .value_kind:     by_value
    .group_segment_fixed_size: 20160
    .kernarg_segment_align: 8
    .kernarg_segment_size: 76
    .language:       OpenCL C
    .language_version:
      - 2
      - 0
    .max_flat_workgroup_size: 256
    .name:           _ZL8moe_q8_0IN3c104HalfELb1EEvPKvS3_PT_PKiS7_S7_iiiiiii
    .private_segment_fixed_size: 0
    .sgpr_count:     24
    .sgpr_spill_count: 0
    .symbol:         _ZL8moe_q8_0IN3c104HalfELb1EEvPKvS3_PT_PKiS7_S7_iiiiiii.kd
    .uniform_work_group_size: 1
    .uses_dynamic_stack: false
    .vgpr_count:     84
    .vgpr_spill_count: 0
    .wavefront_size: 64
  - .args:
      - .actual_access:  read_only
        .address_space:  global
        .offset:         0
        .size:           8
        .value_kind:     global_buffer
      - .actual_access:  read_only
        .address_space:  global
        .offset:         8
        .size:           8
        .value_kind:     global_buffer
      - .actual_access:  write_only
        .address_space:  global
        .offset:         16
        .size:           8
        .value_kind:     global_buffer
      - .address_space:  global
        .offset:         24
        .size:           8
        .value_kind:     global_buffer
      - .address_space:  global
        .offset:         32
        .size:           8
        .value_kind:     global_buffer
      - .address_space:  global
        .offset:         40
        .size:           8
        .value_kind:     global_buffer
      - .offset:         48
        .size:           4
        .value_kind:     by_value
      - .offset:         52
        .size:           4
        .value_kind:     by_value
      - .offset:         56
        .size:           4
        .value_kind:     by_value
      - .offset:         60
        .size:           4
        .value_kind:     by_value
      - .offset:         64
        .size:           4
        .value_kind:     by_value
      - .offset:         68
        .size:           4
        .value_kind:     by_value
      - .offset:         72
        .size:           4
        .value_kind:     by_value
    .group_segment_fixed_size: 23328
    .kernarg_segment_align: 8
    .kernarg_segment_size: 76
    .language:       OpenCL C
    .language_version:
      - 2
      - 0
    .max_flat_workgroup_size: 256
    .name:           _ZL8moe_q2_KIN3c104HalfELb0EEvPKvS3_PT_PKiS7_S7_iiiiiii
    .private_segment_fixed_size: 0
    .sgpr_count:     32
    .sgpr_spill_count: 0
    .symbol:         _ZL8moe_q2_KIN3c104HalfELb0EEvPKvS3_PT_PKiS7_S7_iiiiiii.kd
    .uniform_work_group_size: 1
    .uses_dynamic_stack: false
    .vgpr_count:     109
    .vgpr_spill_count: 0
    .wavefront_size: 64
  - .args:
      - .actual_access:  read_only
        .address_space:  global
        .offset:         0
        .size:           8
        .value_kind:     global_buffer
      - .actual_access:  read_only
        .address_space:  global
        .offset:         8
        .size:           8
        .value_kind:     global_buffer
      - .actual_access:  write_only
        .address_space:  global
        .offset:         16
        .size:           8
        .value_kind:     global_buffer
      - .address_space:  global
        .offset:         24
        .size:           8
        .value_kind:     global_buffer
      - .address_space:  global
        .offset:         32
        .size:           8
        .value_kind:     global_buffer
      - .address_space:  global
        .offset:         40
        .size:           8
        .value_kind:     global_buffer
      - .offset:         48
        .size:           4
        .value_kind:     by_value
      - .offset:         52
        .size:           4
        .value_kind:     by_value
      - .offset:         56
        .size:           4
        .value_kind:     by_value
      - .offset:         60
        .size:           4
        .value_kind:     by_value
      - .offset:         64
        .size:           4
        .value_kind:     by_value
      - .offset:         68
        .size:           4
        .value_kind:     by_value
      - .offset:         72
        .size:           4
        .value_kind:     by_value
    .group_segment_fixed_size: 23328
    .kernarg_segment_align: 8
    .kernarg_segment_size: 76
    .language:       OpenCL C
    .language_version:
      - 2
      - 0
    .max_flat_workgroup_size: 256
    .name:           _ZL8moe_q2_KIN3c104HalfELb1EEvPKvS3_PT_PKiS7_S7_iiiiiii
    .private_segment_fixed_size: 0
    .sgpr_count:     32
    .sgpr_spill_count: 0
    .symbol:         _ZL8moe_q2_KIN3c104HalfELb1EEvPKvS3_PT_PKiS7_S7_iiiiiii.kd
    .uniform_work_group_size: 1
    .uses_dynamic_stack: false
    .vgpr_count:     109
    .vgpr_spill_count: 0
    .wavefront_size: 64
  - .args:
      - .actual_access:  read_only
        .address_space:  global
        .offset:         0
        .size:           8
        .value_kind:     global_buffer
      - .actual_access:  read_only
        .address_space:  global
        .offset:         8
        .size:           8
        .value_kind:     global_buffer
      - .actual_access:  write_only
        .address_space:  global
        .offset:         16
        .size:           8
        .value_kind:     global_buffer
      - .address_space:  global
        .offset:         24
        .size:           8
        .value_kind:     global_buffer
      - .address_space:  global
        .offset:         32
        .size:           8
        .value_kind:     global_buffer
      - .address_space:  global
        .offset:         40
        .size:           8
        .value_kind:     global_buffer
      - .offset:         48
        .size:           4
        .value_kind:     by_value
      - .offset:         52
        .size:           4
        .value_kind:     by_value
      - .offset:         56
        .size:           4
        .value_kind:     by_value
      - .offset:         60
        .size:           4
        .value_kind:     by_value
      - .offset:         64
        .size:           4
        .value_kind:     by_value
      - .offset:         68
        .size:           4
        .value_kind:     by_value
      - .offset:         72
        .size:           4
        .value_kind:     by_value
    .group_segment_fixed_size: 31776
    .kernarg_segment_align: 8
    .kernarg_segment_size: 76
    .language:       OpenCL C
    .language_version:
      - 2
      - 0
    .max_flat_workgroup_size: 256
    .name:           _ZL8moe_q3_KIN3c104HalfELb0EEvPKvS3_PT_PKiS7_S7_iiiiiii
    .private_segment_fixed_size: 0
    .sgpr_count:     40
    .sgpr_spill_count: 0
    .symbol:         _ZL8moe_q3_KIN3c104HalfELb0EEvPKvS3_PT_PKiS7_S7_iiiiiii.kd
    .uniform_work_group_size: 1
    .uses_dynamic_stack: false
    .vgpr_count:     127
    .vgpr_spill_count: 0
    .wavefront_size: 64
  - .args:
      - .actual_access:  read_only
        .address_space:  global
        .offset:         0
        .size:           8
        .value_kind:     global_buffer
      - .actual_access:  read_only
        .address_space:  global
        .offset:         8
        .size:           8
        .value_kind:     global_buffer
      - .actual_access:  write_only
        .address_space:  global
        .offset:         16
        .size:           8
        .value_kind:     global_buffer
      - .address_space:  global
        .offset:         24
        .size:           8
        .value_kind:     global_buffer
      - .address_space:  global
        .offset:         32
        .size:           8
        .value_kind:     global_buffer
      - .address_space:  global
        .offset:         40
        .size:           8
        .value_kind:     global_buffer
      - .offset:         48
        .size:           4
        .value_kind:     by_value
      - .offset:         52
        .size:           4
        .value_kind:     by_value
      - .offset:         56
        .size:           4
        .value_kind:     by_value
      - .offset:         60
        .size:           4
        .value_kind:     by_value
      - .offset:         64
        .size:           4
        .value_kind:     by_value
      - .offset:         68
        .size:           4
        .value_kind:     by_value
      - .offset:         72
        .size:           4
        .value_kind:     by_value
    .group_segment_fixed_size: 31776
    .kernarg_segment_align: 8
    .kernarg_segment_size: 76
    .language:       OpenCL C
    .language_version:
      - 2
      - 0
    .max_flat_workgroup_size: 256
    .name:           _ZL8moe_q3_KIN3c104HalfELb1EEvPKvS3_PT_PKiS7_S7_iiiiiii
    .private_segment_fixed_size: 24
    .sgpr_count:     44
    .sgpr_spill_count: 0
    .symbol:         _ZL8moe_q3_KIN3c104HalfELb1EEvPKvS3_PT_PKiS7_S7_iiiiiii.kd
    .uniform_work_group_size: 1
    .uses_dynamic_stack: false
    .vgpr_count:     128
    .vgpr_spill_count: 5
    .wavefront_size: 64
  - .args:
      - .actual_access:  read_only
        .address_space:  global
        .offset:         0
        .size:           8
        .value_kind:     global_buffer
      - .actual_access:  read_only
        .address_space:  global
        .offset:         8
        .size:           8
        .value_kind:     global_buffer
      - .actual_access:  write_only
        .address_space:  global
        .offset:         16
        .size:           8
        .value_kind:     global_buffer
      - .address_space:  global
        .offset:         24
        .size:           8
        .value_kind:     global_buffer
      - .address_space:  global
        .offset:         32
        .size:           8
        .value_kind:     global_buffer
      - .address_space:  global
        .offset:         40
        .size:           8
        .value_kind:     global_buffer
      - .offset:         48
        .size:           4
        .value_kind:     by_value
      - .offset:         52
        .size:           4
        .value_kind:     by_value
      - .offset:         56
        .size:           4
        .value_kind:     by_value
      - .offset:         60
        .size:           4
        .value_kind:     by_value
      - .offset:         64
        .size:           4
        .value_kind:     by_value
      - .offset:         68
        .size:           4
        .value_kind:     by_value
      - .offset:         72
        .size:           4
        .value_kind:     by_value
    .group_segment_fixed_size: 20688
    .kernarg_segment_align: 8
    .kernarg_segment_size: 76
    .language:       OpenCL C
    .language_version:
      - 2
      - 0
    .max_flat_workgroup_size: 256
    .name:           _ZL8moe_q4_KIN3c104HalfELb0EEvPKvS3_PT_PKiS7_S7_iiiiiii
    .private_segment_fixed_size: 0
    .sgpr_count:     30
    .sgpr_spill_count: 0
    .symbol:         _ZL8moe_q4_KIN3c104HalfELb0EEvPKvS3_PT_PKiS7_S7_iiiiiii.kd
    .uniform_work_group_size: 1
    .uses_dynamic_stack: false
    .vgpr_count:     128
    .vgpr_spill_count: 0
    .wavefront_size: 64
  - .args:
      - .actual_access:  read_only
        .address_space:  global
        .offset:         0
        .size:           8
        .value_kind:     global_buffer
      - .actual_access:  read_only
        .address_space:  global
        .offset:         8
        .size:           8
        .value_kind:     global_buffer
      - .actual_access:  write_only
        .address_space:  global
        .offset:         16
        .size:           8
        .value_kind:     global_buffer
      - .address_space:  global
        .offset:         24
        .size:           8
        .value_kind:     global_buffer
      - .address_space:  global
        .offset:         32
        .size:           8
        .value_kind:     global_buffer
      - .address_space:  global
        .offset:         40
        .size:           8
        .value_kind:     global_buffer
      - .offset:         48
        .size:           4
        .value_kind:     by_value
      - .offset:         52
        .size:           4
        .value_kind:     by_value
      - .offset:         56
        .size:           4
        .value_kind:     by_value
      - .offset:         60
        .size:           4
        .value_kind:     by_value
      - .offset:         64
        .size:           4
        .value_kind:     by_value
      - .offset:         68
        .size:           4
        .value_kind:     by_value
      - .offset:         72
        .size:           4
        .value_kind:     by_value
    .group_segment_fixed_size: 20688
    .kernarg_segment_align: 8
    .kernarg_segment_size: 76
    .language:       OpenCL C
    .language_version:
      - 2
      - 0
    .max_flat_workgroup_size: 256
    .name:           _ZL8moe_q4_KIN3c104HalfELb1EEvPKvS3_PT_PKiS7_S7_iiiiiii
    .private_segment_fixed_size: 76
    .sgpr_count:     36
    .sgpr_spill_count: 0
    .symbol:         _ZL8moe_q4_KIN3c104HalfELb1EEvPKvS3_PT_PKiS7_S7_iiiiiii.kd
    .uniform_work_group_size: 1
    .uses_dynamic_stack: false
    .vgpr_count:     128
    .vgpr_spill_count: 18
    .wavefront_size: 64
  - .args:
      - .actual_access:  read_only
        .address_space:  global
        .offset:         0
        .size:           8
        .value_kind:     global_buffer
      - .actual_access:  read_only
        .address_space:  global
        .offset:         8
        .size:           8
        .value_kind:     global_buffer
      - .actual_access:  write_only
        .address_space:  global
        .offset:         16
        .size:           8
        .value_kind:     global_buffer
      - .address_space:  global
        .offset:         24
        .size:           8
        .value_kind:     global_buffer
      - .address_space:  global
        .offset:         32
        .size:           8
        .value_kind:     global_buffer
      - .address_space:  global
        .offset:         40
        .size:           8
        .value_kind:     global_buffer
      - .offset:         48
        .size:           4
        .value_kind:     by_value
      - .offset:         52
        .size:           4
        .value_kind:     by_value
      - .offset:         56
        .size:           4
        .value_kind:     by_value
      - .offset:         60
        .size:           4
        .value_kind:     by_value
      - .offset:         64
        .size:           4
        .value_kind:     by_value
      - .offset:         68
        .size:           4
        .value_kind:     by_value
      - .offset:         72
        .size:           4
        .value_kind:     by_value
    .group_segment_fixed_size: 37072
    .kernarg_segment_align: 8
    .kernarg_segment_size: 76
    .language:       OpenCL C
    .language_version:
      - 2
      - 0
    .max_flat_workgroup_size: 256
    .name:           _ZL8moe_q5_KIN3c104HalfELb0EEvPKvS3_PT_PKiS7_S7_iiiiiii
    .private_segment_fixed_size: 0
    .sgpr_count:     30
    .sgpr_spill_count: 0
    .symbol:         _ZL8moe_q5_KIN3c104HalfELb0EEvPKvS3_PT_PKiS7_S7_iiiiiii.kd
    .uniform_work_group_size: 1
    .uses_dynamic_stack: false
    .vgpr_count:     185
    .vgpr_spill_count: 0
    .wavefront_size: 64
  - .args:
      - .actual_access:  read_only
        .address_space:  global
        .offset:         0
        .size:           8
        .value_kind:     global_buffer
      - .actual_access:  read_only
        .address_space:  global
        .offset:         8
        .size:           8
        .value_kind:     global_buffer
      - .actual_access:  write_only
        .address_space:  global
        .offset:         16
        .size:           8
        .value_kind:     global_buffer
      - .address_space:  global
        .offset:         24
        .size:           8
        .value_kind:     global_buffer
      - .address_space:  global
        .offset:         32
        .size:           8
        .value_kind:     global_buffer
      - .address_space:  global
        .offset:         40
        .size:           8
        .value_kind:     global_buffer
      - .offset:         48
        .size:           4
        .value_kind:     by_value
      - .offset:         52
        .size:           4
        .value_kind:     by_value
      - .offset:         56
        .size:           4
        .value_kind:     by_value
      - .offset:         60
        .size:           4
        .value_kind:     by_value
      - .offset:         64
        .size:           4
        .value_kind:     by_value
      - .offset:         68
        .size:           4
        .value_kind:     by_value
      - .offset:         72
        .size:           4
        .value_kind:     by_value
    .group_segment_fixed_size: 37072
    .kernarg_segment_align: 8
    .kernarg_segment_size: 76
    .language:       OpenCL C
    .language_version:
      - 2
      - 0
    .max_flat_workgroup_size: 256
    .name:           _ZL8moe_q5_KIN3c104HalfELb1EEvPKvS3_PT_PKiS7_S7_iiiiiii
    .private_segment_fixed_size: 0
    .sgpr_count:     30
    .sgpr_spill_count: 0
    .symbol:         _ZL8moe_q5_KIN3c104HalfELb1EEvPKvS3_PT_PKiS7_S7_iiiiiii.kd
    .uniform_work_group_size: 1
    .uses_dynamic_stack: false
    .vgpr_count:     184
    .vgpr_spill_count: 0
    .wavefront_size: 64
  - .args:
      - .actual_access:  read_only
        .address_space:  global
        .offset:         0
        .size:           8
        .value_kind:     global_buffer
      - .actual_access:  read_only
        .address_space:  global
        .offset:         8
        .size:           8
        .value_kind:     global_buffer
      - .actual_access:  write_only
        .address_space:  global
        .offset:         16
        .size:           8
        .value_kind:     global_buffer
      - .address_space:  global
        .offset:         24
        .size:           8
        .value_kind:     global_buffer
      - .address_space:  global
        .offset:         32
        .size:           8
        .value_kind:     global_buffer
      - .address_space:  global
        .offset:         40
        .size:           8
        .value_kind:     global_buffer
      - .offset:         48
        .size:           4
        .value_kind:     by_value
      - .offset:         52
        .size:           4
        .value_kind:     by_value
      - .offset:         56
        .size:           4
        .value_kind:     by_value
      - .offset:         60
        .size:           4
        .value_kind:     by_value
      - .offset:         64
        .size:           4
        .value_kind:     by_value
      - .offset:         68
        .size:           4
        .value_kind:     by_value
      - .offset:         72
        .size:           4
        .value_kind:     by_value
    .group_segment_fixed_size: 37072
    .kernarg_segment_align: 8
    .kernarg_segment_size: 76
    .language:       OpenCL C
    .language_version:
      - 2
      - 0
    .max_flat_workgroup_size: 256
    .name:           _ZL8moe_q6_KIN3c104HalfELb0EEvPKvS3_PT_PKiS7_S7_iiiiiii
    .private_segment_fixed_size: 0
    .sgpr_count:     32
    .sgpr_spill_count: 0
    .symbol:         _ZL8moe_q6_KIN3c104HalfELb0EEvPKvS3_PT_PKiS7_S7_iiiiiii.kd
    .uniform_work_group_size: 1
    .uses_dynamic_stack: false
    .vgpr_count:     180
    .vgpr_spill_count: 0
    .wavefront_size: 64
  - .args:
      - .actual_access:  read_only
        .address_space:  global
        .offset:         0
        .size:           8
        .value_kind:     global_buffer
      - .actual_access:  read_only
        .address_space:  global
        .offset:         8
        .size:           8
        .value_kind:     global_buffer
      - .actual_access:  write_only
        .address_space:  global
        .offset:         16
        .size:           8
        .value_kind:     global_buffer
      - .address_space:  global
        .offset:         24
        .size:           8
        .value_kind:     global_buffer
      - .address_space:  global
        .offset:         32
        .size:           8
        .value_kind:     global_buffer
      - .address_space:  global
        .offset:         40
        .size:           8
        .value_kind:     global_buffer
      - .offset:         48
        .size:           4
        .value_kind:     by_value
      - .offset:         52
        .size:           4
        .value_kind:     by_value
      - .offset:         56
        .size:           4
        .value_kind:     by_value
      - .offset:         60
        .size:           4
        .value_kind:     by_value
      - .offset:         64
        .size:           4
        .value_kind:     by_value
      - .offset:         68
        .size:           4
        .value_kind:     by_value
      - .offset:         72
        .size:           4
        .value_kind:     by_value
    .group_segment_fixed_size: 37072
    .kernarg_segment_align: 8
    .kernarg_segment_size: 76
    .language:       OpenCL C
    .language_version:
      - 2
      - 0
    .max_flat_workgroup_size: 256
    .name:           _ZL8moe_q6_KIN3c104HalfELb1EEvPKvS3_PT_PKiS7_S7_iiiiiii
    .private_segment_fixed_size: 0
    .sgpr_count:     32
    .sgpr_spill_count: 0
    .symbol:         _ZL8moe_q6_KIN3c104HalfELb1EEvPKvS3_PT_PKiS7_S7_iiiiiii.kd
    .uniform_work_group_size: 1
    .uses_dynamic_stack: false
    .vgpr_count:     180
    .vgpr_spill_count: 0
    .wavefront_size: 64
  - .args:
      - .actual_access:  read_only
        .address_space:  global
        .offset:         0
        .size:           8
        .value_kind:     global_buffer
      - .actual_access:  read_only
        .address_space:  global
        .offset:         8
        .size:           8
        .value_kind:     global_buffer
      - .actual_access:  write_only
        .address_space:  global
        .offset:         16
        .size:           8
        .value_kind:     global_buffer
      - .address_space:  global
        .offset:         24
        .size:           8
        .value_kind:     global_buffer
      - .address_space:  global
        .offset:         32
        .size:           8
        .value_kind:     global_buffer
      - .address_space:  global
        .offset:         40
        .size:           8
        .value_kind:     global_buffer
      - .offset:         48
        .size:           4
        .value_kind:     by_value
      - .offset:         52
        .size:           4
        .value_kind:     by_value
      - .offset:         56
        .size:           4
        .value_kind:     by_value
      - .offset:         60
        .size:           4
        .value_kind:     by_value
      - .offset:         64
        .size:           4
        .value_kind:     by_value
      - .offset:         68
        .size:           4
        .value_kind:     by_value
      - .offset:         72
        .size:           4
        .value_kind:     by_value
    .group_segment_fixed_size: 22272
    .kernarg_segment_align: 8
    .kernarg_segment_size: 76
    .language:       OpenCL C
    .language_version:
      - 2
      - 0
    .max_flat_workgroup_size: 256
    .name:           _ZL8moe_q4_0IN3c108BFloat16ELb0EEvPKvS3_PT_PKiS7_S7_iiiiiii
    .private_segment_fixed_size: 0
    .sgpr_count:     28
    .sgpr_spill_count: 0
    .symbol:         _ZL8moe_q4_0IN3c108BFloat16ELb0EEvPKvS3_PT_PKiS7_S7_iiiiiii.kd
    .uniform_work_group_size: 1
    .uses_dynamic_stack: false
    .vgpr_count:     123
    .vgpr_spill_count: 0
    .wavefront_size: 64
  - .args:
      - .actual_access:  read_only
        .address_space:  global
        .offset:         0
        .size:           8
        .value_kind:     global_buffer
      - .actual_access:  read_only
        .address_space:  global
        .offset:         8
        .size:           8
        .value_kind:     global_buffer
      - .actual_access:  write_only
        .address_space:  global
        .offset:         16
        .size:           8
        .value_kind:     global_buffer
      - .address_space:  global
        .offset:         24
        .size:           8
        .value_kind:     global_buffer
      - .address_space:  global
        .offset:         32
        .size:           8
        .value_kind:     global_buffer
      - .address_space:  global
        .offset:         40
        .size:           8
        .value_kind:     global_buffer
      - .offset:         48
        .size:           4
        .value_kind:     by_value
      - .offset:         52
        .size:           4
        .value_kind:     by_value
      - .offset:         56
        .size:           4
        .value_kind:     by_value
      - .offset:         60
        .size:           4
        .value_kind:     by_value
      - .offset:         64
        .size:           4
        .value_kind:     by_value
      - .offset:         68
        .size:           4
        .value_kind:     by_value
      - .offset:         72
        .size:           4
        .value_kind:     by_value
    .group_segment_fixed_size: 22272
    .kernarg_segment_align: 8
    .kernarg_segment_size: 76
    .language:       OpenCL C
    .language_version:
      - 2
      - 0
    .max_flat_workgroup_size: 256
    .name:           _ZL8moe_q4_0IN3c108BFloat16ELb1EEvPKvS3_PT_PKiS7_S7_iiiiiii
    .private_segment_fixed_size: 0
    .sgpr_count:     28
    .sgpr_spill_count: 0
    .symbol:         _ZL8moe_q4_0IN3c108BFloat16ELb1EEvPKvS3_PT_PKiS7_S7_iiiiiii.kd
    .uniform_work_group_size: 1
    .uses_dynamic_stack: false
    .vgpr_count:     123
    .vgpr_spill_count: 0
    .wavefront_size: 64
  - .args:
      - .actual_access:  read_only
        .address_space:  global
        .offset:         0
        .size:           8
        .value_kind:     global_buffer
      - .actual_access:  read_only
        .address_space:  global
        .offset:         8
        .size:           8
        .value_kind:     global_buffer
      - .actual_access:  write_only
        .address_space:  global
        .offset:         16
        .size:           8
        .value_kind:     global_buffer
      - .address_space:  global
        .offset:         24
        .size:           8
        .value_kind:     global_buffer
      - .address_space:  global
        .offset:         32
        .size:           8
        .value_kind:     global_buffer
      - .address_space:  global
        .offset:         40
        .size:           8
        .value_kind:     global_buffer
      - .offset:         48
        .size:           4
        .value_kind:     by_value
      - .offset:         52
        .size:           4
        .value_kind:     by_value
      - .offset:         56
        .size:           4
        .value_kind:     by_value
      - .offset:         60
        .size:           4
        .value_kind:     by_value
      - .offset:         64
        .size:           4
        .value_kind:     by_value
      - .offset:         68
        .size:           4
        .value_kind:     by_value
      - .offset:         72
        .size:           4
        .value_kind:     by_value
    .group_segment_fixed_size: 22272
    .kernarg_segment_align: 8
    .kernarg_segment_size: 76
    .language:       OpenCL C
    .language_version:
      - 2
      - 0
    .max_flat_workgroup_size: 256
    .name:           _ZL8moe_q4_1IN3c108BFloat16ELb0EEvPKvS3_PT_PKiS7_S7_iiiiiii
    .private_segment_fixed_size: 0
    .sgpr_count:     28
    .sgpr_spill_count: 0
    .symbol:         _ZL8moe_q4_1IN3c108BFloat16ELb0EEvPKvS3_PT_PKiS7_S7_iiiiiii.kd
    .uniform_work_group_size: 1
    .uses_dynamic_stack: false
    .vgpr_count:     121
    .vgpr_spill_count: 0
    .wavefront_size: 64
  - .args:
      - .actual_access:  read_only
        .address_space:  global
        .offset:         0
        .size:           8
        .value_kind:     global_buffer
      - .actual_access:  read_only
        .address_space:  global
        .offset:         8
        .size:           8
        .value_kind:     global_buffer
      - .actual_access:  write_only
        .address_space:  global
        .offset:         16
        .size:           8
        .value_kind:     global_buffer
      - .address_space:  global
        .offset:         24
        .size:           8
        .value_kind:     global_buffer
      - .address_space:  global
        .offset:         32
        .size:           8
        .value_kind:     global_buffer
      - .address_space:  global
        .offset:         40
        .size:           8
        .value_kind:     global_buffer
      - .offset:         48
        .size:           4
        .value_kind:     by_value
      - .offset:         52
        .size:           4
        .value_kind:     by_value
      - .offset:         56
        .size:           4
        .value_kind:     by_value
      - .offset:         60
        .size:           4
        .value_kind:     by_value
      - .offset:         64
        .size:           4
        .value_kind:     by_value
      - .offset:         68
        .size:           4
        .value_kind:     by_value
      - .offset:         72
        .size:           4
        .value_kind:     by_value
    .group_segment_fixed_size: 22272
    .kernarg_segment_align: 8
    .kernarg_segment_size: 76
    .language:       OpenCL C
    .language_version:
      - 2
      - 0
    .max_flat_workgroup_size: 256
    .name:           _ZL8moe_q4_1IN3c108BFloat16ELb1EEvPKvS3_PT_PKiS7_S7_iiiiiii
    .private_segment_fixed_size: 0
    .sgpr_count:     28
    .sgpr_spill_count: 0
    .symbol:         _ZL8moe_q4_1IN3c108BFloat16ELb1EEvPKvS3_PT_PKiS7_S7_iiiiiii.kd
    .uniform_work_group_size: 1
    .uses_dynamic_stack: false
    .vgpr_count:     121
    .vgpr_spill_count: 0
    .wavefront_size: 64
  - .args:
      - .actual_access:  read_only
        .address_space:  global
        .offset:         0
        .size:           8
        .value_kind:     global_buffer
      - .actual_access:  read_only
        .address_space:  global
        .offset:         8
        .size:           8
        .value_kind:     global_buffer
      - .actual_access:  write_only
        .address_space:  global
        .offset:         16
        .size:           8
        .value_kind:     global_buffer
      - .address_space:  global
        .offset:         24
        .size:           8
        .value_kind:     global_buffer
      - .address_space:  global
        .offset:         32
        .size:           8
        .value_kind:     global_buffer
      - .address_space:  global
        .offset:         40
        .size:           8
        .value_kind:     global_buffer
      - .offset:         48
        .size:           4
        .value_kind:     by_value
      - .offset:         52
        .size:           4
        .value_kind:     by_value
      - .offset:         56
        .size:           4
        .value_kind:     by_value
      - .offset:         60
        .size:           4
        .value_kind:     by_value
      - .offset:         64
        .size:           4
        .value_kind:     by_value
      - .offset:         68
        .size:           4
        .value_kind:     by_value
      - .offset:         72
        .size:           4
        .value_kind:     by_value
    .group_segment_fixed_size: 38656
    .kernarg_segment_align: 8
    .kernarg_segment_size: 76
    .language:       OpenCL C
    .language_version:
      - 2
      - 0
    .max_flat_workgroup_size: 256
    .name:           _ZL8moe_q5_0IN3c108BFloat16ELb0EEvPKvS3_PT_PKiS7_S7_iiiiiii
    .private_segment_fixed_size: 0
    .sgpr_count:     32
    .sgpr_spill_count: 0
    .symbol:         _ZL8moe_q5_0IN3c108BFloat16ELb0EEvPKvS3_PT_PKiS7_S7_iiiiiii.kd
    .uniform_work_group_size: 1
    .uses_dynamic_stack: false
    .vgpr_count:     170
    .vgpr_spill_count: 0
    .wavefront_size: 64
  - .args:
      - .actual_access:  read_only
        .address_space:  global
        .offset:         0
        .size:           8
        .value_kind:     global_buffer
      - .actual_access:  read_only
        .address_space:  global
        .offset:         8
        .size:           8
        .value_kind:     global_buffer
      - .actual_access:  write_only
        .address_space:  global
        .offset:         16
        .size:           8
        .value_kind:     global_buffer
      - .address_space:  global
        .offset:         24
        .size:           8
        .value_kind:     global_buffer
      - .address_space:  global
        .offset:         32
        .size:           8
        .value_kind:     global_buffer
      - .address_space:  global
        .offset:         40
        .size:           8
        .value_kind:     global_buffer
      - .offset:         48
        .size:           4
        .value_kind:     by_value
      - .offset:         52
        .size:           4
        .value_kind:     by_value
      - .offset:         56
        .size:           4
        .value_kind:     by_value
      - .offset:         60
        .size:           4
        .value_kind:     by_value
      - .offset:         64
        .size:           4
        .value_kind:     by_value
      - .offset:         68
        .size:           4
        .value_kind:     by_value
      - .offset:         72
        .size:           4
        .value_kind:     by_value
    .group_segment_fixed_size: 38656
    .kernarg_segment_align: 8
    .kernarg_segment_size: 76
    .language:       OpenCL C
    .language_version:
      - 2
      - 0
    .max_flat_workgroup_size: 256
    .name:           _ZL8moe_q5_0IN3c108BFloat16ELb1EEvPKvS3_PT_PKiS7_S7_iiiiiii
    .private_segment_fixed_size: 0
    .sgpr_count:     32
    .sgpr_spill_count: 0
    .symbol:         _ZL8moe_q5_0IN3c108BFloat16ELb1EEvPKvS3_PT_PKiS7_S7_iiiiiii.kd
    .uniform_work_group_size: 1
    .uses_dynamic_stack: false
    .vgpr_count:     169
    .vgpr_spill_count: 0
    .wavefront_size: 64
  - .args:
      - .actual_access:  read_only
        .address_space:  global
        .offset:         0
        .size:           8
        .value_kind:     global_buffer
      - .actual_access:  read_only
        .address_space:  global
        .offset:         8
        .size:           8
        .value_kind:     global_buffer
      - .actual_access:  write_only
        .address_space:  global
        .offset:         16
        .size:           8
        .value_kind:     global_buffer
      - .address_space:  global
        .offset:         24
        .size:           8
        .value_kind:     global_buffer
      - .address_space:  global
        .offset:         32
        .size:           8
        .value_kind:     global_buffer
      - .address_space:  global
        .offset:         40
        .size:           8
        .value_kind:     global_buffer
      - .offset:         48
        .size:           4
        .value_kind:     by_value
      - .offset:         52
        .size:           4
        .value_kind:     by_value
      - .offset:         56
        .size:           4
        .value_kind:     by_value
      - .offset:         60
        .size:           4
        .value_kind:     by_value
      - .offset:         64
        .size:           4
        .value_kind:     by_value
      - .offset:         68
        .size:           4
        .value_kind:     by_value
      - .offset:         72
        .size:           4
        .value_kind:     by_value
    .group_segment_fixed_size: 38656
    .kernarg_segment_align: 8
    .kernarg_segment_size: 76
    .language:       OpenCL C
    .language_version:
      - 2
      - 0
    .max_flat_workgroup_size: 256
    .name:           _ZL8moe_q5_1IN3c108BFloat16ELb0EEvPKvS3_PT_PKiS7_S7_iiiiiii
    .private_segment_fixed_size: 0
    .sgpr_count:     28
    .sgpr_spill_count: 0
    .symbol:         _ZL8moe_q5_1IN3c108BFloat16ELb0EEvPKvS3_PT_PKiS7_S7_iiiiiii.kd
    .uniform_work_group_size: 1
    .uses_dynamic_stack: false
    .vgpr_count:     122
    .vgpr_spill_count: 0
    .wavefront_size: 64
  - .args:
      - .actual_access:  read_only
        .address_space:  global
        .offset:         0
        .size:           8
        .value_kind:     global_buffer
      - .actual_access:  read_only
        .address_space:  global
        .offset:         8
        .size:           8
        .value_kind:     global_buffer
      - .actual_access:  write_only
        .address_space:  global
        .offset:         16
        .size:           8
        .value_kind:     global_buffer
      - .address_space:  global
        .offset:         24
        .size:           8
        .value_kind:     global_buffer
      - .address_space:  global
        .offset:         32
        .size:           8
        .value_kind:     global_buffer
      - .address_space:  global
        .offset:         40
        .size:           8
        .value_kind:     global_buffer
      - .offset:         48
        .size:           4
        .value_kind:     by_value
      - .offset:         52
        .size:           4
        .value_kind:     by_value
      - .offset:         56
        .size:           4
        .value_kind:     by_value
      - .offset:         60
        .size:           4
        .value_kind:     by_value
      - .offset:         64
        .size:           4
        .value_kind:     by_value
      - .offset:         68
        .size:           4
        .value_kind:     by_value
      - .offset:         72
        .size:           4
        .value_kind:     by_value
    .group_segment_fixed_size: 38656
    .kernarg_segment_align: 8
    .kernarg_segment_size: 76
    .language:       OpenCL C
    .language_version:
      - 2
      - 0
    .max_flat_workgroup_size: 256
    .name:           _ZL8moe_q5_1IN3c108BFloat16ELb1EEvPKvS3_PT_PKiS7_S7_iiiiiii
    .private_segment_fixed_size: 0
    .sgpr_count:     28
    .sgpr_spill_count: 0
    .symbol:         _ZL8moe_q5_1IN3c108BFloat16ELb1EEvPKvS3_PT_PKiS7_S7_iiiiiii.kd
    .uniform_work_group_size: 1
    .uses_dynamic_stack: false
    .vgpr_count:     122
    .vgpr_spill_count: 0
    .wavefront_size: 64
  - .args:
      - .actual_access:  read_only
        .address_space:  global
        .offset:         0
        .size:           8
        .value_kind:     global_buffer
      - .actual_access:  read_only
        .address_space:  global
        .offset:         8
        .size:           8
        .value_kind:     global_buffer
      - .actual_access:  write_only
        .address_space:  global
        .offset:         16
        .size:           8
        .value_kind:     global_buffer
      - .address_space:  global
        .offset:         24
        .size:           8
        .value_kind:     global_buffer
      - .address_space:  global
        .offset:         32
        .size:           8
        .value_kind:     global_buffer
      - .address_space:  global
        .offset:         40
        .size:           8
        .value_kind:     global_buffer
      - .offset:         48
        .size:           4
        .value_kind:     by_value
      - .offset:         52
        .size:           4
        .value_kind:     by_value
      - .offset:         56
        .size:           4
        .value_kind:     by_value
      - .offset:         60
        .size:           4
        .value_kind:     by_value
      - .offset:         64
        .size:           4
        .value_kind:     by_value
      - .offset:         68
        .size:           4
        .value_kind:     by_value
      - .offset:         72
        .size:           4
        .value_kind:     by_value
    .group_segment_fixed_size: 20160
    .kernarg_segment_align: 8
    .kernarg_segment_size: 76
    .language:       OpenCL C
    .language_version:
      - 2
      - 0
    .max_flat_workgroup_size: 256
    .name:           _ZL8moe_q8_0IN3c108BFloat16ELb0EEvPKvS3_PT_PKiS7_S7_iiiiiii
    .private_segment_fixed_size: 0
    .sgpr_count:     24
    .sgpr_spill_count: 0
    .symbol:         _ZL8moe_q8_0IN3c108BFloat16ELb0EEvPKvS3_PT_PKiS7_S7_iiiiiii.kd
    .uniform_work_group_size: 1
    .uses_dynamic_stack: false
    .vgpr_count:     84
    .vgpr_spill_count: 0
    .wavefront_size: 64
  - .args:
      - .actual_access:  read_only
        .address_space:  global
        .offset:         0
        .size:           8
        .value_kind:     global_buffer
      - .actual_access:  read_only
        .address_space:  global
        .offset:         8
        .size:           8
        .value_kind:     global_buffer
      - .actual_access:  write_only
        .address_space:  global
        .offset:         16
        .size:           8
        .value_kind:     global_buffer
      - .address_space:  global
        .offset:         24
        .size:           8
        .value_kind:     global_buffer
      - .address_space:  global
        .offset:         32
        .size:           8
        .value_kind:     global_buffer
      - .address_space:  global
        .offset:         40
        .size:           8
        .value_kind:     global_buffer
      - .offset:         48
        .size:           4
        .value_kind:     by_value
      - .offset:         52
        .size:           4
        .value_kind:     by_value
      - .offset:         56
        .size:           4
        .value_kind:     by_value
      - .offset:         60
        .size:           4
        .value_kind:     by_value
      - .offset:         64
        .size:           4
        .value_kind:     by_value
      - .offset:         68
        .size:           4
        .value_kind:     by_value
      - .offset:         72
        .size:           4
        .value_kind:     by_value
    .group_segment_fixed_size: 20160
    .kernarg_segment_align: 8
    .kernarg_segment_size: 76
    .language:       OpenCL C
    .language_version:
      - 2
      - 0
    .max_flat_workgroup_size: 256
    .name:           _ZL8moe_q8_0IN3c108BFloat16ELb1EEvPKvS3_PT_PKiS7_S7_iiiiiii
    .private_segment_fixed_size: 0
    .sgpr_count:     24
    .sgpr_spill_count: 0
    .symbol:         _ZL8moe_q8_0IN3c108BFloat16ELb1EEvPKvS3_PT_PKiS7_S7_iiiiiii.kd
    .uniform_work_group_size: 1
    .uses_dynamic_stack: false
    .vgpr_count:     84
    .vgpr_spill_count: 0
    .wavefront_size: 64
  - .args:
      - .actual_access:  read_only
        .address_space:  global
        .offset:         0
        .size:           8
        .value_kind:     global_buffer
      - .actual_access:  read_only
        .address_space:  global
        .offset:         8
        .size:           8
        .value_kind:     global_buffer
      - .actual_access:  write_only
        .address_space:  global
        .offset:         16
        .size:           8
        .value_kind:     global_buffer
      - .address_space:  global
        .offset:         24
        .size:           8
        .value_kind:     global_buffer
      - .address_space:  global
        .offset:         32
        .size:           8
        .value_kind:     global_buffer
      - .address_space:  global
        .offset:         40
        .size:           8
        .value_kind:     global_buffer
      - .offset:         48
        .size:           4
        .value_kind:     by_value
      - .offset:         52
        .size:           4
        .value_kind:     by_value
      - .offset:         56
        .size:           4
        .value_kind:     by_value
      - .offset:         60
        .size:           4
        .value_kind:     by_value
      - .offset:         64
        .size:           4
        .value_kind:     by_value
      - .offset:         68
        .size:           4
        .value_kind:     by_value
      - .offset:         72
        .size:           4
        .value_kind:     by_value
    .group_segment_fixed_size: 23328
    .kernarg_segment_align: 8
    .kernarg_segment_size: 76
    .language:       OpenCL C
    .language_version:
      - 2
      - 0
    .max_flat_workgroup_size: 256
    .name:           _ZL8moe_q2_KIN3c108BFloat16ELb0EEvPKvS3_PT_PKiS7_S7_iiiiiii
    .private_segment_fixed_size: 0
    .sgpr_count:     32
    .sgpr_spill_count: 0
    .symbol:         _ZL8moe_q2_KIN3c108BFloat16ELb0EEvPKvS3_PT_PKiS7_S7_iiiiiii.kd
    .uniform_work_group_size: 1
    .uses_dynamic_stack: false
    .vgpr_count:     109
    .vgpr_spill_count: 0
    .wavefront_size: 64
  - .args:
      - .actual_access:  read_only
        .address_space:  global
        .offset:         0
        .size:           8
        .value_kind:     global_buffer
      - .actual_access:  read_only
        .address_space:  global
        .offset:         8
        .size:           8
        .value_kind:     global_buffer
      - .actual_access:  write_only
        .address_space:  global
        .offset:         16
        .size:           8
        .value_kind:     global_buffer
      - .address_space:  global
        .offset:         24
        .size:           8
        .value_kind:     global_buffer
      - .address_space:  global
        .offset:         32
        .size:           8
        .value_kind:     global_buffer
      - .address_space:  global
        .offset:         40
        .size:           8
        .value_kind:     global_buffer
      - .offset:         48
        .size:           4
        .value_kind:     by_value
      - .offset:         52
        .size:           4
        .value_kind:     by_value
      - .offset:         56
        .size:           4
        .value_kind:     by_value
      - .offset:         60
        .size:           4
        .value_kind:     by_value
      - .offset:         64
        .size:           4
        .value_kind:     by_value
      - .offset:         68
        .size:           4
        .value_kind:     by_value
      - .offset:         72
        .size:           4
        .value_kind:     by_value
    .group_segment_fixed_size: 23328
    .kernarg_segment_align: 8
    .kernarg_segment_size: 76
    .language:       OpenCL C
    .language_version:
      - 2
      - 0
    .max_flat_workgroup_size: 256
    .name:           _ZL8moe_q2_KIN3c108BFloat16ELb1EEvPKvS3_PT_PKiS7_S7_iiiiiii
    .private_segment_fixed_size: 0
    .sgpr_count:     32
    .sgpr_spill_count: 0
    .symbol:         _ZL8moe_q2_KIN3c108BFloat16ELb1EEvPKvS3_PT_PKiS7_S7_iiiiiii.kd
    .uniform_work_group_size: 1
    .uses_dynamic_stack: false
    .vgpr_count:     109
    .vgpr_spill_count: 0
    .wavefront_size: 64
  - .args:
      - .actual_access:  read_only
        .address_space:  global
        .offset:         0
        .size:           8
        .value_kind:     global_buffer
      - .actual_access:  read_only
        .address_space:  global
        .offset:         8
        .size:           8
        .value_kind:     global_buffer
      - .actual_access:  write_only
        .address_space:  global
        .offset:         16
        .size:           8
        .value_kind:     global_buffer
      - .address_space:  global
        .offset:         24
        .size:           8
        .value_kind:     global_buffer
      - .address_space:  global
        .offset:         32
        .size:           8
        .value_kind:     global_buffer
      - .address_space:  global
        .offset:         40
        .size:           8
        .value_kind:     global_buffer
      - .offset:         48
        .size:           4
        .value_kind:     by_value
      - .offset:         52
        .size:           4
        .value_kind:     by_value
      - .offset:         56
        .size:           4
        .value_kind:     by_value
      - .offset:         60
        .size:           4
        .value_kind:     by_value
      - .offset:         64
        .size:           4
        .value_kind:     by_value
      - .offset:         68
        .size:           4
        .value_kind:     by_value
      - .offset:         72
        .size:           4
        .value_kind:     by_value
    .group_segment_fixed_size: 31776
    .kernarg_segment_align: 8
    .kernarg_segment_size: 76
    .language:       OpenCL C
    .language_version:
      - 2
      - 0
    .max_flat_workgroup_size: 256
    .name:           _ZL8moe_q3_KIN3c108BFloat16ELb0EEvPKvS3_PT_PKiS7_S7_iiiiiii
    .private_segment_fixed_size: 0
    .sgpr_count:     40
    .sgpr_spill_count: 0
    .symbol:         _ZL8moe_q3_KIN3c108BFloat16ELb0EEvPKvS3_PT_PKiS7_S7_iiiiiii.kd
    .uniform_work_group_size: 1
    .uses_dynamic_stack: false
    .vgpr_count:     127
    .vgpr_spill_count: 0
    .wavefront_size: 64
  - .args:
      - .actual_access:  read_only
        .address_space:  global
        .offset:         0
        .size:           8
        .value_kind:     global_buffer
      - .actual_access:  read_only
        .address_space:  global
        .offset:         8
        .size:           8
        .value_kind:     global_buffer
      - .actual_access:  write_only
        .address_space:  global
        .offset:         16
        .size:           8
        .value_kind:     global_buffer
      - .address_space:  global
        .offset:         24
        .size:           8
        .value_kind:     global_buffer
      - .address_space:  global
        .offset:         32
        .size:           8
        .value_kind:     global_buffer
      - .address_space:  global
        .offset:         40
        .size:           8
        .value_kind:     global_buffer
      - .offset:         48
        .size:           4
        .value_kind:     by_value
      - .offset:         52
        .size:           4
        .value_kind:     by_value
      - .offset:         56
        .size:           4
        .value_kind:     by_value
      - .offset:         60
        .size:           4
        .value_kind:     by_value
      - .offset:         64
        .size:           4
        .value_kind:     by_value
      - .offset:         68
        .size:           4
        .value_kind:     by_value
      - .offset:         72
        .size:           4
        .value_kind:     by_value
    .group_segment_fixed_size: 31776
    .kernarg_segment_align: 8
    .kernarg_segment_size: 76
    .language:       OpenCL C
    .language_version:
      - 2
      - 0
    .max_flat_workgroup_size: 256
    .name:           _ZL8moe_q3_KIN3c108BFloat16ELb1EEvPKvS3_PT_PKiS7_S7_iiiiiii
    .private_segment_fixed_size: 24
    .sgpr_count:     44
    .sgpr_spill_count: 0
    .symbol:         _ZL8moe_q3_KIN3c108BFloat16ELb1EEvPKvS3_PT_PKiS7_S7_iiiiiii.kd
    .uniform_work_group_size: 1
    .uses_dynamic_stack: false
    .vgpr_count:     128
    .vgpr_spill_count: 5
    .wavefront_size: 64
  - .args:
      - .actual_access:  read_only
        .address_space:  global
        .offset:         0
        .size:           8
        .value_kind:     global_buffer
      - .actual_access:  read_only
        .address_space:  global
        .offset:         8
        .size:           8
        .value_kind:     global_buffer
      - .actual_access:  write_only
        .address_space:  global
        .offset:         16
        .size:           8
        .value_kind:     global_buffer
      - .address_space:  global
        .offset:         24
        .size:           8
        .value_kind:     global_buffer
      - .address_space:  global
        .offset:         32
        .size:           8
        .value_kind:     global_buffer
      - .address_space:  global
        .offset:         40
        .size:           8
        .value_kind:     global_buffer
      - .offset:         48
        .size:           4
        .value_kind:     by_value
      - .offset:         52
        .size:           4
        .value_kind:     by_value
      - .offset:         56
        .size:           4
        .value_kind:     by_value
      - .offset:         60
        .size:           4
        .value_kind:     by_value
      - .offset:         64
        .size:           4
        .value_kind:     by_value
      - .offset:         68
        .size:           4
        .value_kind:     by_value
      - .offset:         72
        .size:           4
        .value_kind:     by_value
    .group_segment_fixed_size: 20688
    .kernarg_segment_align: 8
    .kernarg_segment_size: 76
    .language:       OpenCL C
    .language_version:
      - 2
      - 0
    .max_flat_workgroup_size: 256
    .name:           _ZL8moe_q4_KIN3c108BFloat16ELb0EEvPKvS3_PT_PKiS7_S7_iiiiiii
    .private_segment_fixed_size: 0
    .sgpr_count:     30
    .sgpr_spill_count: 0
    .symbol:         _ZL8moe_q4_KIN3c108BFloat16ELb0EEvPKvS3_PT_PKiS7_S7_iiiiiii.kd
    .uniform_work_group_size: 1
    .uses_dynamic_stack: false
    .vgpr_count:     128
    .vgpr_spill_count: 0
    .wavefront_size: 64
  - .args:
      - .actual_access:  read_only
        .address_space:  global
        .offset:         0
        .size:           8
        .value_kind:     global_buffer
      - .actual_access:  read_only
        .address_space:  global
        .offset:         8
        .size:           8
        .value_kind:     global_buffer
      - .actual_access:  write_only
        .address_space:  global
        .offset:         16
        .size:           8
        .value_kind:     global_buffer
      - .address_space:  global
        .offset:         24
        .size:           8
        .value_kind:     global_buffer
      - .address_space:  global
        .offset:         32
        .size:           8
        .value_kind:     global_buffer
      - .address_space:  global
        .offset:         40
        .size:           8
        .value_kind:     global_buffer
      - .offset:         48
        .size:           4
        .value_kind:     by_value
      - .offset:         52
        .size:           4
        .value_kind:     by_value
      - .offset:         56
        .size:           4
        .value_kind:     by_value
      - .offset:         60
        .size:           4
        .value_kind:     by_value
      - .offset:         64
        .size:           4
        .value_kind:     by_value
      - .offset:         68
        .size:           4
        .value_kind:     by_value
      - .offset:         72
        .size:           4
        .value_kind:     by_value
    .group_segment_fixed_size: 20688
    .kernarg_segment_align: 8
    .kernarg_segment_size: 76
    .language:       OpenCL C
    .language_version:
      - 2
      - 0
    .max_flat_workgroup_size: 256
    .name:           _ZL8moe_q4_KIN3c108BFloat16ELb1EEvPKvS3_PT_PKiS7_S7_iiiiiii
    .private_segment_fixed_size: 76
    .sgpr_count:     36
    .sgpr_spill_count: 0
    .symbol:         _ZL8moe_q4_KIN3c108BFloat16ELb1EEvPKvS3_PT_PKiS7_S7_iiiiiii.kd
    .uniform_work_group_size: 1
    .uses_dynamic_stack: false
    .vgpr_count:     128
    .vgpr_spill_count: 18
    .wavefront_size: 64
  - .args:
      - .actual_access:  read_only
        .address_space:  global
        .offset:         0
        .size:           8
        .value_kind:     global_buffer
      - .actual_access:  read_only
        .address_space:  global
        .offset:         8
        .size:           8
        .value_kind:     global_buffer
      - .actual_access:  write_only
        .address_space:  global
        .offset:         16
        .size:           8
        .value_kind:     global_buffer
      - .address_space:  global
        .offset:         24
        .size:           8
        .value_kind:     global_buffer
      - .address_space:  global
        .offset:         32
        .size:           8
        .value_kind:     global_buffer
      - .address_space:  global
        .offset:         40
        .size:           8
        .value_kind:     global_buffer
      - .offset:         48
        .size:           4
        .value_kind:     by_value
      - .offset:         52
        .size:           4
        .value_kind:     by_value
      - .offset:         56
        .size:           4
        .value_kind:     by_value
      - .offset:         60
        .size:           4
        .value_kind:     by_value
      - .offset:         64
        .size:           4
        .value_kind:     by_value
      - .offset:         68
        .size:           4
        .value_kind:     by_value
      - .offset:         72
        .size:           4
        .value_kind:     by_value
    .group_segment_fixed_size: 37072
    .kernarg_segment_align: 8
    .kernarg_segment_size: 76
    .language:       OpenCL C
    .language_version:
      - 2
      - 0
    .max_flat_workgroup_size: 256
    .name:           _ZL8moe_q5_KIN3c108BFloat16ELb0EEvPKvS3_PT_PKiS7_S7_iiiiiii
    .private_segment_fixed_size: 0
    .sgpr_count:     30
    .sgpr_spill_count: 0
    .symbol:         _ZL8moe_q5_KIN3c108BFloat16ELb0EEvPKvS3_PT_PKiS7_S7_iiiiiii.kd
    .uniform_work_group_size: 1
    .uses_dynamic_stack: false
    .vgpr_count:     185
    .vgpr_spill_count: 0
    .wavefront_size: 64
  - .args:
      - .actual_access:  read_only
        .address_space:  global
        .offset:         0
        .size:           8
        .value_kind:     global_buffer
      - .actual_access:  read_only
        .address_space:  global
        .offset:         8
        .size:           8
        .value_kind:     global_buffer
      - .actual_access:  write_only
        .address_space:  global
        .offset:         16
        .size:           8
        .value_kind:     global_buffer
      - .address_space:  global
        .offset:         24
        .size:           8
        .value_kind:     global_buffer
      - .address_space:  global
        .offset:         32
        .size:           8
        .value_kind:     global_buffer
      - .address_space:  global
        .offset:         40
        .size:           8
        .value_kind:     global_buffer
      - .offset:         48
        .size:           4
        .value_kind:     by_value
      - .offset:         52
        .size:           4
        .value_kind:     by_value
      - .offset:         56
        .size:           4
        .value_kind:     by_value
      - .offset:         60
        .size:           4
        .value_kind:     by_value
      - .offset:         64
        .size:           4
        .value_kind:     by_value
      - .offset:         68
        .size:           4
        .value_kind:     by_value
      - .offset:         72
        .size:           4
        .value_kind:     by_value
    .group_segment_fixed_size: 37072
    .kernarg_segment_align: 8
    .kernarg_segment_size: 76
    .language:       OpenCL C
    .language_version:
      - 2
      - 0
    .max_flat_workgroup_size: 256
    .name:           _ZL8moe_q5_KIN3c108BFloat16ELb1EEvPKvS3_PT_PKiS7_S7_iiiiiii
    .private_segment_fixed_size: 0
    .sgpr_count:     30
    .sgpr_spill_count: 0
    .symbol:         _ZL8moe_q5_KIN3c108BFloat16ELb1EEvPKvS3_PT_PKiS7_S7_iiiiiii.kd
    .uniform_work_group_size: 1
    .uses_dynamic_stack: false
    .vgpr_count:     184
    .vgpr_spill_count: 0
    .wavefront_size: 64
  - .args:
      - .actual_access:  read_only
        .address_space:  global
        .offset:         0
        .size:           8
        .value_kind:     global_buffer
      - .actual_access:  read_only
        .address_space:  global
        .offset:         8
        .size:           8
        .value_kind:     global_buffer
      - .actual_access:  write_only
        .address_space:  global
        .offset:         16
        .size:           8
        .value_kind:     global_buffer
      - .address_space:  global
        .offset:         24
        .size:           8
        .value_kind:     global_buffer
      - .address_space:  global
        .offset:         32
        .size:           8
        .value_kind:     global_buffer
      - .address_space:  global
        .offset:         40
        .size:           8
        .value_kind:     global_buffer
      - .offset:         48
        .size:           4
        .value_kind:     by_value
      - .offset:         52
        .size:           4
        .value_kind:     by_value
      - .offset:         56
        .size:           4
        .value_kind:     by_value
      - .offset:         60
        .size:           4
        .value_kind:     by_value
      - .offset:         64
        .size:           4
        .value_kind:     by_value
      - .offset:         68
        .size:           4
        .value_kind:     by_value
      - .offset:         72
        .size:           4
        .value_kind:     by_value
    .group_segment_fixed_size: 37072
    .kernarg_segment_align: 8
    .kernarg_segment_size: 76
    .language:       OpenCL C
    .language_version:
      - 2
      - 0
    .max_flat_workgroup_size: 256
    .name:           _ZL8moe_q6_KIN3c108BFloat16ELb0EEvPKvS3_PT_PKiS7_S7_iiiiiii
    .private_segment_fixed_size: 0
    .sgpr_count:     32
    .sgpr_spill_count: 0
    .symbol:         _ZL8moe_q6_KIN3c108BFloat16ELb0EEvPKvS3_PT_PKiS7_S7_iiiiiii.kd
    .uniform_work_group_size: 1
    .uses_dynamic_stack: false
    .vgpr_count:     180
    .vgpr_spill_count: 0
    .wavefront_size: 64
  - .args:
      - .actual_access:  read_only
        .address_space:  global
        .offset:         0
        .size:           8
        .value_kind:     global_buffer
      - .actual_access:  read_only
        .address_space:  global
        .offset:         8
        .size:           8
        .value_kind:     global_buffer
      - .actual_access:  write_only
        .address_space:  global
        .offset:         16
        .size:           8
        .value_kind:     global_buffer
      - .address_space:  global
        .offset:         24
        .size:           8
        .value_kind:     global_buffer
      - .address_space:  global
        .offset:         32
        .size:           8
        .value_kind:     global_buffer
      - .address_space:  global
        .offset:         40
        .size:           8
        .value_kind:     global_buffer
      - .offset:         48
        .size:           4
        .value_kind:     by_value
      - .offset:         52
        .size:           4
        .value_kind:     by_value
      - .offset:         56
        .size:           4
        .value_kind:     by_value
      - .offset:         60
        .size:           4
        .value_kind:     by_value
      - .offset:         64
        .size:           4
        .value_kind:     by_value
      - .offset:         68
        .size:           4
        .value_kind:     by_value
      - .offset:         72
        .size:           4
        .value_kind:     by_value
    .group_segment_fixed_size: 37072
    .kernarg_segment_align: 8
    .kernarg_segment_size: 76
    .language:       OpenCL C
    .language_version:
      - 2
      - 0
    .max_flat_workgroup_size: 256
    .name:           _ZL8moe_q6_KIN3c108BFloat16ELb1EEvPKvS3_PT_PKiS7_S7_iiiiiii
    .private_segment_fixed_size: 0
    .sgpr_count:     32
    .sgpr_spill_count: 0
    .symbol:         _ZL8moe_q6_KIN3c108BFloat16ELb1EEvPKvS3_PT_PKiS7_S7_iiiiiii.kd
    .uniform_work_group_size: 1
    .uses_dynamic_stack: false
    .vgpr_count:     180
    .vgpr_spill_count: 0
    .wavefront_size: 64
  - .args:
      - .actual_access:  read_only
        .address_space:  global
        .offset:         0
        .size:           8
        .value_kind:     global_buffer
      - .actual_access:  read_only
        .address_space:  global
        .offset:         8
        .size:           8
        .value_kind:     global_buffer
      - .actual_access:  write_only
        .address_space:  global
        .offset:         16
        .size:           8
        .value_kind:     global_buffer
      - .address_space:  global
        .offset:         24
        .size:           8
        .value_kind:     global_buffer
      - .offset:         32
        .size:           4
        .value_kind:     by_value
      - .offset:         36
        .size:           4
        .value_kind:     by_value
      - .offset:         40
        .size:           4
        .value_kind:     by_value
      - .offset:         44
        .size:           4
        .value_kind:     by_value
      - .offset:         48
        .size:           4
        .value_kind:     hidden_block_count_x
      - .offset:         52
        .size:           4
        .value_kind:     hidden_block_count_y
      - .offset:         56
        .size:           4
        .value_kind:     hidden_block_count_z
      - .offset:         60
        .size:           2
        .value_kind:     hidden_group_size_x
      - .offset:         62
        .size:           2
        .value_kind:     hidden_group_size_y
      - .offset:         64
        .size:           2
        .value_kind:     hidden_group_size_z
      - .offset:         66
        .size:           2
        .value_kind:     hidden_remainder_x
      - .offset:         68
        .size:           2
        .value_kind:     hidden_remainder_y
      - .offset:         70
        .size:           2
        .value_kind:     hidden_remainder_z
      - .offset:         88
        .size:           8
        .value_kind:     hidden_global_offset_x
      - .offset:         96
        .size:           8
        .value_kind:     hidden_global_offset_y
      - .offset:         104
        .size:           8
        .value_kind:     hidden_global_offset_z
      - .offset:         112
        .size:           2
        .value_kind:     hidden_grid_dims
    .group_segment_fixed_size: 0
    .kernarg_segment_align: 8
    .kernarg_segment_size: 304
    .language:       OpenCL C
    .language_version:
      - 2
      - 0
    .max_flat_workgroup_size: 1024
    .name:           _ZL9moe_vec_qIfLi32ELi4E10block_q4_0Li2EXadL_ZL17vec_dot_q4_0_q8_1PKvPK10block_q8_1RKiEEEvS2_S2_PT_PS6_iiii
    .private_segment_fixed_size: 0
    .sgpr_count:     24
    .sgpr_spill_count: 0
    .symbol:         _ZL9moe_vec_qIfLi32ELi4E10block_q4_0Li2EXadL_ZL17vec_dot_q4_0_q8_1PKvPK10block_q8_1RKiEEEvS2_S2_PT_PS6_iiii.kd
    .uniform_work_group_size: 1
    .uses_dynamic_stack: false
    .vgpr_count:     22
    .vgpr_spill_count: 0
    .wavefront_size: 64
  - .args:
      - .actual_access:  read_only
        .address_space:  global
        .offset:         0
        .size:           8
        .value_kind:     global_buffer
      - .actual_access:  read_only
        .address_space:  global
        .offset:         8
        .size:           8
        .value_kind:     global_buffer
      - .actual_access:  write_only
        .address_space:  global
        .offset:         16
        .size:           8
        .value_kind:     global_buffer
      - .address_space:  global
        .offset:         24
        .size:           8
        .value_kind:     global_buffer
      - .offset:         32
        .size:           4
        .value_kind:     by_value
      - .offset:         36
        .size:           4
        .value_kind:     by_value
      - .offset:         40
        .size:           4
        .value_kind:     by_value
      - .offset:         44
        .size:           4
        .value_kind:     by_value
      - .offset:         48
        .size:           4
        .value_kind:     hidden_block_count_x
      - .offset:         52
        .size:           4
        .value_kind:     hidden_block_count_y
      - .offset:         56
        .size:           4
        .value_kind:     hidden_block_count_z
      - .offset:         60
        .size:           2
        .value_kind:     hidden_group_size_x
      - .offset:         62
        .size:           2
        .value_kind:     hidden_group_size_y
      - .offset:         64
        .size:           2
        .value_kind:     hidden_group_size_z
      - .offset:         66
        .size:           2
        .value_kind:     hidden_remainder_x
      - .offset:         68
        .size:           2
        .value_kind:     hidden_remainder_y
      - .offset:         70
        .size:           2
        .value_kind:     hidden_remainder_z
      - .offset:         88
        .size:           8
        .value_kind:     hidden_global_offset_x
      - .offset:         96
        .size:           8
        .value_kind:     hidden_global_offset_y
      - .offset:         104
        .size:           8
        .value_kind:     hidden_global_offset_z
      - .offset:         112
        .size:           2
        .value_kind:     hidden_grid_dims
    .group_segment_fixed_size: 0
    .kernarg_segment_align: 8
    .kernarg_segment_size: 304
    .language:       OpenCL C
    .language_version:
      - 2
      - 0
    .max_flat_workgroup_size: 1024
    .name:           _ZL9moe_vec_qIfLi32ELi4E10block_q4_1Li2EXadL_ZL17vec_dot_q4_1_q8_1PKvPK10block_q8_1RKiEEEvS2_S2_PT_PS6_iiii
    .private_segment_fixed_size: 0
    .sgpr_count:     24
    .sgpr_spill_count: 0
    .symbol:         _ZL9moe_vec_qIfLi32ELi4E10block_q4_1Li2EXadL_ZL17vec_dot_q4_1_q8_1PKvPK10block_q8_1RKiEEEvS2_S2_PT_PS6_iiii.kd
    .uniform_work_group_size: 1
    .uses_dynamic_stack: false
    .vgpr_count:     20
    .vgpr_spill_count: 0
    .wavefront_size: 64
  - .args:
      - .actual_access:  read_only
        .address_space:  global
        .offset:         0
        .size:           8
        .value_kind:     global_buffer
      - .actual_access:  read_only
        .address_space:  global
        .offset:         8
        .size:           8
        .value_kind:     global_buffer
      - .actual_access:  write_only
        .address_space:  global
        .offset:         16
        .size:           8
        .value_kind:     global_buffer
      - .address_space:  global
        .offset:         24
        .size:           8
        .value_kind:     global_buffer
      - .offset:         32
        .size:           4
        .value_kind:     by_value
      - .offset:         36
        .size:           4
        .value_kind:     by_value
      - .offset:         40
        .size:           4
        .value_kind:     by_value
      - .offset:         44
        .size:           4
        .value_kind:     by_value
      - .offset:         48
        .size:           4
        .value_kind:     hidden_block_count_x
      - .offset:         52
        .size:           4
        .value_kind:     hidden_block_count_y
      - .offset:         56
        .size:           4
        .value_kind:     hidden_block_count_z
      - .offset:         60
        .size:           2
        .value_kind:     hidden_group_size_x
      - .offset:         62
        .size:           2
        .value_kind:     hidden_group_size_y
      - .offset:         64
        .size:           2
        .value_kind:     hidden_group_size_z
      - .offset:         66
        .size:           2
        .value_kind:     hidden_remainder_x
      - .offset:         68
        .size:           2
        .value_kind:     hidden_remainder_y
      - .offset:         70
        .size:           2
        .value_kind:     hidden_remainder_z
      - .offset:         88
        .size:           8
        .value_kind:     hidden_global_offset_x
      - .offset:         96
        .size:           8
        .value_kind:     hidden_global_offset_y
      - .offset:         104
        .size:           8
        .value_kind:     hidden_global_offset_z
      - .offset:         112
        .size:           2
        .value_kind:     hidden_grid_dims
    .group_segment_fixed_size: 0
    .kernarg_segment_align: 8
    .kernarg_segment_size: 304
    .language:       OpenCL C
    .language_version:
      - 2
      - 0
    .max_flat_workgroup_size: 1024
    .name:           _ZL9moe_vec_qIfLi32ELi4E10block_q5_0Li2EXadL_ZL17vec_dot_q5_0_q8_1PKvPK10block_q8_1RKiEEEvS2_S2_PT_PS6_iiii
    .private_segment_fixed_size: 0
    .sgpr_count:     24
    .sgpr_spill_count: 0
    .symbol:         _ZL9moe_vec_qIfLi32ELi4E10block_q5_0Li2EXadL_ZL17vec_dot_q5_0_q8_1PKvPK10block_q8_1RKiEEEvS2_S2_PT_PS6_iiii.kd
    .uniform_work_group_size: 1
    .uses_dynamic_stack: false
    .vgpr_count:     25
    .vgpr_spill_count: 0
    .wavefront_size: 64
  - .args:
      - .actual_access:  read_only
        .address_space:  global
        .offset:         0
        .size:           8
        .value_kind:     global_buffer
      - .actual_access:  read_only
        .address_space:  global
        .offset:         8
        .size:           8
        .value_kind:     global_buffer
      - .actual_access:  write_only
        .address_space:  global
        .offset:         16
        .size:           8
        .value_kind:     global_buffer
      - .address_space:  global
        .offset:         24
        .size:           8
        .value_kind:     global_buffer
      - .offset:         32
        .size:           4
        .value_kind:     by_value
      - .offset:         36
        .size:           4
        .value_kind:     by_value
      - .offset:         40
        .size:           4
        .value_kind:     by_value
      - .offset:         44
        .size:           4
        .value_kind:     by_value
      - .offset:         48
        .size:           4
        .value_kind:     hidden_block_count_x
      - .offset:         52
        .size:           4
        .value_kind:     hidden_block_count_y
      - .offset:         56
        .size:           4
        .value_kind:     hidden_block_count_z
      - .offset:         60
        .size:           2
        .value_kind:     hidden_group_size_x
      - .offset:         62
        .size:           2
        .value_kind:     hidden_group_size_y
      - .offset:         64
        .size:           2
        .value_kind:     hidden_group_size_z
      - .offset:         66
        .size:           2
        .value_kind:     hidden_remainder_x
      - .offset:         68
        .size:           2
        .value_kind:     hidden_remainder_y
      - .offset:         70
        .size:           2
        .value_kind:     hidden_remainder_z
      - .offset:         88
        .size:           8
        .value_kind:     hidden_global_offset_x
      - .offset:         96
        .size:           8
        .value_kind:     hidden_global_offset_y
      - .offset:         104
        .size:           8
        .value_kind:     hidden_global_offset_z
      - .offset:         112
        .size:           2
        .value_kind:     hidden_grid_dims
    .group_segment_fixed_size: 0
    .kernarg_segment_align: 8
    .kernarg_segment_size: 304
    .language:       OpenCL C
    .language_version:
      - 2
      - 0
    .max_flat_workgroup_size: 1024
    .name:           _ZL9moe_vec_qIfLi32ELi4E10block_q5_1Li2EXadL_ZL17vec_dot_q5_1_q8_1PKvPK10block_q8_1RKiEEEvS2_S2_PT_PS6_iiii
    .private_segment_fixed_size: 0
    .sgpr_count:     24
    .sgpr_spill_count: 0
    .symbol:         _ZL9moe_vec_qIfLi32ELi4E10block_q5_1Li2EXadL_ZL17vec_dot_q5_1_q8_1PKvPK10block_q8_1RKiEEEvS2_S2_PT_PS6_iiii.kd
    .uniform_work_group_size: 1
    .uses_dynamic_stack: false
    .vgpr_count:     22
    .vgpr_spill_count: 0
    .wavefront_size: 64
  - .args:
      - .actual_access:  read_only
        .address_space:  global
        .offset:         0
        .size:           8
        .value_kind:     global_buffer
      - .actual_access:  read_only
        .address_space:  global
        .offset:         8
        .size:           8
        .value_kind:     global_buffer
      - .actual_access:  write_only
        .address_space:  global
        .offset:         16
        .size:           8
        .value_kind:     global_buffer
      - .address_space:  global
        .offset:         24
        .size:           8
        .value_kind:     global_buffer
      - .offset:         32
        .size:           4
        .value_kind:     by_value
      - .offset:         36
        .size:           4
        .value_kind:     by_value
      - .offset:         40
        .size:           4
        .value_kind:     by_value
      - .offset:         44
        .size:           4
        .value_kind:     by_value
      - .offset:         48
        .size:           4
        .value_kind:     hidden_block_count_x
      - .offset:         52
        .size:           4
        .value_kind:     hidden_block_count_y
      - .offset:         56
        .size:           4
        .value_kind:     hidden_block_count_z
      - .offset:         60
        .size:           2
        .value_kind:     hidden_group_size_x
      - .offset:         62
        .size:           2
        .value_kind:     hidden_group_size_y
      - .offset:         64
        .size:           2
        .value_kind:     hidden_group_size_z
      - .offset:         66
        .size:           2
        .value_kind:     hidden_remainder_x
      - .offset:         68
        .size:           2
        .value_kind:     hidden_remainder_y
      - .offset:         70
        .size:           2
        .value_kind:     hidden_remainder_z
      - .offset:         88
        .size:           8
        .value_kind:     hidden_global_offset_x
      - .offset:         96
        .size:           8
        .value_kind:     hidden_global_offset_y
      - .offset:         104
        .size:           8
        .value_kind:     hidden_global_offset_z
      - .offset:         112
        .size:           2
        .value_kind:     hidden_grid_dims
    .group_segment_fixed_size: 0
    .kernarg_segment_align: 8
    .kernarg_segment_size: 304
    .language:       OpenCL C
    .language_version:
      - 2
      - 0
    .max_flat_workgroup_size: 1024
    .name:           _ZL9moe_vec_qIfLi32ELi8E10block_q8_0Li2EXadL_ZL17vec_dot_q8_0_q8_1PKvPK10block_q8_1RKiEEEvS2_S2_PT_PS6_iiii
    .private_segment_fixed_size: 0
    .sgpr_count:     24
    .sgpr_spill_count: 0
    .symbol:         _ZL9moe_vec_qIfLi32ELi8E10block_q8_0Li2EXadL_ZL17vec_dot_q8_0_q8_1PKvPK10block_q8_1RKiEEEvS2_S2_PT_PS6_iiii.kd
    .uniform_work_group_size: 1
    .uses_dynamic_stack: false
    .vgpr_count:     18
    .vgpr_spill_count: 0
    .wavefront_size: 64
  - .args:
      - .actual_access:  read_only
        .address_space:  global
        .offset:         0
        .size:           8
        .value_kind:     global_buffer
      - .actual_access:  read_only
        .address_space:  global
        .offset:         8
        .size:           8
        .value_kind:     global_buffer
      - .actual_access:  write_only
        .address_space:  global
        .offset:         16
        .size:           8
        .value_kind:     global_buffer
      - .address_space:  global
        .offset:         24
        .size:           8
        .value_kind:     global_buffer
      - .offset:         32
        .size:           4
        .value_kind:     by_value
      - .offset:         36
        .size:           4
        .value_kind:     by_value
      - .offset:         40
        .size:           4
        .value_kind:     by_value
      - .offset:         44
        .size:           4
        .value_kind:     by_value
      - .offset:         48
        .size:           4
        .value_kind:     hidden_block_count_x
      - .offset:         52
        .size:           4
        .value_kind:     hidden_block_count_y
      - .offset:         56
        .size:           4
        .value_kind:     hidden_block_count_z
      - .offset:         60
        .size:           2
        .value_kind:     hidden_group_size_x
      - .offset:         62
        .size:           2
        .value_kind:     hidden_group_size_y
      - .offset:         64
        .size:           2
        .value_kind:     hidden_group_size_z
      - .offset:         66
        .size:           2
        .value_kind:     hidden_remainder_x
      - .offset:         68
        .size:           2
        .value_kind:     hidden_remainder_y
      - .offset:         70
        .size:           2
        .value_kind:     hidden_remainder_z
      - .offset:         88
        .size:           8
        .value_kind:     hidden_global_offset_x
      - .offset:         96
        .size:           8
        .value_kind:     hidden_global_offset_y
      - .offset:         104
        .size:           8
        .value_kind:     hidden_global_offset_z
      - .offset:         112
        .size:           2
        .value_kind:     hidden_grid_dims
    .group_segment_fixed_size: 0
    .kernarg_segment_align: 8
    .kernarg_segment_size: 304
    .language:       OpenCL C
    .language_version:
      - 2
      - 0
    .max_flat_workgroup_size: 1024
    .name:           _ZL9moe_vec_qIfLi256ELi16E10block_q2_KLi1EXadL_ZL17vec_dot_q2_K_q8_1PKvPK10block_q8_1RKiEEEvS2_S2_PT_PS6_iiii
    .private_segment_fixed_size: 0
    .sgpr_count:     24
    .sgpr_spill_count: 0
    .symbol:         _ZL9moe_vec_qIfLi256ELi16E10block_q2_KLi1EXadL_ZL17vec_dot_q2_K_q8_1PKvPK10block_q8_1RKiEEEvS2_S2_PT_PS6_iiii.kd
    .uniform_work_group_size: 1
    .uses_dynamic_stack: false
    .vgpr_count:     33
    .vgpr_spill_count: 0
    .wavefront_size: 64
  - .args:
      - .actual_access:  read_only
        .address_space:  global
        .offset:         0
        .size:           8
        .value_kind:     global_buffer
      - .actual_access:  read_only
        .address_space:  global
        .offset:         8
        .size:           8
        .value_kind:     global_buffer
      - .actual_access:  write_only
        .address_space:  global
        .offset:         16
        .size:           8
        .value_kind:     global_buffer
      - .address_space:  global
        .offset:         24
        .size:           8
        .value_kind:     global_buffer
      - .offset:         32
        .size:           4
        .value_kind:     by_value
      - .offset:         36
        .size:           4
        .value_kind:     by_value
      - .offset:         40
        .size:           4
        .value_kind:     by_value
      - .offset:         44
        .size:           4
        .value_kind:     by_value
      - .offset:         48
        .size:           4
        .value_kind:     hidden_block_count_x
      - .offset:         52
        .size:           4
        .value_kind:     hidden_block_count_y
      - .offset:         56
        .size:           4
        .value_kind:     hidden_block_count_z
      - .offset:         60
        .size:           2
        .value_kind:     hidden_group_size_x
      - .offset:         62
        .size:           2
        .value_kind:     hidden_group_size_y
      - .offset:         64
        .size:           2
        .value_kind:     hidden_group_size_z
      - .offset:         66
        .size:           2
        .value_kind:     hidden_remainder_x
      - .offset:         68
        .size:           2
        .value_kind:     hidden_remainder_y
      - .offset:         70
        .size:           2
        .value_kind:     hidden_remainder_z
      - .offset:         88
        .size:           8
        .value_kind:     hidden_global_offset_x
      - .offset:         96
        .size:           8
        .value_kind:     hidden_global_offset_y
      - .offset:         104
        .size:           8
        .value_kind:     hidden_global_offset_z
      - .offset:         112
        .size:           2
        .value_kind:     hidden_grid_dims
    .group_segment_fixed_size: 0
    .kernarg_segment_align: 8
    .kernarg_segment_size: 304
    .language:       OpenCL C
    .language_version:
      - 2
      - 0
    .max_flat_workgroup_size: 1024
    .name:           _ZL9moe_vec_qIfLi256ELi16E10block_q3_KLi1EXadL_ZL17vec_dot_q3_K_q8_1PKvPK10block_q8_1RKiEEEvS2_S2_PT_PS6_iiii
    .private_segment_fixed_size: 0
    .sgpr_count:     26
    .sgpr_spill_count: 0
    .symbol:         _ZL9moe_vec_qIfLi256ELi16E10block_q3_KLi1EXadL_ZL17vec_dot_q3_K_q8_1PKvPK10block_q8_1RKiEEEvS2_S2_PT_PS6_iiii.kd
    .uniform_work_group_size: 1
    .uses_dynamic_stack: false
    .vgpr_count:     63
    .vgpr_spill_count: 0
    .wavefront_size: 64
  - .args:
      - .actual_access:  read_only
        .address_space:  global
        .offset:         0
        .size:           8
        .value_kind:     global_buffer
      - .actual_access:  read_only
        .address_space:  global
        .offset:         8
        .size:           8
        .value_kind:     global_buffer
      - .actual_access:  write_only
        .address_space:  global
        .offset:         16
        .size:           8
        .value_kind:     global_buffer
      - .address_space:  global
        .offset:         24
        .size:           8
        .value_kind:     global_buffer
      - .offset:         32
        .size:           4
        .value_kind:     by_value
      - .offset:         36
        .size:           4
        .value_kind:     by_value
      - .offset:         40
        .size:           4
        .value_kind:     by_value
      - .offset:         44
        .size:           4
        .value_kind:     by_value
      - .offset:         48
        .size:           4
        .value_kind:     hidden_block_count_x
      - .offset:         52
        .size:           4
        .value_kind:     hidden_block_count_y
      - .offset:         56
        .size:           4
        .value_kind:     hidden_block_count_z
      - .offset:         60
        .size:           2
        .value_kind:     hidden_group_size_x
      - .offset:         62
        .size:           2
        .value_kind:     hidden_group_size_y
      - .offset:         64
        .size:           2
        .value_kind:     hidden_group_size_z
      - .offset:         66
        .size:           2
        .value_kind:     hidden_remainder_x
      - .offset:         68
        .size:           2
        .value_kind:     hidden_remainder_y
      - .offset:         70
        .size:           2
        .value_kind:     hidden_remainder_z
      - .offset:         88
        .size:           8
        .value_kind:     hidden_global_offset_x
      - .offset:         96
        .size:           8
        .value_kind:     hidden_global_offset_y
      - .offset:         104
        .size:           8
        .value_kind:     hidden_global_offset_z
      - .offset:         112
        .size:           2
        .value_kind:     hidden_grid_dims
    .group_segment_fixed_size: 0
    .kernarg_segment_align: 8
    .kernarg_segment_size: 304
    .language:       OpenCL C
    .language_version:
      - 2
      - 0
    .max_flat_workgroup_size: 1024
    .name:           _ZL9moe_vec_qIfLi256ELi32E10block_q4_KLi2EXadL_ZL17vec_dot_q4_K_q8_1PKvPK10block_q8_1RKiEEEvS2_S2_PT_PS6_iiii
    .private_segment_fixed_size: 0
    .sgpr_count:     24
    .sgpr_spill_count: 0
    .symbol:         _ZL9moe_vec_qIfLi256ELi32E10block_q4_KLi2EXadL_ZL17vec_dot_q4_K_q8_1PKvPK10block_q8_1RKiEEEvS2_S2_PT_PS6_iiii.kd
    .uniform_work_group_size: 1
    .uses_dynamic_stack: false
    .vgpr_count:     30
    .vgpr_spill_count: 0
    .wavefront_size: 64
  - .args:
      - .actual_access:  read_only
        .address_space:  global
        .offset:         0
        .size:           8
        .value_kind:     global_buffer
      - .actual_access:  read_only
        .address_space:  global
        .offset:         8
        .size:           8
        .value_kind:     global_buffer
      - .actual_access:  write_only
        .address_space:  global
        .offset:         16
        .size:           8
        .value_kind:     global_buffer
      - .address_space:  global
        .offset:         24
        .size:           8
        .value_kind:     global_buffer
      - .offset:         32
        .size:           4
        .value_kind:     by_value
      - .offset:         36
        .size:           4
        .value_kind:     by_value
      - .offset:         40
        .size:           4
        .value_kind:     by_value
      - .offset:         44
        .size:           4
        .value_kind:     by_value
      - .offset:         48
        .size:           4
        .value_kind:     hidden_block_count_x
      - .offset:         52
        .size:           4
        .value_kind:     hidden_block_count_y
      - .offset:         56
        .size:           4
        .value_kind:     hidden_block_count_z
      - .offset:         60
        .size:           2
        .value_kind:     hidden_group_size_x
      - .offset:         62
        .size:           2
        .value_kind:     hidden_group_size_y
      - .offset:         64
        .size:           2
        .value_kind:     hidden_group_size_z
      - .offset:         66
        .size:           2
        .value_kind:     hidden_remainder_x
      - .offset:         68
        .size:           2
        .value_kind:     hidden_remainder_y
      - .offset:         70
        .size:           2
        .value_kind:     hidden_remainder_z
      - .offset:         88
        .size:           8
        .value_kind:     hidden_global_offset_x
      - .offset:         96
        .size:           8
        .value_kind:     hidden_global_offset_y
      - .offset:         104
        .size:           8
        .value_kind:     hidden_global_offset_z
      - .offset:         112
        .size:           2
        .value_kind:     hidden_grid_dims
    .group_segment_fixed_size: 0
    .kernarg_segment_align: 8
    .kernarg_segment_size: 304
    .language:       OpenCL C
    .language_version:
      - 2
      - 0
    .max_flat_workgroup_size: 1024
    .name:           _ZL9moe_vec_qIfLi256ELi32E10block_q5_KLi2EXadL_ZL17vec_dot_q5_K_q8_1PKvPK10block_q8_1RKiEEEvS2_S2_PT_PS6_iiii
    .private_segment_fixed_size: 0
    .sgpr_count:     24
    .sgpr_spill_count: 0
    .symbol:         _ZL9moe_vec_qIfLi256ELi32E10block_q5_KLi2EXadL_ZL17vec_dot_q5_K_q8_1PKvPK10block_q8_1RKiEEEvS2_S2_PT_PS6_iiii.kd
    .uniform_work_group_size: 1
    .uses_dynamic_stack: false
    .vgpr_count:     34
    .vgpr_spill_count: 0
    .wavefront_size: 64
  - .args:
      - .actual_access:  read_only
        .address_space:  global
        .offset:         0
        .size:           8
        .value_kind:     global_buffer
      - .actual_access:  read_only
        .address_space:  global
        .offset:         8
        .size:           8
        .value_kind:     global_buffer
      - .actual_access:  write_only
        .address_space:  global
        .offset:         16
        .size:           8
        .value_kind:     global_buffer
      - .address_space:  global
        .offset:         24
        .size:           8
        .value_kind:     global_buffer
      - .offset:         32
        .size:           4
        .value_kind:     by_value
      - .offset:         36
        .size:           4
        .value_kind:     by_value
      - .offset:         40
        .size:           4
        .value_kind:     by_value
      - .offset:         44
        .size:           4
        .value_kind:     by_value
      - .offset:         48
        .size:           4
        .value_kind:     hidden_block_count_x
      - .offset:         52
        .size:           4
        .value_kind:     hidden_block_count_y
      - .offset:         56
        .size:           4
        .value_kind:     hidden_block_count_z
      - .offset:         60
        .size:           2
        .value_kind:     hidden_group_size_x
      - .offset:         62
        .size:           2
        .value_kind:     hidden_group_size_y
      - .offset:         64
        .size:           2
        .value_kind:     hidden_group_size_z
      - .offset:         66
        .size:           2
        .value_kind:     hidden_remainder_x
      - .offset:         68
        .size:           2
        .value_kind:     hidden_remainder_y
      - .offset:         70
        .size:           2
        .value_kind:     hidden_remainder_z
      - .offset:         88
        .size:           8
        .value_kind:     hidden_global_offset_x
      - .offset:         96
        .size:           8
        .value_kind:     hidden_global_offset_y
      - .offset:         104
        .size:           8
        .value_kind:     hidden_global_offset_z
      - .offset:         112
        .size:           2
        .value_kind:     hidden_grid_dims
    .group_segment_fixed_size: 0
    .kernarg_segment_align: 8
    .kernarg_segment_size: 304
    .language:       OpenCL C
    .language_version:
      - 2
      - 0
    .max_flat_workgroup_size: 1024
    .name:           _ZL9moe_vec_qIfLi256ELi32E10block_q6_KLi1EXadL_ZL17vec_dot_q6_K_q8_1PKvPK10block_q8_1RKiEEEvS2_S2_PT_PS6_iiii
    .private_segment_fixed_size: 0
    .sgpr_count:     24
    .sgpr_spill_count: 0
    .symbol:         _ZL9moe_vec_qIfLi256ELi32E10block_q6_KLi1EXadL_ZL17vec_dot_q6_K_q8_1PKvPK10block_q8_1RKiEEEvS2_S2_PT_PS6_iiii.kd
    .uniform_work_group_size: 1
    .uses_dynamic_stack: false
    .vgpr_count:     31
    .vgpr_spill_count: 0
    .wavefront_size: 64
  - .args:
      - .actual_access:  read_only
        .address_space:  global
        .offset:         0
        .size:           8
        .value_kind:     global_buffer
      - .actual_access:  read_only
        .address_space:  global
        .offset:         8
        .size:           8
        .value_kind:     global_buffer
      - .actual_access:  write_only
        .address_space:  global
        .offset:         16
        .size:           8
        .value_kind:     global_buffer
      - .address_space:  global
        .offset:         24
        .size:           8
        .value_kind:     global_buffer
      - .offset:         32
        .size:           4
        .value_kind:     by_value
      - .offset:         36
        .size:           4
        .value_kind:     by_value
      - .offset:         40
        .size:           4
        .value_kind:     by_value
      - .offset:         44
        .size:           4
        .value_kind:     by_value
      - .offset:         48
        .size:           4
        .value_kind:     hidden_block_count_x
      - .offset:         52
        .size:           4
        .value_kind:     hidden_block_count_y
      - .offset:         56
        .size:           4
        .value_kind:     hidden_block_count_z
      - .offset:         60
        .size:           2
        .value_kind:     hidden_group_size_x
      - .offset:         62
        .size:           2
        .value_kind:     hidden_group_size_y
      - .offset:         64
        .size:           2
        .value_kind:     hidden_group_size_z
      - .offset:         66
        .size:           2
        .value_kind:     hidden_remainder_x
      - .offset:         68
        .size:           2
        .value_kind:     hidden_remainder_y
      - .offset:         70
        .size:           2
        .value_kind:     hidden_remainder_z
      - .offset:         88
        .size:           8
        .value_kind:     hidden_global_offset_x
      - .offset:         96
        .size:           8
        .value_kind:     hidden_global_offset_y
      - .offset:         104
        .size:           8
        .value_kind:     hidden_global_offset_z
      - .offset:         112
        .size:           2
        .value_kind:     hidden_grid_dims
    .group_segment_fixed_size: 0
    .kernarg_segment_align: 8
    .kernarg_segment_size: 304
    .language:       OpenCL C
    .language_version:
      - 2
      - 0
    .max_flat_workgroup_size: 1024
    .name:           _ZL9moe_vec_qIfLi256ELi8E13block_iq2_xxsLi1EXadL_ZL20vec_dot_iq2_xxs_q8_1PKvPK10block_q8_1RKiEEEvS2_S2_PT_PS6_iiii
    .private_segment_fixed_size: 0
    .sgpr_count:     59
    .sgpr_spill_count: 0
    .symbol:         _ZL9moe_vec_qIfLi256ELi8E13block_iq2_xxsLi1EXadL_ZL20vec_dot_iq2_xxs_q8_1PKvPK10block_q8_1RKiEEEvS2_S2_PT_PS6_iiii.kd
    .uniform_work_group_size: 1
    .uses_dynamic_stack: false
    .vgpr_count:     55
    .vgpr_spill_count: 0
    .wavefront_size: 64
  - .args:
      - .actual_access:  read_only
        .address_space:  global
        .offset:         0
        .size:           8
        .value_kind:     global_buffer
      - .actual_access:  read_only
        .address_space:  global
        .offset:         8
        .size:           8
        .value_kind:     global_buffer
      - .actual_access:  write_only
        .address_space:  global
        .offset:         16
        .size:           8
        .value_kind:     global_buffer
      - .address_space:  global
        .offset:         24
        .size:           8
        .value_kind:     global_buffer
      - .offset:         32
        .size:           4
        .value_kind:     by_value
      - .offset:         36
        .size:           4
        .value_kind:     by_value
      - .offset:         40
        .size:           4
        .value_kind:     by_value
      - .offset:         44
        .size:           4
        .value_kind:     by_value
      - .offset:         48
        .size:           4
        .value_kind:     hidden_block_count_x
      - .offset:         52
        .size:           4
        .value_kind:     hidden_block_count_y
      - .offset:         56
        .size:           4
        .value_kind:     hidden_block_count_z
      - .offset:         60
        .size:           2
        .value_kind:     hidden_group_size_x
      - .offset:         62
        .size:           2
        .value_kind:     hidden_group_size_y
      - .offset:         64
        .size:           2
        .value_kind:     hidden_group_size_z
      - .offset:         66
        .size:           2
        .value_kind:     hidden_remainder_x
      - .offset:         68
        .size:           2
        .value_kind:     hidden_remainder_y
      - .offset:         70
        .size:           2
        .value_kind:     hidden_remainder_z
      - .offset:         88
        .size:           8
        .value_kind:     hidden_global_offset_x
      - .offset:         96
        .size:           8
        .value_kind:     hidden_global_offset_y
      - .offset:         104
        .size:           8
        .value_kind:     hidden_global_offset_z
      - .offset:         112
        .size:           2
        .value_kind:     hidden_grid_dims
    .group_segment_fixed_size: 0
    .kernarg_segment_align: 8
    .kernarg_segment_size: 304
    .language:       OpenCL C
    .language_version:
      - 2
      - 0
    .max_flat_workgroup_size: 1024
    .name:           _ZL9moe_vec_qIfLi256ELi8E12block_iq2_xsLi1EXadL_ZL19vec_dot_iq2_xs_q8_1PKvPK10block_q8_1RKiEEEvS2_S2_PT_PS6_iiii
    .private_segment_fixed_size: 0
    .sgpr_count:     55
    .sgpr_spill_count: 0
    .symbol:         _ZL9moe_vec_qIfLi256ELi8E12block_iq2_xsLi1EXadL_ZL19vec_dot_iq2_xs_q8_1PKvPK10block_q8_1RKiEEEvS2_S2_PT_PS6_iiii.kd
    .uniform_work_group_size: 1
    .uses_dynamic_stack: false
    .vgpr_count:     55
    .vgpr_spill_count: 0
    .wavefront_size: 64
  - .args:
      - .actual_access:  read_only
        .address_space:  global
        .offset:         0
        .size:           8
        .value_kind:     global_buffer
      - .actual_access:  read_only
        .address_space:  global
        .offset:         8
        .size:           8
        .value_kind:     global_buffer
      - .actual_access:  write_only
        .address_space:  global
        .offset:         16
        .size:           8
        .value_kind:     global_buffer
      - .address_space:  global
        .offset:         24
        .size:           8
        .value_kind:     global_buffer
      - .offset:         32
        .size:           4
        .value_kind:     by_value
      - .offset:         36
        .size:           4
        .value_kind:     by_value
      - .offset:         40
        .size:           4
        .value_kind:     by_value
      - .offset:         44
        .size:           4
        .value_kind:     by_value
      - .offset:         48
        .size:           4
        .value_kind:     hidden_block_count_x
      - .offset:         52
        .size:           4
        .value_kind:     hidden_block_count_y
      - .offset:         56
        .size:           4
        .value_kind:     hidden_block_count_z
      - .offset:         60
        .size:           2
        .value_kind:     hidden_group_size_x
      - .offset:         62
        .size:           2
        .value_kind:     hidden_group_size_y
      - .offset:         64
        .size:           2
        .value_kind:     hidden_group_size_z
      - .offset:         66
        .size:           2
        .value_kind:     hidden_remainder_x
      - .offset:         68
        .size:           2
        .value_kind:     hidden_remainder_y
      - .offset:         70
        .size:           2
        .value_kind:     hidden_remainder_z
      - .offset:         88
        .size:           8
        .value_kind:     hidden_global_offset_x
      - .offset:         96
        .size:           8
        .value_kind:     hidden_global_offset_y
      - .offset:         104
        .size:           8
        .value_kind:     hidden_global_offset_z
      - .offset:         112
        .size:           2
        .value_kind:     hidden_grid_dims
    .group_segment_fixed_size: 0
    .kernarg_segment_align: 8
    .kernarg_segment_size: 304
    .language:       OpenCL C
    .language_version:
      - 2
      - 0
    .max_flat_workgroup_size: 1024
    .name:           _ZL9moe_vec_qIfLi256ELi8E13block_iq3_xxsLi1EXadL_ZL20vec_dot_iq3_xxs_q8_1PKvPK10block_q8_1RKiEEEvS2_S2_PT_PS6_iiii
    .private_segment_fixed_size: 0
    .sgpr_count:     24
    .sgpr_spill_count: 0
    .symbol:         _ZL9moe_vec_qIfLi256ELi8E13block_iq3_xxsLi1EXadL_ZL20vec_dot_iq3_xxs_q8_1PKvPK10block_q8_1RKiEEEvS2_S2_PT_PS6_iiii.kd
    .uniform_work_group_size: 1
    .uses_dynamic_stack: false
    .vgpr_count:     33
    .vgpr_spill_count: 0
    .wavefront_size: 64
  - .args:
      - .actual_access:  read_only
        .address_space:  global
        .offset:         0
        .size:           8
        .value_kind:     global_buffer
      - .actual_access:  read_only
        .address_space:  global
        .offset:         8
        .size:           8
        .value_kind:     global_buffer
      - .actual_access:  write_only
        .address_space:  global
        .offset:         16
        .size:           8
        .value_kind:     global_buffer
      - .address_space:  global
        .offset:         24
        .size:           8
        .value_kind:     global_buffer
      - .offset:         32
        .size:           4
        .value_kind:     by_value
      - .offset:         36
        .size:           4
        .value_kind:     by_value
      - .offset:         40
        .size:           4
        .value_kind:     by_value
      - .offset:         44
        .size:           4
        .value_kind:     by_value
      - .offset:         48
        .size:           4
        .value_kind:     hidden_block_count_x
      - .offset:         52
        .size:           4
        .value_kind:     hidden_block_count_y
      - .offset:         56
        .size:           4
        .value_kind:     hidden_block_count_z
      - .offset:         60
        .size:           2
        .value_kind:     hidden_group_size_x
      - .offset:         62
        .size:           2
        .value_kind:     hidden_group_size_y
      - .offset:         64
        .size:           2
        .value_kind:     hidden_group_size_z
      - .offset:         66
        .size:           2
        .value_kind:     hidden_remainder_x
      - .offset:         68
        .size:           2
        .value_kind:     hidden_remainder_y
      - .offset:         70
        .size:           2
        .value_kind:     hidden_remainder_z
      - .offset:         88
        .size:           8
        .value_kind:     hidden_global_offset_x
      - .offset:         96
        .size:           8
        .value_kind:     hidden_global_offset_y
      - .offset:         104
        .size:           8
        .value_kind:     hidden_global_offset_z
      - .offset:         112
        .size:           2
        .value_kind:     hidden_grid_dims
    .group_segment_fixed_size: 0
    .kernarg_segment_align: 8
    .kernarg_segment_size: 304
    .language:       OpenCL C
    .language_version:
      - 2
      - 0
    .max_flat_workgroup_size: 1024
    .name:           _ZL9moe_vec_qIfLi256ELi8E11block_iq1_sLi1EXadL_ZL18vec_dot_iq1_s_q8_1PKvPK10block_q8_1RKiEEEvS2_S2_PT_PS6_iiii
    .private_segment_fixed_size: 0
    .sgpr_count:     24
    .sgpr_spill_count: 0
    .symbol:         _ZL9moe_vec_qIfLi256ELi8E11block_iq1_sLi1EXadL_ZL18vec_dot_iq1_s_q8_1PKvPK10block_q8_1RKiEEEvS2_S2_PT_PS6_iiii.kd
    .uniform_work_group_size: 1
    .uses_dynamic_stack: false
    .vgpr_count:     31
    .vgpr_spill_count: 0
    .wavefront_size: 64
  - .args:
      - .actual_access:  read_only
        .address_space:  global
        .offset:         0
        .size:           8
        .value_kind:     global_buffer
      - .actual_access:  read_only
        .address_space:  global
        .offset:         8
        .size:           8
        .value_kind:     global_buffer
      - .actual_access:  write_only
        .address_space:  global
        .offset:         16
        .size:           8
        .value_kind:     global_buffer
      - .address_space:  global
        .offset:         24
        .size:           8
        .value_kind:     global_buffer
      - .offset:         32
        .size:           4
        .value_kind:     by_value
      - .offset:         36
        .size:           4
        .value_kind:     by_value
      - .offset:         40
        .size:           4
        .value_kind:     by_value
      - .offset:         44
        .size:           4
        .value_kind:     by_value
      - .offset:         48
        .size:           4
        .value_kind:     hidden_block_count_x
      - .offset:         52
        .size:           4
        .value_kind:     hidden_block_count_y
      - .offset:         56
        .size:           4
        .value_kind:     hidden_block_count_z
      - .offset:         60
        .size:           2
        .value_kind:     hidden_group_size_x
      - .offset:         62
        .size:           2
        .value_kind:     hidden_group_size_y
      - .offset:         64
        .size:           2
        .value_kind:     hidden_group_size_z
      - .offset:         66
        .size:           2
        .value_kind:     hidden_remainder_x
      - .offset:         68
        .size:           2
        .value_kind:     hidden_remainder_y
      - .offset:         70
        .size:           2
        .value_kind:     hidden_remainder_z
      - .offset:         88
        .size:           8
        .value_kind:     hidden_global_offset_x
      - .offset:         96
        .size:           8
        .value_kind:     hidden_global_offset_y
      - .offset:         104
        .size:           8
        .value_kind:     hidden_global_offset_z
      - .offset:         112
        .size:           2
        .value_kind:     hidden_grid_dims
    .group_segment_fixed_size: 0
    .kernarg_segment_align: 8
    .kernarg_segment_size: 304
    .language:       OpenCL C
    .language_version:
      - 2
      - 0
    .max_flat_workgroup_size: 1024
    .name:           _ZL9moe_vec_qIfLi32ELi4E12block_iq4_nlLi2EXadL_ZL19vec_dot_iq4_nl_q8_1PKvPK10block_q8_1RKiEEEvS2_S2_PT_PS6_iiii
    .private_segment_fixed_size: 0
    .sgpr_count:     24
    .sgpr_spill_count: 0
    .symbol:         _ZL9moe_vec_qIfLi32ELi4E12block_iq4_nlLi2EXadL_ZL19vec_dot_iq4_nl_q8_1PKvPK10block_q8_1RKiEEEvS2_S2_PT_PS6_iiii.kd
    .uniform_work_group_size: 1
    .uses_dynamic_stack: false
    .vgpr_count:     21
    .vgpr_spill_count: 0
    .wavefront_size: 64
  - .args:
      - .actual_access:  read_only
        .address_space:  global
        .offset:         0
        .size:           8
        .value_kind:     global_buffer
      - .actual_access:  read_only
        .address_space:  global
        .offset:         8
        .size:           8
        .value_kind:     global_buffer
      - .actual_access:  write_only
        .address_space:  global
        .offset:         16
        .size:           8
        .value_kind:     global_buffer
      - .address_space:  global
        .offset:         24
        .size:           8
        .value_kind:     global_buffer
      - .offset:         32
        .size:           4
        .value_kind:     by_value
      - .offset:         36
        .size:           4
        .value_kind:     by_value
      - .offset:         40
        .size:           4
        .value_kind:     by_value
      - .offset:         44
        .size:           4
        .value_kind:     by_value
      - .offset:         48
        .size:           4
        .value_kind:     hidden_block_count_x
      - .offset:         52
        .size:           4
        .value_kind:     hidden_block_count_y
      - .offset:         56
        .size:           4
        .value_kind:     hidden_block_count_z
      - .offset:         60
        .size:           2
        .value_kind:     hidden_group_size_x
      - .offset:         62
        .size:           2
        .value_kind:     hidden_group_size_y
      - .offset:         64
        .size:           2
        .value_kind:     hidden_group_size_z
      - .offset:         66
        .size:           2
        .value_kind:     hidden_remainder_x
      - .offset:         68
        .size:           2
        .value_kind:     hidden_remainder_y
      - .offset:         70
        .size:           2
        .value_kind:     hidden_remainder_z
      - .offset:         88
        .size:           8
        .value_kind:     hidden_global_offset_x
      - .offset:         96
        .size:           8
        .value_kind:     hidden_global_offset_y
      - .offset:         104
        .size:           8
        .value_kind:     hidden_global_offset_z
      - .offset:         112
        .size:           2
        .value_kind:     hidden_grid_dims
    .group_segment_fixed_size: 0
    .kernarg_segment_align: 8
    .kernarg_segment_size: 304
    .language:       OpenCL C
    .language_version:
      - 2
      - 0
    .max_flat_workgroup_size: 1024
    .name:           _ZL9moe_vec_qIfLi256ELi8E11block_iq3_sLi1EXadL_ZL18vec_dot_iq3_s_q8_1PKvPK10block_q8_1RKiEEEvS2_S2_PT_PS6_iiii
    .private_segment_fixed_size: 0
    .sgpr_count:     25
    .sgpr_spill_count: 0
    .symbol:         _ZL9moe_vec_qIfLi256ELi8E11block_iq3_sLi1EXadL_ZL18vec_dot_iq3_s_q8_1PKvPK10block_q8_1RKiEEEvS2_S2_PT_PS6_iiii.kd
    .uniform_work_group_size: 1
    .uses_dynamic_stack: false
    .vgpr_count:     46
    .vgpr_spill_count: 0
    .wavefront_size: 64
  - .args:
      - .actual_access:  read_only
        .address_space:  global
        .offset:         0
        .size:           8
        .value_kind:     global_buffer
      - .actual_access:  read_only
        .address_space:  global
        .offset:         8
        .size:           8
        .value_kind:     global_buffer
      - .actual_access:  write_only
        .address_space:  global
        .offset:         16
        .size:           8
        .value_kind:     global_buffer
      - .address_space:  global
        .offset:         24
        .size:           8
        .value_kind:     global_buffer
      - .offset:         32
        .size:           4
        .value_kind:     by_value
      - .offset:         36
        .size:           4
        .value_kind:     by_value
      - .offset:         40
        .size:           4
        .value_kind:     by_value
      - .offset:         44
        .size:           4
        .value_kind:     by_value
      - .offset:         48
        .size:           4
        .value_kind:     hidden_block_count_x
      - .offset:         52
        .size:           4
        .value_kind:     hidden_block_count_y
      - .offset:         56
        .size:           4
        .value_kind:     hidden_block_count_z
      - .offset:         60
        .size:           2
        .value_kind:     hidden_group_size_x
      - .offset:         62
        .size:           2
        .value_kind:     hidden_group_size_y
      - .offset:         64
        .size:           2
        .value_kind:     hidden_group_size_z
      - .offset:         66
        .size:           2
        .value_kind:     hidden_remainder_x
      - .offset:         68
        .size:           2
        .value_kind:     hidden_remainder_y
      - .offset:         70
        .size:           2
        .value_kind:     hidden_remainder_z
      - .offset:         88
        .size:           8
        .value_kind:     hidden_global_offset_x
      - .offset:         96
        .size:           8
        .value_kind:     hidden_global_offset_y
      - .offset:         104
        .size:           8
        .value_kind:     hidden_global_offset_z
      - .offset:         112
        .size:           2
        .value_kind:     hidden_grid_dims
    .group_segment_fixed_size: 0
    .kernarg_segment_align: 8
    .kernarg_segment_size: 304
    .language:       OpenCL C
    .language_version:
      - 2
      - 0
    .max_flat_workgroup_size: 1024
    .name:           _ZL9moe_vec_qIfLi256ELi8E11block_iq2_sLi1EXadL_ZL18vec_dot_iq2_s_q8_1PKvPK10block_q8_1RKiEEEvS2_S2_PT_PS6_iiii
    .private_segment_fixed_size: 0
    .sgpr_count:     24
    .sgpr_spill_count: 0
    .symbol:         _ZL9moe_vec_qIfLi256ELi8E11block_iq2_sLi1EXadL_ZL18vec_dot_iq2_s_q8_1PKvPK10block_q8_1RKiEEEvS2_S2_PT_PS6_iiii.kd
    .uniform_work_group_size: 1
    .uses_dynamic_stack: false
    .vgpr_count:     64
    .vgpr_spill_count: 0
    .wavefront_size: 64
  - .args:
      - .actual_access:  read_only
        .address_space:  global
        .offset:         0
        .size:           8
        .value_kind:     global_buffer
      - .actual_access:  read_only
        .address_space:  global
        .offset:         8
        .size:           8
        .value_kind:     global_buffer
      - .actual_access:  write_only
        .address_space:  global
        .offset:         16
        .size:           8
        .value_kind:     global_buffer
      - .address_space:  global
        .offset:         24
        .size:           8
        .value_kind:     global_buffer
      - .offset:         32
        .size:           4
        .value_kind:     by_value
      - .offset:         36
        .size:           4
        .value_kind:     by_value
      - .offset:         40
        .size:           4
        .value_kind:     by_value
      - .offset:         44
        .size:           4
        .value_kind:     by_value
      - .offset:         48
        .size:           4
        .value_kind:     hidden_block_count_x
      - .offset:         52
        .size:           4
        .value_kind:     hidden_block_count_y
      - .offset:         56
        .size:           4
        .value_kind:     hidden_block_count_z
      - .offset:         60
        .size:           2
        .value_kind:     hidden_group_size_x
      - .offset:         62
        .size:           2
        .value_kind:     hidden_group_size_y
      - .offset:         64
        .size:           2
        .value_kind:     hidden_group_size_z
      - .offset:         66
        .size:           2
        .value_kind:     hidden_remainder_x
      - .offset:         68
        .size:           2
        .value_kind:     hidden_remainder_y
      - .offset:         70
        .size:           2
        .value_kind:     hidden_remainder_z
      - .offset:         88
        .size:           8
        .value_kind:     hidden_global_offset_x
      - .offset:         96
        .size:           8
        .value_kind:     hidden_global_offset_y
      - .offset:         104
        .size:           8
        .value_kind:     hidden_global_offset_z
      - .offset:         112
        .size:           2
        .value_kind:     hidden_grid_dims
    .group_segment_fixed_size: 0
    .kernarg_segment_align: 8
    .kernarg_segment_size: 304
    .language:       OpenCL C
    .language_version:
      - 2
      - 0
    .max_flat_workgroup_size: 1024
    .name:           _ZL9moe_vec_qIfLi256ELi8E12block_iq4_xsLi1EXadL_ZL19vec_dot_iq4_xs_q8_1PKvPK10block_q8_1RKiEEEvS2_S2_PT_PS6_iiii
    .private_segment_fixed_size: 0
    .sgpr_count:     24
    .sgpr_spill_count: 0
    .symbol:         _ZL9moe_vec_qIfLi256ELi8E12block_iq4_xsLi1EXadL_ZL19vec_dot_iq4_xs_q8_1PKvPK10block_q8_1RKiEEEvS2_S2_PT_PS6_iiii.kd
    .uniform_work_group_size: 1
    .uses_dynamic_stack: false
    .vgpr_count:     48
    .vgpr_spill_count: 0
    .wavefront_size: 64
  - .args:
      - .actual_access:  read_only
        .address_space:  global
        .offset:         0
        .size:           8
        .value_kind:     global_buffer
      - .actual_access:  read_only
        .address_space:  global
        .offset:         8
        .size:           8
        .value_kind:     global_buffer
      - .actual_access:  write_only
        .address_space:  global
        .offset:         16
        .size:           8
        .value_kind:     global_buffer
      - .address_space:  global
        .offset:         24
        .size:           8
        .value_kind:     global_buffer
      - .offset:         32
        .size:           4
        .value_kind:     by_value
      - .offset:         36
        .size:           4
        .value_kind:     by_value
      - .offset:         40
        .size:           4
        .value_kind:     by_value
      - .offset:         44
        .size:           4
        .value_kind:     by_value
      - .offset:         48
        .size:           4
        .value_kind:     hidden_block_count_x
      - .offset:         52
        .size:           4
        .value_kind:     hidden_block_count_y
      - .offset:         56
        .size:           4
        .value_kind:     hidden_block_count_z
      - .offset:         60
        .size:           2
        .value_kind:     hidden_group_size_x
      - .offset:         62
        .size:           2
        .value_kind:     hidden_group_size_y
      - .offset:         64
        .size:           2
        .value_kind:     hidden_group_size_z
      - .offset:         66
        .size:           2
        .value_kind:     hidden_remainder_x
      - .offset:         68
        .size:           2
        .value_kind:     hidden_remainder_y
      - .offset:         70
        .size:           2
        .value_kind:     hidden_remainder_z
      - .offset:         88
        .size:           8
        .value_kind:     hidden_global_offset_x
      - .offset:         96
        .size:           8
        .value_kind:     hidden_global_offset_y
      - .offset:         104
        .size:           8
        .value_kind:     hidden_global_offset_z
      - .offset:         112
        .size:           2
        .value_kind:     hidden_grid_dims
    .group_segment_fixed_size: 0
    .kernarg_segment_align: 8
    .kernarg_segment_size: 304
    .language:       OpenCL C
    .language_version:
      - 2
      - 0
    .max_flat_workgroup_size: 1024
    .name:           _ZL9moe_vec_qIfLi256ELi8E11block_iq1_mLi1EXadL_ZL18vec_dot_iq1_m_q8_1PKvPK10block_q8_1RKiEEEvS2_S2_PT_PS6_iiii
    .private_segment_fixed_size: 0
    .sgpr_count:     24
    .sgpr_spill_count: 0
    .symbol:         _ZL9moe_vec_qIfLi256ELi8E11block_iq1_mLi1EXadL_ZL18vec_dot_iq1_m_q8_1PKvPK10block_q8_1RKiEEEvS2_S2_PT_PS6_iiii.kd
    .uniform_work_group_size: 1
    .uses_dynamic_stack: false
    .vgpr_count:     34
    .vgpr_spill_count: 0
    .wavefront_size: 64
  - .args:
      - .actual_access:  read_only
        .address_space:  global
        .offset:         0
        .size:           8
        .value_kind:     global_buffer
      - .actual_access:  read_only
        .address_space:  global
        .offset:         8
        .size:           8
        .value_kind:     global_buffer
      - .actual_access:  write_only
        .address_space:  global
        .offset:         16
        .size:           8
        .value_kind:     global_buffer
      - .address_space:  global
        .offset:         24
        .size:           8
        .value_kind:     global_buffer
      - .offset:         32
        .size:           4
        .value_kind:     by_value
      - .offset:         36
        .size:           4
        .value_kind:     by_value
      - .offset:         40
        .size:           4
        .value_kind:     by_value
      - .offset:         44
        .size:           4
        .value_kind:     by_value
      - .offset:         48
        .size:           4
        .value_kind:     hidden_block_count_x
      - .offset:         52
        .size:           4
        .value_kind:     hidden_block_count_y
      - .offset:         56
        .size:           4
        .value_kind:     hidden_block_count_z
      - .offset:         60
        .size:           2
        .value_kind:     hidden_group_size_x
      - .offset:         62
        .size:           2
        .value_kind:     hidden_group_size_y
      - .offset:         64
        .size:           2
        .value_kind:     hidden_group_size_z
      - .offset:         66
        .size:           2
        .value_kind:     hidden_remainder_x
      - .offset:         68
        .size:           2
        .value_kind:     hidden_remainder_y
      - .offset:         70
        .size:           2
        .value_kind:     hidden_remainder_z
      - .offset:         88
        .size:           8
        .value_kind:     hidden_global_offset_x
      - .offset:         96
        .size:           8
        .value_kind:     hidden_global_offset_y
      - .offset:         104
        .size:           8
        .value_kind:     hidden_global_offset_z
      - .offset:         112
        .size:           2
        .value_kind:     hidden_grid_dims
    .group_segment_fixed_size: 0
    .kernarg_segment_align: 8
    .kernarg_segment_size: 304
    .language:       OpenCL C
    .language_version:
      - 2
      - 0
    .max_flat_workgroup_size: 1024
    .name:           _ZL9moe_vec_qIN3c104HalfELi32ELi4E10block_q4_0Li2EXadL_ZL17vec_dot_q4_0_q8_1PKvPK10block_q8_1RKiEEEvS4_S4_PT_PS8_iiii
    .private_segment_fixed_size: 0
    .sgpr_count:     24
    .sgpr_spill_count: 0
    .symbol:         _ZL9moe_vec_qIN3c104HalfELi32ELi4E10block_q4_0Li2EXadL_ZL17vec_dot_q4_0_q8_1PKvPK10block_q8_1RKiEEEvS4_S4_PT_PS8_iiii.kd
    .uniform_work_group_size: 1
    .uses_dynamic_stack: false
    .vgpr_count:     22
    .vgpr_spill_count: 0
    .wavefront_size: 64
  - .args:
      - .actual_access:  read_only
        .address_space:  global
        .offset:         0
        .size:           8
        .value_kind:     global_buffer
      - .actual_access:  read_only
        .address_space:  global
        .offset:         8
        .size:           8
        .value_kind:     global_buffer
      - .actual_access:  write_only
        .address_space:  global
        .offset:         16
        .size:           8
        .value_kind:     global_buffer
      - .address_space:  global
        .offset:         24
        .size:           8
        .value_kind:     global_buffer
      - .offset:         32
        .size:           4
        .value_kind:     by_value
      - .offset:         36
        .size:           4
        .value_kind:     by_value
      - .offset:         40
        .size:           4
        .value_kind:     by_value
      - .offset:         44
        .size:           4
        .value_kind:     by_value
      - .offset:         48
        .size:           4
        .value_kind:     hidden_block_count_x
      - .offset:         52
        .size:           4
        .value_kind:     hidden_block_count_y
      - .offset:         56
        .size:           4
        .value_kind:     hidden_block_count_z
      - .offset:         60
        .size:           2
        .value_kind:     hidden_group_size_x
      - .offset:         62
        .size:           2
        .value_kind:     hidden_group_size_y
      - .offset:         64
        .size:           2
        .value_kind:     hidden_group_size_z
      - .offset:         66
        .size:           2
        .value_kind:     hidden_remainder_x
      - .offset:         68
        .size:           2
        .value_kind:     hidden_remainder_y
      - .offset:         70
        .size:           2
        .value_kind:     hidden_remainder_z
      - .offset:         88
        .size:           8
        .value_kind:     hidden_global_offset_x
      - .offset:         96
        .size:           8
        .value_kind:     hidden_global_offset_y
      - .offset:         104
        .size:           8
        .value_kind:     hidden_global_offset_z
      - .offset:         112
        .size:           2
        .value_kind:     hidden_grid_dims
    .group_segment_fixed_size: 0
    .kernarg_segment_align: 8
    .kernarg_segment_size: 304
    .language:       OpenCL C
    .language_version:
      - 2
      - 0
    .max_flat_workgroup_size: 1024
    .name:           _ZL9moe_vec_qIN3c104HalfELi32ELi4E10block_q4_1Li2EXadL_ZL17vec_dot_q4_1_q8_1PKvPK10block_q8_1RKiEEEvS4_S4_PT_PS8_iiii
    .private_segment_fixed_size: 0
    .sgpr_count:     24
    .sgpr_spill_count: 0
    .symbol:         _ZL9moe_vec_qIN3c104HalfELi32ELi4E10block_q4_1Li2EXadL_ZL17vec_dot_q4_1_q8_1PKvPK10block_q8_1RKiEEEvS4_S4_PT_PS8_iiii.kd
    .uniform_work_group_size: 1
    .uses_dynamic_stack: false
    .vgpr_count:     20
    .vgpr_spill_count: 0
    .wavefront_size: 64
  - .args:
      - .actual_access:  read_only
        .address_space:  global
        .offset:         0
        .size:           8
        .value_kind:     global_buffer
      - .actual_access:  read_only
        .address_space:  global
        .offset:         8
        .size:           8
        .value_kind:     global_buffer
      - .actual_access:  write_only
        .address_space:  global
        .offset:         16
        .size:           8
        .value_kind:     global_buffer
      - .address_space:  global
        .offset:         24
        .size:           8
        .value_kind:     global_buffer
      - .offset:         32
        .size:           4
        .value_kind:     by_value
      - .offset:         36
        .size:           4
        .value_kind:     by_value
      - .offset:         40
        .size:           4
        .value_kind:     by_value
      - .offset:         44
        .size:           4
        .value_kind:     by_value
      - .offset:         48
        .size:           4
        .value_kind:     hidden_block_count_x
      - .offset:         52
        .size:           4
        .value_kind:     hidden_block_count_y
      - .offset:         56
        .size:           4
        .value_kind:     hidden_block_count_z
      - .offset:         60
        .size:           2
        .value_kind:     hidden_group_size_x
      - .offset:         62
        .size:           2
        .value_kind:     hidden_group_size_y
      - .offset:         64
        .size:           2
        .value_kind:     hidden_group_size_z
      - .offset:         66
        .size:           2
        .value_kind:     hidden_remainder_x
      - .offset:         68
        .size:           2
        .value_kind:     hidden_remainder_y
      - .offset:         70
        .size:           2
        .value_kind:     hidden_remainder_z
      - .offset:         88
        .size:           8
        .value_kind:     hidden_global_offset_x
      - .offset:         96
        .size:           8
        .value_kind:     hidden_global_offset_y
      - .offset:         104
        .size:           8
        .value_kind:     hidden_global_offset_z
      - .offset:         112
        .size:           2
        .value_kind:     hidden_grid_dims
    .group_segment_fixed_size: 0
    .kernarg_segment_align: 8
    .kernarg_segment_size: 304
    .language:       OpenCL C
    .language_version:
      - 2
      - 0
    .max_flat_workgroup_size: 1024
    .name:           _ZL9moe_vec_qIN3c104HalfELi32ELi4E10block_q5_0Li2EXadL_ZL17vec_dot_q5_0_q8_1PKvPK10block_q8_1RKiEEEvS4_S4_PT_PS8_iiii
    .private_segment_fixed_size: 0
    .sgpr_count:     24
    .sgpr_spill_count: 0
    .symbol:         _ZL9moe_vec_qIN3c104HalfELi32ELi4E10block_q5_0Li2EXadL_ZL17vec_dot_q5_0_q8_1PKvPK10block_q8_1RKiEEEvS4_S4_PT_PS8_iiii.kd
    .uniform_work_group_size: 1
    .uses_dynamic_stack: false
    .vgpr_count:     25
    .vgpr_spill_count: 0
    .wavefront_size: 64
  - .args:
      - .actual_access:  read_only
        .address_space:  global
        .offset:         0
        .size:           8
        .value_kind:     global_buffer
      - .actual_access:  read_only
        .address_space:  global
        .offset:         8
        .size:           8
        .value_kind:     global_buffer
      - .actual_access:  write_only
        .address_space:  global
        .offset:         16
        .size:           8
        .value_kind:     global_buffer
      - .address_space:  global
        .offset:         24
        .size:           8
        .value_kind:     global_buffer
      - .offset:         32
        .size:           4
        .value_kind:     by_value
      - .offset:         36
        .size:           4
        .value_kind:     by_value
      - .offset:         40
        .size:           4
        .value_kind:     by_value
      - .offset:         44
        .size:           4
        .value_kind:     by_value
      - .offset:         48
        .size:           4
        .value_kind:     hidden_block_count_x
      - .offset:         52
        .size:           4
        .value_kind:     hidden_block_count_y
      - .offset:         56
        .size:           4
        .value_kind:     hidden_block_count_z
      - .offset:         60
        .size:           2
        .value_kind:     hidden_group_size_x
      - .offset:         62
        .size:           2
        .value_kind:     hidden_group_size_y
      - .offset:         64
        .size:           2
        .value_kind:     hidden_group_size_z
      - .offset:         66
        .size:           2
        .value_kind:     hidden_remainder_x
      - .offset:         68
        .size:           2
        .value_kind:     hidden_remainder_y
      - .offset:         70
        .size:           2
        .value_kind:     hidden_remainder_z
      - .offset:         88
        .size:           8
        .value_kind:     hidden_global_offset_x
      - .offset:         96
        .size:           8
        .value_kind:     hidden_global_offset_y
      - .offset:         104
        .size:           8
        .value_kind:     hidden_global_offset_z
      - .offset:         112
        .size:           2
        .value_kind:     hidden_grid_dims
    .group_segment_fixed_size: 0
    .kernarg_segment_align: 8
    .kernarg_segment_size: 304
    .language:       OpenCL C
    .language_version:
      - 2
      - 0
    .max_flat_workgroup_size: 1024
    .name:           _ZL9moe_vec_qIN3c104HalfELi32ELi4E10block_q5_1Li2EXadL_ZL17vec_dot_q5_1_q8_1PKvPK10block_q8_1RKiEEEvS4_S4_PT_PS8_iiii
    .private_segment_fixed_size: 0
    .sgpr_count:     24
    .sgpr_spill_count: 0
    .symbol:         _ZL9moe_vec_qIN3c104HalfELi32ELi4E10block_q5_1Li2EXadL_ZL17vec_dot_q5_1_q8_1PKvPK10block_q8_1RKiEEEvS4_S4_PT_PS8_iiii.kd
    .uniform_work_group_size: 1
    .uses_dynamic_stack: false
    .vgpr_count:     22
    .vgpr_spill_count: 0
    .wavefront_size: 64
  - .args:
      - .actual_access:  read_only
        .address_space:  global
        .offset:         0
        .size:           8
        .value_kind:     global_buffer
      - .actual_access:  read_only
        .address_space:  global
        .offset:         8
        .size:           8
        .value_kind:     global_buffer
      - .actual_access:  write_only
        .address_space:  global
        .offset:         16
        .size:           8
        .value_kind:     global_buffer
      - .address_space:  global
        .offset:         24
        .size:           8
        .value_kind:     global_buffer
      - .offset:         32
        .size:           4
        .value_kind:     by_value
      - .offset:         36
        .size:           4
        .value_kind:     by_value
      - .offset:         40
        .size:           4
        .value_kind:     by_value
      - .offset:         44
        .size:           4
        .value_kind:     by_value
      - .offset:         48
        .size:           4
        .value_kind:     hidden_block_count_x
      - .offset:         52
        .size:           4
        .value_kind:     hidden_block_count_y
      - .offset:         56
        .size:           4
        .value_kind:     hidden_block_count_z
      - .offset:         60
        .size:           2
        .value_kind:     hidden_group_size_x
      - .offset:         62
        .size:           2
        .value_kind:     hidden_group_size_y
      - .offset:         64
        .size:           2
        .value_kind:     hidden_group_size_z
      - .offset:         66
        .size:           2
        .value_kind:     hidden_remainder_x
      - .offset:         68
        .size:           2
        .value_kind:     hidden_remainder_y
      - .offset:         70
        .size:           2
        .value_kind:     hidden_remainder_z
      - .offset:         88
        .size:           8
        .value_kind:     hidden_global_offset_x
      - .offset:         96
        .size:           8
        .value_kind:     hidden_global_offset_y
      - .offset:         104
        .size:           8
        .value_kind:     hidden_global_offset_z
      - .offset:         112
        .size:           2
        .value_kind:     hidden_grid_dims
    .group_segment_fixed_size: 0
    .kernarg_segment_align: 8
    .kernarg_segment_size: 304
    .language:       OpenCL C
    .language_version:
      - 2
      - 0
    .max_flat_workgroup_size: 1024
    .name:           _ZL9moe_vec_qIN3c104HalfELi32ELi8E10block_q8_0Li2EXadL_ZL17vec_dot_q8_0_q8_1PKvPK10block_q8_1RKiEEEvS4_S4_PT_PS8_iiii
    .private_segment_fixed_size: 0
    .sgpr_count:     24
    .sgpr_spill_count: 0
    .symbol:         _ZL9moe_vec_qIN3c104HalfELi32ELi8E10block_q8_0Li2EXadL_ZL17vec_dot_q8_0_q8_1PKvPK10block_q8_1RKiEEEvS4_S4_PT_PS8_iiii.kd
    .uniform_work_group_size: 1
    .uses_dynamic_stack: false
    .vgpr_count:     18
    .vgpr_spill_count: 0
    .wavefront_size: 64
  - .args:
      - .actual_access:  read_only
        .address_space:  global
        .offset:         0
        .size:           8
        .value_kind:     global_buffer
      - .actual_access:  read_only
        .address_space:  global
        .offset:         8
        .size:           8
        .value_kind:     global_buffer
      - .actual_access:  write_only
        .address_space:  global
        .offset:         16
        .size:           8
        .value_kind:     global_buffer
      - .address_space:  global
        .offset:         24
        .size:           8
        .value_kind:     global_buffer
      - .offset:         32
        .size:           4
        .value_kind:     by_value
      - .offset:         36
        .size:           4
        .value_kind:     by_value
      - .offset:         40
        .size:           4
        .value_kind:     by_value
      - .offset:         44
        .size:           4
        .value_kind:     by_value
      - .offset:         48
        .size:           4
        .value_kind:     hidden_block_count_x
      - .offset:         52
        .size:           4
        .value_kind:     hidden_block_count_y
      - .offset:         56
        .size:           4
        .value_kind:     hidden_block_count_z
      - .offset:         60
        .size:           2
        .value_kind:     hidden_group_size_x
      - .offset:         62
        .size:           2
        .value_kind:     hidden_group_size_y
      - .offset:         64
        .size:           2
        .value_kind:     hidden_group_size_z
      - .offset:         66
        .size:           2
        .value_kind:     hidden_remainder_x
      - .offset:         68
        .size:           2
        .value_kind:     hidden_remainder_y
      - .offset:         70
        .size:           2
        .value_kind:     hidden_remainder_z
      - .offset:         88
        .size:           8
        .value_kind:     hidden_global_offset_x
      - .offset:         96
        .size:           8
        .value_kind:     hidden_global_offset_y
      - .offset:         104
        .size:           8
        .value_kind:     hidden_global_offset_z
      - .offset:         112
        .size:           2
        .value_kind:     hidden_grid_dims
    .group_segment_fixed_size: 0
    .kernarg_segment_align: 8
    .kernarg_segment_size: 304
    .language:       OpenCL C
    .language_version:
      - 2
      - 0
    .max_flat_workgroup_size: 1024
    .name:           _ZL9moe_vec_qIN3c104HalfELi256ELi16E10block_q2_KLi1EXadL_ZL17vec_dot_q2_K_q8_1PKvPK10block_q8_1RKiEEEvS4_S4_PT_PS8_iiii
    .private_segment_fixed_size: 0
    .sgpr_count:     24
    .sgpr_spill_count: 0
    .symbol:         _ZL9moe_vec_qIN3c104HalfELi256ELi16E10block_q2_KLi1EXadL_ZL17vec_dot_q2_K_q8_1PKvPK10block_q8_1RKiEEEvS4_S4_PT_PS8_iiii.kd
    .uniform_work_group_size: 1
    .uses_dynamic_stack: false
    .vgpr_count:     33
    .vgpr_spill_count: 0
    .wavefront_size: 64
  - .args:
      - .actual_access:  read_only
        .address_space:  global
        .offset:         0
        .size:           8
        .value_kind:     global_buffer
      - .actual_access:  read_only
        .address_space:  global
        .offset:         8
        .size:           8
        .value_kind:     global_buffer
      - .actual_access:  write_only
        .address_space:  global
        .offset:         16
        .size:           8
        .value_kind:     global_buffer
      - .address_space:  global
        .offset:         24
        .size:           8
        .value_kind:     global_buffer
      - .offset:         32
        .size:           4
        .value_kind:     by_value
      - .offset:         36
        .size:           4
        .value_kind:     by_value
      - .offset:         40
        .size:           4
        .value_kind:     by_value
      - .offset:         44
        .size:           4
        .value_kind:     by_value
      - .offset:         48
        .size:           4
        .value_kind:     hidden_block_count_x
      - .offset:         52
        .size:           4
        .value_kind:     hidden_block_count_y
      - .offset:         56
        .size:           4
        .value_kind:     hidden_block_count_z
      - .offset:         60
        .size:           2
        .value_kind:     hidden_group_size_x
      - .offset:         62
        .size:           2
        .value_kind:     hidden_group_size_y
      - .offset:         64
        .size:           2
        .value_kind:     hidden_group_size_z
      - .offset:         66
        .size:           2
        .value_kind:     hidden_remainder_x
      - .offset:         68
        .size:           2
        .value_kind:     hidden_remainder_y
      - .offset:         70
        .size:           2
        .value_kind:     hidden_remainder_z
      - .offset:         88
        .size:           8
        .value_kind:     hidden_global_offset_x
      - .offset:         96
        .size:           8
        .value_kind:     hidden_global_offset_y
      - .offset:         104
        .size:           8
        .value_kind:     hidden_global_offset_z
      - .offset:         112
        .size:           2
        .value_kind:     hidden_grid_dims
    .group_segment_fixed_size: 0
    .kernarg_segment_align: 8
    .kernarg_segment_size: 304
    .language:       OpenCL C
    .language_version:
      - 2
      - 0
    .max_flat_workgroup_size: 1024
    .name:           _ZL9moe_vec_qIN3c104HalfELi256ELi16E10block_q3_KLi1EXadL_ZL17vec_dot_q3_K_q8_1PKvPK10block_q8_1RKiEEEvS4_S4_PT_PS8_iiii
    .private_segment_fixed_size: 0
    .sgpr_count:     26
    .sgpr_spill_count: 0
    .symbol:         _ZL9moe_vec_qIN3c104HalfELi256ELi16E10block_q3_KLi1EXadL_ZL17vec_dot_q3_K_q8_1PKvPK10block_q8_1RKiEEEvS4_S4_PT_PS8_iiii.kd
    .uniform_work_group_size: 1
    .uses_dynamic_stack: false
    .vgpr_count:     63
    .vgpr_spill_count: 0
    .wavefront_size: 64
  - .args:
      - .actual_access:  read_only
        .address_space:  global
        .offset:         0
        .size:           8
        .value_kind:     global_buffer
      - .actual_access:  read_only
        .address_space:  global
        .offset:         8
        .size:           8
        .value_kind:     global_buffer
      - .actual_access:  write_only
        .address_space:  global
        .offset:         16
        .size:           8
        .value_kind:     global_buffer
      - .address_space:  global
        .offset:         24
        .size:           8
        .value_kind:     global_buffer
      - .offset:         32
        .size:           4
        .value_kind:     by_value
      - .offset:         36
        .size:           4
        .value_kind:     by_value
      - .offset:         40
        .size:           4
        .value_kind:     by_value
      - .offset:         44
        .size:           4
        .value_kind:     by_value
      - .offset:         48
        .size:           4
        .value_kind:     hidden_block_count_x
      - .offset:         52
        .size:           4
        .value_kind:     hidden_block_count_y
      - .offset:         56
        .size:           4
        .value_kind:     hidden_block_count_z
      - .offset:         60
        .size:           2
        .value_kind:     hidden_group_size_x
      - .offset:         62
        .size:           2
        .value_kind:     hidden_group_size_y
      - .offset:         64
        .size:           2
        .value_kind:     hidden_group_size_z
      - .offset:         66
        .size:           2
        .value_kind:     hidden_remainder_x
      - .offset:         68
        .size:           2
        .value_kind:     hidden_remainder_y
      - .offset:         70
        .size:           2
        .value_kind:     hidden_remainder_z
      - .offset:         88
        .size:           8
        .value_kind:     hidden_global_offset_x
      - .offset:         96
        .size:           8
        .value_kind:     hidden_global_offset_y
      - .offset:         104
        .size:           8
        .value_kind:     hidden_global_offset_z
      - .offset:         112
        .size:           2
        .value_kind:     hidden_grid_dims
    .group_segment_fixed_size: 0
    .kernarg_segment_align: 8
    .kernarg_segment_size: 304
    .language:       OpenCL C
    .language_version:
      - 2
      - 0
    .max_flat_workgroup_size: 1024
    .name:           _ZL9moe_vec_qIN3c104HalfELi256ELi32E10block_q4_KLi2EXadL_ZL17vec_dot_q4_K_q8_1PKvPK10block_q8_1RKiEEEvS4_S4_PT_PS8_iiii
    .private_segment_fixed_size: 0
    .sgpr_count:     24
    .sgpr_spill_count: 0
    .symbol:         _ZL9moe_vec_qIN3c104HalfELi256ELi32E10block_q4_KLi2EXadL_ZL17vec_dot_q4_K_q8_1PKvPK10block_q8_1RKiEEEvS4_S4_PT_PS8_iiii.kd
    .uniform_work_group_size: 1
    .uses_dynamic_stack: false
    .vgpr_count:     30
    .vgpr_spill_count: 0
    .wavefront_size: 64
  - .args:
      - .actual_access:  read_only
        .address_space:  global
        .offset:         0
        .size:           8
        .value_kind:     global_buffer
      - .actual_access:  read_only
        .address_space:  global
        .offset:         8
        .size:           8
        .value_kind:     global_buffer
      - .actual_access:  write_only
        .address_space:  global
        .offset:         16
        .size:           8
        .value_kind:     global_buffer
      - .address_space:  global
        .offset:         24
        .size:           8
        .value_kind:     global_buffer
      - .offset:         32
        .size:           4
        .value_kind:     by_value
      - .offset:         36
        .size:           4
        .value_kind:     by_value
      - .offset:         40
        .size:           4
        .value_kind:     by_value
      - .offset:         44
        .size:           4
        .value_kind:     by_value
      - .offset:         48
        .size:           4
        .value_kind:     hidden_block_count_x
      - .offset:         52
        .size:           4
        .value_kind:     hidden_block_count_y
      - .offset:         56
        .size:           4
        .value_kind:     hidden_block_count_z
      - .offset:         60
        .size:           2
        .value_kind:     hidden_group_size_x
      - .offset:         62
        .size:           2
        .value_kind:     hidden_group_size_y
      - .offset:         64
        .size:           2
        .value_kind:     hidden_group_size_z
      - .offset:         66
        .size:           2
        .value_kind:     hidden_remainder_x
      - .offset:         68
        .size:           2
        .value_kind:     hidden_remainder_y
      - .offset:         70
        .size:           2
        .value_kind:     hidden_remainder_z
      - .offset:         88
        .size:           8
        .value_kind:     hidden_global_offset_x
      - .offset:         96
        .size:           8
        .value_kind:     hidden_global_offset_y
      - .offset:         104
        .size:           8
        .value_kind:     hidden_global_offset_z
      - .offset:         112
        .size:           2
        .value_kind:     hidden_grid_dims
    .group_segment_fixed_size: 0
    .kernarg_segment_align: 8
    .kernarg_segment_size: 304
    .language:       OpenCL C
    .language_version:
      - 2
      - 0
    .max_flat_workgroup_size: 1024
    .name:           _ZL9moe_vec_qIN3c104HalfELi256ELi32E10block_q5_KLi2EXadL_ZL17vec_dot_q5_K_q8_1PKvPK10block_q8_1RKiEEEvS4_S4_PT_PS8_iiii
    .private_segment_fixed_size: 0
    .sgpr_count:     24
    .sgpr_spill_count: 0
    .symbol:         _ZL9moe_vec_qIN3c104HalfELi256ELi32E10block_q5_KLi2EXadL_ZL17vec_dot_q5_K_q8_1PKvPK10block_q8_1RKiEEEvS4_S4_PT_PS8_iiii.kd
    .uniform_work_group_size: 1
    .uses_dynamic_stack: false
    .vgpr_count:     34
    .vgpr_spill_count: 0
    .wavefront_size: 64
  - .args:
      - .actual_access:  read_only
        .address_space:  global
        .offset:         0
        .size:           8
        .value_kind:     global_buffer
      - .actual_access:  read_only
        .address_space:  global
        .offset:         8
        .size:           8
        .value_kind:     global_buffer
      - .actual_access:  write_only
        .address_space:  global
        .offset:         16
        .size:           8
        .value_kind:     global_buffer
      - .address_space:  global
        .offset:         24
        .size:           8
        .value_kind:     global_buffer
      - .offset:         32
        .size:           4
        .value_kind:     by_value
      - .offset:         36
        .size:           4
        .value_kind:     by_value
      - .offset:         40
        .size:           4
        .value_kind:     by_value
      - .offset:         44
        .size:           4
        .value_kind:     by_value
      - .offset:         48
        .size:           4
        .value_kind:     hidden_block_count_x
      - .offset:         52
        .size:           4
        .value_kind:     hidden_block_count_y
      - .offset:         56
        .size:           4
        .value_kind:     hidden_block_count_z
      - .offset:         60
        .size:           2
        .value_kind:     hidden_group_size_x
      - .offset:         62
        .size:           2
        .value_kind:     hidden_group_size_y
      - .offset:         64
        .size:           2
        .value_kind:     hidden_group_size_z
      - .offset:         66
        .size:           2
        .value_kind:     hidden_remainder_x
      - .offset:         68
        .size:           2
        .value_kind:     hidden_remainder_y
      - .offset:         70
        .size:           2
        .value_kind:     hidden_remainder_z
      - .offset:         88
        .size:           8
        .value_kind:     hidden_global_offset_x
      - .offset:         96
        .size:           8
        .value_kind:     hidden_global_offset_y
      - .offset:         104
        .size:           8
        .value_kind:     hidden_global_offset_z
      - .offset:         112
        .size:           2
        .value_kind:     hidden_grid_dims
    .group_segment_fixed_size: 0
    .kernarg_segment_align: 8
    .kernarg_segment_size: 304
    .language:       OpenCL C
    .language_version:
      - 2
      - 0
    .max_flat_workgroup_size: 1024
    .name:           _ZL9moe_vec_qIN3c104HalfELi256ELi32E10block_q6_KLi1EXadL_ZL17vec_dot_q6_K_q8_1PKvPK10block_q8_1RKiEEEvS4_S4_PT_PS8_iiii
    .private_segment_fixed_size: 0
    .sgpr_count:     24
    .sgpr_spill_count: 0
    .symbol:         _ZL9moe_vec_qIN3c104HalfELi256ELi32E10block_q6_KLi1EXadL_ZL17vec_dot_q6_K_q8_1PKvPK10block_q8_1RKiEEEvS4_S4_PT_PS8_iiii.kd
    .uniform_work_group_size: 1
    .uses_dynamic_stack: false
    .vgpr_count:     31
    .vgpr_spill_count: 0
    .wavefront_size: 64
  - .args:
      - .actual_access:  read_only
        .address_space:  global
        .offset:         0
        .size:           8
        .value_kind:     global_buffer
      - .actual_access:  read_only
        .address_space:  global
        .offset:         8
        .size:           8
        .value_kind:     global_buffer
      - .actual_access:  write_only
        .address_space:  global
        .offset:         16
        .size:           8
        .value_kind:     global_buffer
      - .address_space:  global
        .offset:         24
        .size:           8
        .value_kind:     global_buffer
      - .offset:         32
        .size:           4
        .value_kind:     by_value
      - .offset:         36
        .size:           4
        .value_kind:     by_value
      - .offset:         40
        .size:           4
        .value_kind:     by_value
      - .offset:         44
        .size:           4
        .value_kind:     by_value
      - .offset:         48
        .size:           4
        .value_kind:     hidden_block_count_x
      - .offset:         52
        .size:           4
        .value_kind:     hidden_block_count_y
      - .offset:         56
        .size:           4
        .value_kind:     hidden_block_count_z
      - .offset:         60
        .size:           2
        .value_kind:     hidden_group_size_x
      - .offset:         62
        .size:           2
        .value_kind:     hidden_group_size_y
      - .offset:         64
        .size:           2
        .value_kind:     hidden_group_size_z
      - .offset:         66
        .size:           2
        .value_kind:     hidden_remainder_x
      - .offset:         68
        .size:           2
        .value_kind:     hidden_remainder_y
      - .offset:         70
        .size:           2
        .value_kind:     hidden_remainder_z
      - .offset:         88
        .size:           8
        .value_kind:     hidden_global_offset_x
      - .offset:         96
        .size:           8
        .value_kind:     hidden_global_offset_y
      - .offset:         104
        .size:           8
        .value_kind:     hidden_global_offset_z
      - .offset:         112
        .size:           2
        .value_kind:     hidden_grid_dims
    .group_segment_fixed_size: 0
    .kernarg_segment_align: 8
    .kernarg_segment_size: 304
    .language:       OpenCL C
    .language_version:
      - 2
      - 0
    .max_flat_workgroup_size: 1024
    .name:           _ZL9moe_vec_qIN3c104HalfELi256ELi8E13block_iq2_xxsLi1EXadL_ZL20vec_dot_iq2_xxs_q8_1PKvPK10block_q8_1RKiEEEvS4_S4_PT_PS8_iiii
    .private_segment_fixed_size: 0
    .sgpr_count:     59
    .sgpr_spill_count: 0
    .symbol:         _ZL9moe_vec_qIN3c104HalfELi256ELi8E13block_iq2_xxsLi1EXadL_ZL20vec_dot_iq2_xxs_q8_1PKvPK10block_q8_1RKiEEEvS4_S4_PT_PS8_iiii.kd
    .uniform_work_group_size: 1
    .uses_dynamic_stack: false
    .vgpr_count:     55
    .vgpr_spill_count: 0
    .wavefront_size: 64
  - .args:
      - .actual_access:  read_only
        .address_space:  global
        .offset:         0
        .size:           8
        .value_kind:     global_buffer
      - .actual_access:  read_only
        .address_space:  global
        .offset:         8
        .size:           8
        .value_kind:     global_buffer
      - .actual_access:  write_only
        .address_space:  global
        .offset:         16
        .size:           8
        .value_kind:     global_buffer
      - .address_space:  global
        .offset:         24
        .size:           8
        .value_kind:     global_buffer
      - .offset:         32
        .size:           4
        .value_kind:     by_value
      - .offset:         36
        .size:           4
        .value_kind:     by_value
      - .offset:         40
        .size:           4
        .value_kind:     by_value
      - .offset:         44
        .size:           4
        .value_kind:     by_value
      - .offset:         48
        .size:           4
        .value_kind:     hidden_block_count_x
      - .offset:         52
        .size:           4
        .value_kind:     hidden_block_count_y
      - .offset:         56
        .size:           4
        .value_kind:     hidden_block_count_z
      - .offset:         60
        .size:           2
        .value_kind:     hidden_group_size_x
      - .offset:         62
        .size:           2
        .value_kind:     hidden_group_size_y
      - .offset:         64
        .size:           2
        .value_kind:     hidden_group_size_z
      - .offset:         66
        .size:           2
        .value_kind:     hidden_remainder_x
      - .offset:         68
        .size:           2
        .value_kind:     hidden_remainder_y
      - .offset:         70
        .size:           2
        .value_kind:     hidden_remainder_z
      - .offset:         88
        .size:           8
        .value_kind:     hidden_global_offset_x
      - .offset:         96
        .size:           8
        .value_kind:     hidden_global_offset_y
      - .offset:         104
        .size:           8
        .value_kind:     hidden_global_offset_z
      - .offset:         112
        .size:           2
        .value_kind:     hidden_grid_dims
    .group_segment_fixed_size: 0
    .kernarg_segment_align: 8
    .kernarg_segment_size: 304
    .language:       OpenCL C
    .language_version:
      - 2
      - 0
    .max_flat_workgroup_size: 1024
    .name:           _ZL9moe_vec_qIN3c104HalfELi256ELi8E12block_iq2_xsLi1EXadL_ZL19vec_dot_iq2_xs_q8_1PKvPK10block_q8_1RKiEEEvS4_S4_PT_PS8_iiii
    .private_segment_fixed_size: 0
    .sgpr_count:     55
    .sgpr_spill_count: 0
    .symbol:         _ZL9moe_vec_qIN3c104HalfELi256ELi8E12block_iq2_xsLi1EXadL_ZL19vec_dot_iq2_xs_q8_1PKvPK10block_q8_1RKiEEEvS4_S4_PT_PS8_iiii.kd
    .uniform_work_group_size: 1
    .uses_dynamic_stack: false
    .vgpr_count:     55
    .vgpr_spill_count: 0
    .wavefront_size: 64
  - .args:
      - .actual_access:  read_only
        .address_space:  global
        .offset:         0
        .size:           8
        .value_kind:     global_buffer
      - .actual_access:  read_only
        .address_space:  global
        .offset:         8
        .size:           8
        .value_kind:     global_buffer
      - .actual_access:  write_only
        .address_space:  global
        .offset:         16
        .size:           8
        .value_kind:     global_buffer
      - .address_space:  global
        .offset:         24
        .size:           8
        .value_kind:     global_buffer
      - .offset:         32
        .size:           4
        .value_kind:     by_value
      - .offset:         36
        .size:           4
        .value_kind:     by_value
      - .offset:         40
        .size:           4
        .value_kind:     by_value
      - .offset:         44
        .size:           4
        .value_kind:     by_value
      - .offset:         48
        .size:           4
        .value_kind:     hidden_block_count_x
      - .offset:         52
        .size:           4
        .value_kind:     hidden_block_count_y
      - .offset:         56
        .size:           4
        .value_kind:     hidden_block_count_z
      - .offset:         60
        .size:           2
        .value_kind:     hidden_group_size_x
      - .offset:         62
        .size:           2
        .value_kind:     hidden_group_size_y
      - .offset:         64
        .size:           2
        .value_kind:     hidden_group_size_z
      - .offset:         66
        .size:           2
        .value_kind:     hidden_remainder_x
      - .offset:         68
        .size:           2
        .value_kind:     hidden_remainder_y
      - .offset:         70
        .size:           2
        .value_kind:     hidden_remainder_z
      - .offset:         88
        .size:           8
        .value_kind:     hidden_global_offset_x
      - .offset:         96
        .size:           8
        .value_kind:     hidden_global_offset_y
      - .offset:         104
        .size:           8
        .value_kind:     hidden_global_offset_z
      - .offset:         112
        .size:           2
        .value_kind:     hidden_grid_dims
    .group_segment_fixed_size: 0
    .kernarg_segment_align: 8
    .kernarg_segment_size: 304
    .language:       OpenCL C
    .language_version:
      - 2
      - 0
    .max_flat_workgroup_size: 1024
    .name:           _ZL9moe_vec_qIN3c104HalfELi256ELi8E13block_iq3_xxsLi1EXadL_ZL20vec_dot_iq3_xxs_q8_1PKvPK10block_q8_1RKiEEEvS4_S4_PT_PS8_iiii
    .private_segment_fixed_size: 0
    .sgpr_count:     24
    .sgpr_spill_count: 0
    .symbol:         _ZL9moe_vec_qIN3c104HalfELi256ELi8E13block_iq3_xxsLi1EXadL_ZL20vec_dot_iq3_xxs_q8_1PKvPK10block_q8_1RKiEEEvS4_S4_PT_PS8_iiii.kd
    .uniform_work_group_size: 1
    .uses_dynamic_stack: false
    .vgpr_count:     33
    .vgpr_spill_count: 0
    .wavefront_size: 64
  - .args:
      - .actual_access:  read_only
        .address_space:  global
        .offset:         0
        .size:           8
        .value_kind:     global_buffer
      - .actual_access:  read_only
        .address_space:  global
        .offset:         8
        .size:           8
        .value_kind:     global_buffer
      - .actual_access:  write_only
        .address_space:  global
        .offset:         16
        .size:           8
        .value_kind:     global_buffer
      - .address_space:  global
        .offset:         24
        .size:           8
        .value_kind:     global_buffer
      - .offset:         32
        .size:           4
        .value_kind:     by_value
      - .offset:         36
        .size:           4
        .value_kind:     by_value
      - .offset:         40
        .size:           4
        .value_kind:     by_value
      - .offset:         44
        .size:           4
        .value_kind:     by_value
      - .offset:         48
        .size:           4
        .value_kind:     hidden_block_count_x
      - .offset:         52
        .size:           4
        .value_kind:     hidden_block_count_y
      - .offset:         56
        .size:           4
        .value_kind:     hidden_block_count_z
      - .offset:         60
        .size:           2
        .value_kind:     hidden_group_size_x
      - .offset:         62
        .size:           2
        .value_kind:     hidden_group_size_y
      - .offset:         64
        .size:           2
        .value_kind:     hidden_group_size_z
      - .offset:         66
        .size:           2
        .value_kind:     hidden_remainder_x
      - .offset:         68
        .size:           2
        .value_kind:     hidden_remainder_y
      - .offset:         70
        .size:           2
        .value_kind:     hidden_remainder_z
      - .offset:         88
        .size:           8
        .value_kind:     hidden_global_offset_x
      - .offset:         96
        .size:           8
        .value_kind:     hidden_global_offset_y
      - .offset:         104
        .size:           8
        .value_kind:     hidden_global_offset_z
      - .offset:         112
        .size:           2
        .value_kind:     hidden_grid_dims
    .group_segment_fixed_size: 0
    .kernarg_segment_align: 8
    .kernarg_segment_size: 304
    .language:       OpenCL C
    .language_version:
      - 2
      - 0
    .max_flat_workgroup_size: 1024
    .name:           _ZL9moe_vec_qIN3c104HalfELi256ELi8E11block_iq1_sLi1EXadL_ZL18vec_dot_iq1_s_q8_1PKvPK10block_q8_1RKiEEEvS4_S4_PT_PS8_iiii
    .private_segment_fixed_size: 0
    .sgpr_count:     24
    .sgpr_spill_count: 0
    .symbol:         _ZL9moe_vec_qIN3c104HalfELi256ELi8E11block_iq1_sLi1EXadL_ZL18vec_dot_iq1_s_q8_1PKvPK10block_q8_1RKiEEEvS4_S4_PT_PS8_iiii.kd
    .uniform_work_group_size: 1
    .uses_dynamic_stack: false
    .vgpr_count:     31
    .vgpr_spill_count: 0
    .wavefront_size: 64
  - .args:
      - .actual_access:  read_only
        .address_space:  global
        .offset:         0
        .size:           8
        .value_kind:     global_buffer
      - .actual_access:  read_only
        .address_space:  global
        .offset:         8
        .size:           8
        .value_kind:     global_buffer
      - .actual_access:  write_only
        .address_space:  global
        .offset:         16
        .size:           8
        .value_kind:     global_buffer
      - .address_space:  global
        .offset:         24
        .size:           8
        .value_kind:     global_buffer
      - .offset:         32
        .size:           4
        .value_kind:     by_value
      - .offset:         36
        .size:           4
        .value_kind:     by_value
      - .offset:         40
        .size:           4
        .value_kind:     by_value
      - .offset:         44
        .size:           4
        .value_kind:     by_value
      - .offset:         48
        .size:           4
        .value_kind:     hidden_block_count_x
      - .offset:         52
        .size:           4
        .value_kind:     hidden_block_count_y
      - .offset:         56
        .size:           4
        .value_kind:     hidden_block_count_z
      - .offset:         60
        .size:           2
        .value_kind:     hidden_group_size_x
      - .offset:         62
        .size:           2
        .value_kind:     hidden_group_size_y
      - .offset:         64
        .size:           2
        .value_kind:     hidden_group_size_z
      - .offset:         66
        .size:           2
        .value_kind:     hidden_remainder_x
      - .offset:         68
        .size:           2
        .value_kind:     hidden_remainder_y
      - .offset:         70
        .size:           2
        .value_kind:     hidden_remainder_z
      - .offset:         88
        .size:           8
        .value_kind:     hidden_global_offset_x
      - .offset:         96
        .size:           8
        .value_kind:     hidden_global_offset_y
      - .offset:         104
        .size:           8
        .value_kind:     hidden_global_offset_z
      - .offset:         112
        .size:           2
        .value_kind:     hidden_grid_dims
    .group_segment_fixed_size: 0
    .kernarg_segment_align: 8
    .kernarg_segment_size: 304
    .language:       OpenCL C
    .language_version:
      - 2
      - 0
    .max_flat_workgroup_size: 1024
    .name:           _ZL9moe_vec_qIN3c104HalfELi32ELi4E12block_iq4_nlLi2EXadL_ZL19vec_dot_iq4_nl_q8_1PKvPK10block_q8_1RKiEEEvS4_S4_PT_PS8_iiii
    .private_segment_fixed_size: 0
    .sgpr_count:     24
    .sgpr_spill_count: 0
    .symbol:         _ZL9moe_vec_qIN3c104HalfELi32ELi4E12block_iq4_nlLi2EXadL_ZL19vec_dot_iq4_nl_q8_1PKvPK10block_q8_1RKiEEEvS4_S4_PT_PS8_iiii.kd
    .uniform_work_group_size: 1
    .uses_dynamic_stack: false
    .vgpr_count:     21
    .vgpr_spill_count: 0
    .wavefront_size: 64
  - .args:
      - .actual_access:  read_only
        .address_space:  global
        .offset:         0
        .size:           8
        .value_kind:     global_buffer
      - .actual_access:  read_only
        .address_space:  global
        .offset:         8
        .size:           8
        .value_kind:     global_buffer
      - .actual_access:  write_only
        .address_space:  global
        .offset:         16
        .size:           8
        .value_kind:     global_buffer
      - .address_space:  global
        .offset:         24
        .size:           8
        .value_kind:     global_buffer
      - .offset:         32
        .size:           4
        .value_kind:     by_value
      - .offset:         36
        .size:           4
        .value_kind:     by_value
      - .offset:         40
        .size:           4
        .value_kind:     by_value
      - .offset:         44
        .size:           4
        .value_kind:     by_value
      - .offset:         48
        .size:           4
        .value_kind:     hidden_block_count_x
      - .offset:         52
        .size:           4
        .value_kind:     hidden_block_count_y
      - .offset:         56
        .size:           4
        .value_kind:     hidden_block_count_z
      - .offset:         60
        .size:           2
        .value_kind:     hidden_group_size_x
      - .offset:         62
        .size:           2
        .value_kind:     hidden_group_size_y
      - .offset:         64
        .size:           2
        .value_kind:     hidden_group_size_z
      - .offset:         66
        .size:           2
        .value_kind:     hidden_remainder_x
      - .offset:         68
        .size:           2
        .value_kind:     hidden_remainder_y
      - .offset:         70
        .size:           2
        .value_kind:     hidden_remainder_z
      - .offset:         88
        .size:           8
        .value_kind:     hidden_global_offset_x
      - .offset:         96
        .size:           8
        .value_kind:     hidden_global_offset_y
      - .offset:         104
        .size:           8
        .value_kind:     hidden_global_offset_z
      - .offset:         112
        .size:           2
        .value_kind:     hidden_grid_dims
    .group_segment_fixed_size: 0
    .kernarg_segment_align: 8
    .kernarg_segment_size: 304
    .language:       OpenCL C
    .language_version:
      - 2
      - 0
    .max_flat_workgroup_size: 1024
    .name:           _ZL9moe_vec_qIN3c104HalfELi256ELi8E11block_iq3_sLi1EXadL_ZL18vec_dot_iq3_s_q8_1PKvPK10block_q8_1RKiEEEvS4_S4_PT_PS8_iiii
    .private_segment_fixed_size: 0
    .sgpr_count:     25
    .sgpr_spill_count: 0
    .symbol:         _ZL9moe_vec_qIN3c104HalfELi256ELi8E11block_iq3_sLi1EXadL_ZL18vec_dot_iq3_s_q8_1PKvPK10block_q8_1RKiEEEvS4_S4_PT_PS8_iiii.kd
    .uniform_work_group_size: 1
    .uses_dynamic_stack: false
    .vgpr_count:     46
    .vgpr_spill_count: 0
    .wavefront_size: 64
  - .args:
      - .actual_access:  read_only
        .address_space:  global
        .offset:         0
        .size:           8
        .value_kind:     global_buffer
      - .actual_access:  read_only
        .address_space:  global
        .offset:         8
        .size:           8
        .value_kind:     global_buffer
      - .actual_access:  write_only
        .address_space:  global
        .offset:         16
        .size:           8
        .value_kind:     global_buffer
      - .address_space:  global
        .offset:         24
        .size:           8
        .value_kind:     global_buffer
      - .offset:         32
        .size:           4
        .value_kind:     by_value
      - .offset:         36
        .size:           4
        .value_kind:     by_value
      - .offset:         40
        .size:           4
        .value_kind:     by_value
      - .offset:         44
        .size:           4
        .value_kind:     by_value
      - .offset:         48
        .size:           4
        .value_kind:     hidden_block_count_x
      - .offset:         52
        .size:           4
        .value_kind:     hidden_block_count_y
      - .offset:         56
        .size:           4
        .value_kind:     hidden_block_count_z
      - .offset:         60
        .size:           2
        .value_kind:     hidden_group_size_x
      - .offset:         62
        .size:           2
        .value_kind:     hidden_group_size_y
      - .offset:         64
        .size:           2
        .value_kind:     hidden_group_size_z
      - .offset:         66
        .size:           2
        .value_kind:     hidden_remainder_x
      - .offset:         68
        .size:           2
        .value_kind:     hidden_remainder_y
      - .offset:         70
        .size:           2
        .value_kind:     hidden_remainder_z
      - .offset:         88
        .size:           8
        .value_kind:     hidden_global_offset_x
      - .offset:         96
        .size:           8
        .value_kind:     hidden_global_offset_y
      - .offset:         104
        .size:           8
        .value_kind:     hidden_global_offset_z
      - .offset:         112
        .size:           2
        .value_kind:     hidden_grid_dims
    .group_segment_fixed_size: 0
    .kernarg_segment_align: 8
    .kernarg_segment_size: 304
    .language:       OpenCL C
    .language_version:
      - 2
      - 0
    .max_flat_workgroup_size: 1024
    .name:           _ZL9moe_vec_qIN3c104HalfELi256ELi8E11block_iq2_sLi1EXadL_ZL18vec_dot_iq2_s_q8_1PKvPK10block_q8_1RKiEEEvS4_S4_PT_PS8_iiii
    .private_segment_fixed_size: 0
    .sgpr_count:     24
    .sgpr_spill_count: 0
    .symbol:         _ZL9moe_vec_qIN3c104HalfELi256ELi8E11block_iq2_sLi1EXadL_ZL18vec_dot_iq2_s_q8_1PKvPK10block_q8_1RKiEEEvS4_S4_PT_PS8_iiii.kd
    .uniform_work_group_size: 1
    .uses_dynamic_stack: false
    .vgpr_count:     64
    .vgpr_spill_count: 0
    .wavefront_size: 64
  - .args:
      - .actual_access:  read_only
        .address_space:  global
        .offset:         0
        .size:           8
        .value_kind:     global_buffer
      - .actual_access:  read_only
        .address_space:  global
        .offset:         8
        .size:           8
        .value_kind:     global_buffer
      - .actual_access:  write_only
        .address_space:  global
        .offset:         16
        .size:           8
        .value_kind:     global_buffer
      - .address_space:  global
        .offset:         24
        .size:           8
        .value_kind:     global_buffer
      - .offset:         32
        .size:           4
        .value_kind:     by_value
      - .offset:         36
        .size:           4
        .value_kind:     by_value
      - .offset:         40
        .size:           4
        .value_kind:     by_value
      - .offset:         44
        .size:           4
        .value_kind:     by_value
      - .offset:         48
        .size:           4
        .value_kind:     hidden_block_count_x
      - .offset:         52
        .size:           4
        .value_kind:     hidden_block_count_y
      - .offset:         56
        .size:           4
        .value_kind:     hidden_block_count_z
      - .offset:         60
        .size:           2
        .value_kind:     hidden_group_size_x
      - .offset:         62
        .size:           2
        .value_kind:     hidden_group_size_y
      - .offset:         64
        .size:           2
        .value_kind:     hidden_group_size_z
      - .offset:         66
        .size:           2
        .value_kind:     hidden_remainder_x
      - .offset:         68
        .size:           2
        .value_kind:     hidden_remainder_y
      - .offset:         70
        .size:           2
        .value_kind:     hidden_remainder_z
      - .offset:         88
        .size:           8
        .value_kind:     hidden_global_offset_x
      - .offset:         96
        .size:           8
        .value_kind:     hidden_global_offset_y
      - .offset:         104
        .size:           8
        .value_kind:     hidden_global_offset_z
      - .offset:         112
        .size:           2
        .value_kind:     hidden_grid_dims
    .group_segment_fixed_size: 0
    .kernarg_segment_align: 8
    .kernarg_segment_size: 304
    .language:       OpenCL C
    .language_version:
      - 2
      - 0
    .max_flat_workgroup_size: 1024
    .name:           _ZL9moe_vec_qIN3c104HalfELi256ELi8E12block_iq4_xsLi1EXadL_ZL19vec_dot_iq4_xs_q8_1PKvPK10block_q8_1RKiEEEvS4_S4_PT_PS8_iiii
    .private_segment_fixed_size: 0
    .sgpr_count:     24
    .sgpr_spill_count: 0
    .symbol:         _ZL9moe_vec_qIN3c104HalfELi256ELi8E12block_iq4_xsLi1EXadL_ZL19vec_dot_iq4_xs_q8_1PKvPK10block_q8_1RKiEEEvS4_S4_PT_PS8_iiii.kd
    .uniform_work_group_size: 1
    .uses_dynamic_stack: false
    .vgpr_count:     48
    .vgpr_spill_count: 0
    .wavefront_size: 64
  - .args:
      - .actual_access:  read_only
        .address_space:  global
        .offset:         0
        .size:           8
        .value_kind:     global_buffer
      - .actual_access:  read_only
        .address_space:  global
        .offset:         8
        .size:           8
        .value_kind:     global_buffer
      - .actual_access:  write_only
        .address_space:  global
        .offset:         16
        .size:           8
        .value_kind:     global_buffer
      - .address_space:  global
        .offset:         24
        .size:           8
        .value_kind:     global_buffer
      - .offset:         32
        .size:           4
        .value_kind:     by_value
      - .offset:         36
        .size:           4
        .value_kind:     by_value
      - .offset:         40
        .size:           4
        .value_kind:     by_value
      - .offset:         44
        .size:           4
        .value_kind:     by_value
      - .offset:         48
        .size:           4
        .value_kind:     hidden_block_count_x
      - .offset:         52
        .size:           4
        .value_kind:     hidden_block_count_y
      - .offset:         56
        .size:           4
        .value_kind:     hidden_block_count_z
      - .offset:         60
        .size:           2
        .value_kind:     hidden_group_size_x
      - .offset:         62
        .size:           2
        .value_kind:     hidden_group_size_y
      - .offset:         64
        .size:           2
        .value_kind:     hidden_group_size_z
      - .offset:         66
        .size:           2
        .value_kind:     hidden_remainder_x
      - .offset:         68
        .size:           2
        .value_kind:     hidden_remainder_y
      - .offset:         70
        .size:           2
        .value_kind:     hidden_remainder_z
      - .offset:         88
        .size:           8
        .value_kind:     hidden_global_offset_x
      - .offset:         96
        .size:           8
        .value_kind:     hidden_global_offset_y
      - .offset:         104
        .size:           8
        .value_kind:     hidden_global_offset_z
      - .offset:         112
        .size:           2
        .value_kind:     hidden_grid_dims
    .group_segment_fixed_size: 0
    .kernarg_segment_align: 8
    .kernarg_segment_size: 304
    .language:       OpenCL C
    .language_version:
      - 2
      - 0
    .max_flat_workgroup_size: 1024
    .name:           _ZL9moe_vec_qIN3c104HalfELi256ELi8E11block_iq1_mLi1EXadL_ZL18vec_dot_iq1_m_q8_1PKvPK10block_q8_1RKiEEEvS4_S4_PT_PS8_iiii
    .private_segment_fixed_size: 0
    .sgpr_count:     24
    .sgpr_spill_count: 0
    .symbol:         _ZL9moe_vec_qIN3c104HalfELi256ELi8E11block_iq1_mLi1EXadL_ZL18vec_dot_iq1_m_q8_1PKvPK10block_q8_1RKiEEEvS4_S4_PT_PS8_iiii.kd
    .uniform_work_group_size: 1
    .uses_dynamic_stack: false
    .vgpr_count:     34
    .vgpr_spill_count: 0
    .wavefront_size: 64
  - .args:
      - .actual_access:  read_only
        .address_space:  global
        .offset:         0
        .size:           8
        .value_kind:     global_buffer
      - .actual_access:  read_only
        .address_space:  global
        .offset:         8
        .size:           8
        .value_kind:     global_buffer
      - .actual_access:  write_only
        .address_space:  global
        .offset:         16
        .size:           8
        .value_kind:     global_buffer
      - .address_space:  global
        .offset:         24
        .size:           8
        .value_kind:     global_buffer
      - .offset:         32
        .size:           4
        .value_kind:     by_value
      - .offset:         36
        .size:           4
        .value_kind:     by_value
      - .offset:         40
        .size:           4
        .value_kind:     by_value
      - .offset:         44
        .size:           4
        .value_kind:     by_value
      - .offset:         48
        .size:           4
        .value_kind:     hidden_block_count_x
      - .offset:         52
        .size:           4
        .value_kind:     hidden_block_count_y
      - .offset:         56
        .size:           4
        .value_kind:     hidden_block_count_z
      - .offset:         60
        .size:           2
        .value_kind:     hidden_group_size_x
      - .offset:         62
        .size:           2
        .value_kind:     hidden_group_size_y
      - .offset:         64
        .size:           2
        .value_kind:     hidden_group_size_z
      - .offset:         66
        .size:           2
        .value_kind:     hidden_remainder_x
      - .offset:         68
        .size:           2
        .value_kind:     hidden_remainder_y
      - .offset:         70
        .size:           2
        .value_kind:     hidden_remainder_z
      - .offset:         88
        .size:           8
        .value_kind:     hidden_global_offset_x
      - .offset:         96
        .size:           8
        .value_kind:     hidden_global_offset_y
      - .offset:         104
        .size:           8
        .value_kind:     hidden_global_offset_z
      - .offset:         112
        .size:           2
        .value_kind:     hidden_grid_dims
    .group_segment_fixed_size: 0
    .kernarg_segment_align: 8
    .kernarg_segment_size: 304
    .language:       OpenCL C
    .language_version:
      - 2
      - 0
    .max_flat_workgroup_size: 1024
    .name:           _ZL9moe_vec_qIN3c108BFloat16ELi32ELi4E10block_q4_0Li2EXadL_ZL17vec_dot_q4_0_q8_1PKvPK10block_q8_1RKiEEEvS4_S4_PT_PS8_iiii
    .private_segment_fixed_size: 0
    .sgpr_count:     24
    .sgpr_spill_count: 0
    .symbol:         _ZL9moe_vec_qIN3c108BFloat16ELi32ELi4E10block_q4_0Li2EXadL_ZL17vec_dot_q4_0_q8_1PKvPK10block_q8_1RKiEEEvS4_S4_PT_PS8_iiii.kd
    .uniform_work_group_size: 1
    .uses_dynamic_stack: false
    .vgpr_count:     22
    .vgpr_spill_count: 0
    .wavefront_size: 64
  - .args:
      - .actual_access:  read_only
        .address_space:  global
        .offset:         0
        .size:           8
        .value_kind:     global_buffer
      - .actual_access:  read_only
        .address_space:  global
        .offset:         8
        .size:           8
        .value_kind:     global_buffer
      - .actual_access:  write_only
        .address_space:  global
        .offset:         16
        .size:           8
        .value_kind:     global_buffer
      - .address_space:  global
        .offset:         24
        .size:           8
        .value_kind:     global_buffer
      - .offset:         32
        .size:           4
        .value_kind:     by_value
      - .offset:         36
        .size:           4
        .value_kind:     by_value
      - .offset:         40
        .size:           4
        .value_kind:     by_value
      - .offset:         44
        .size:           4
        .value_kind:     by_value
      - .offset:         48
        .size:           4
        .value_kind:     hidden_block_count_x
      - .offset:         52
        .size:           4
        .value_kind:     hidden_block_count_y
      - .offset:         56
        .size:           4
        .value_kind:     hidden_block_count_z
      - .offset:         60
        .size:           2
        .value_kind:     hidden_group_size_x
      - .offset:         62
        .size:           2
        .value_kind:     hidden_group_size_y
      - .offset:         64
        .size:           2
        .value_kind:     hidden_group_size_z
      - .offset:         66
        .size:           2
        .value_kind:     hidden_remainder_x
      - .offset:         68
        .size:           2
        .value_kind:     hidden_remainder_y
      - .offset:         70
        .size:           2
        .value_kind:     hidden_remainder_z
      - .offset:         88
        .size:           8
        .value_kind:     hidden_global_offset_x
      - .offset:         96
        .size:           8
        .value_kind:     hidden_global_offset_y
      - .offset:         104
        .size:           8
        .value_kind:     hidden_global_offset_z
      - .offset:         112
        .size:           2
        .value_kind:     hidden_grid_dims
    .group_segment_fixed_size: 0
    .kernarg_segment_align: 8
    .kernarg_segment_size: 304
    .language:       OpenCL C
    .language_version:
      - 2
      - 0
    .max_flat_workgroup_size: 1024
    .name:           _ZL9moe_vec_qIN3c108BFloat16ELi32ELi4E10block_q4_1Li2EXadL_ZL17vec_dot_q4_1_q8_1PKvPK10block_q8_1RKiEEEvS4_S4_PT_PS8_iiii
    .private_segment_fixed_size: 0
    .sgpr_count:     24
    .sgpr_spill_count: 0
    .symbol:         _ZL9moe_vec_qIN3c108BFloat16ELi32ELi4E10block_q4_1Li2EXadL_ZL17vec_dot_q4_1_q8_1PKvPK10block_q8_1RKiEEEvS4_S4_PT_PS8_iiii.kd
    .uniform_work_group_size: 1
    .uses_dynamic_stack: false
    .vgpr_count:     20
    .vgpr_spill_count: 0
    .wavefront_size: 64
  - .args:
      - .actual_access:  read_only
        .address_space:  global
        .offset:         0
        .size:           8
        .value_kind:     global_buffer
      - .actual_access:  read_only
        .address_space:  global
        .offset:         8
        .size:           8
        .value_kind:     global_buffer
      - .actual_access:  write_only
        .address_space:  global
        .offset:         16
        .size:           8
        .value_kind:     global_buffer
      - .address_space:  global
        .offset:         24
        .size:           8
        .value_kind:     global_buffer
      - .offset:         32
        .size:           4
        .value_kind:     by_value
      - .offset:         36
        .size:           4
        .value_kind:     by_value
      - .offset:         40
        .size:           4
        .value_kind:     by_value
      - .offset:         44
        .size:           4
        .value_kind:     by_value
      - .offset:         48
        .size:           4
        .value_kind:     hidden_block_count_x
      - .offset:         52
        .size:           4
        .value_kind:     hidden_block_count_y
      - .offset:         56
        .size:           4
        .value_kind:     hidden_block_count_z
      - .offset:         60
        .size:           2
        .value_kind:     hidden_group_size_x
      - .offset:         62
        .size:           2
        .value_kind:     hidden_group_size_y
      - .offset:         64
        .size:           2
        .value_kind:     hidden_group_size_z
      - .offset:         66
        .size:           2
        .value_kind:     hidden_remainder_x
      - .offset:         68
        .size:           2
        .value_kind:     hidden_remainder_y
      - .offset:         70
        .size:           2
        .value_kind:     hidden_remainder_z
      - .offset:         88
        .size:           8
        .value_kind:     hidden_global_offset_x
      - .offset:         96
        .size:           8
        .value_kind:     hidden_global_offset_y
      - .offset:         104
        .size:           8
        .value_kind:     hidden_global_offset_z
      - .offset:         112
        .size:           2
        .value_kind:     hidden_grid_dims
    .group_segment_fixed_size: 0
    .kernarg_segment_align: 8
    .kernarg_segment_size: 304
    .language:       OpenCL C
    .language_version:
      - 2
      - 0
    .max_flat_workgroup_size: 1024
    .name:           _ZL9moe_vec_qIN3c108BFloat16ELi32ELi4E10block_q5_0Li2EXadL_ZL17vec_dot_q5_0_q8_1PKvPK10block_q8_1RKiEEEvS4_S4_PT_PS8_iiii
    .private_segment_fixed_size: 0
    .sgpr_count:     24
    .sgpr_spill_count: 0
    .symbol:         _ZL9moe_vec_qIN3c108BFloat16ELi32ELi4E10block_q5_0Li2EXadL_ZL17vec_dot_q5_0_q8_1PKvPK10block_q8_1RKiEEEvS4_S4_PT_PS8_iiii.kd
    .uniform_work_group_size: 1
    .uses_dynamic_stack: false
    .vgpr_count:     25
    .vgpr_spill_count: 0
    .wavefront_size: 64
  - .args:
      - .actual_access:  read_only
        .address_space:  global
        .offset:         0
        .size:           8
        .value_kind:     global_buffer
      - .actual_access:  read_only
        .address_space:  global
        .offset:         8
        .size:           8
        .value_kind:     global_buffer
      - .actual_access:  write_only
        .address_space:  global
        .offset:         16
        .size:           8
        .value_kind:     global_buffer
      - .address_space:  global
        .offset:         24
        .size:           8
        .value_kind:     global_buffer
      - .offset:         32
        .size:           4
        .value_kind:     by_value
      - .offset:         36
        .size:           4
        .value_kind:     by_value
      - .offset:         40
        .size:           4
        .value_kind:     by_value
      - .offset:         44
        .size:           4
        .value_kind:     by_value
      - .offset:         48
        .size:           4
        .value_kind:     hidden_block_count_x
      - .offset:         52
        .size:           4
        .value_kind:     hidden_block_count_y
      - .offset:         56
        .size:           4
        .value_kind:     hidden_block_count_z
      - .offset:         60
        .size:           2
        .value_kind:     hidden_group_size_x
      - .offset:         62
        .size:           2
        .value_kind:     hidden_group_size_y
      - .offset:         64
        .size:           2
        .value_kind:     hidden_group_size_z
      - .offset:         66
        .size:           2
        .value_kind:     hidden_remainder_x
      - .offset:         68
        .size:           2
        .value_kind:     hidden_remainder_y
      - .offset:         70
        .size:           2
        .value_kind:     hidden_remainder_z
      - .offset:         88
        .size:           8
        .value_kind:     hidden_global_offset_x
      - .offset:         96
        .size:           8
        .value_kind:     hidden_global_offset_y
      - .offset:         104
        .size:           8
        .value_kind:     hidden_global_offset_z
      - .offset:         112
        .size:           2
        .value_kind:     hidden_grid_dims
    .group_segment_fixed_size: 0
    .kernarg_segment_align: 8
    .kernarg_segment_size: 304
    .language:       OpenCL C
    .language_version:
      - 2
      - 0
    .max_flat_workgroup_size: 1024
    .name:           _ZL9moe_vec_qIN3c108BFloat16ELi32ELi4E10block_q5_1Li2EXadL_ZL17vec_dot_q5_1_q8_1PKvPK10block_q8_1RKiEEEvS4_S4_PT_PS8_iiii
    .private_segment_fixed_size: 0
    .sgpr_count:     24
    .sgpr_spill_count: 0
    .symbol:         _ZL9moe_vec_qIN3c108BFloat16ELi32ELi4E10block_q5_1Li2EXadL_ZL17vec_dot_q5_1_q8_1PKvPK10block_q8_1RKiEEEvS4_S4_PT_PS8_iiii.kd
    .uniform_work_group_size: 1
    .uses_dynamic_stack: false
    .vgpr_count:     22
    .vgpr_spill_count: 0
    .wavefront_size: 64
  - .args:
      - .actual_access:  read_only
        .address_space:  global
        .offset:         0
        .size:           8
        .value_kind:     global_buffer
      - .actual_access:  read_only
        .address_space:  global
        .offset:         8
        .size:           8
        .value_kind:     global_buffer
      - .actual_access:  write_only
        .address_space:  global
        .offset:         16
        .size:           8
        .value_kind:     global_buffer
      - .address_space:  global
        .offset:         24
        .size:           8
        .value_kind:     global_buffer
      - .offset:         32
        .size:           4
        .value_kind:     by_value
      - .offset:         36
        .size:           4
        .value_kind:     by_value
      - .offset:         40
        .size:           4
        .value_kind:     by_value
      - .offset:         44
        .size:           4
        .value_kind:     by_value
      - .offset:         48
        .size:           4
        .value_kind:     hidden_block_count_x
      - .offset:         52
        .size:           4
        .value_kind:     hidden_block_count_y
      - .offset:         56
        .size:           4
        .value_kind:     hidden_block_count_z
      - .offset:         60
        .size:           2
        .value_kind:     hidden_group_size_x
      - .offset:         62
        .size:           2
        .value_kind:     hidden_group_size_y
      - .offset:         64
        .size:           2
        .value_kind:     hidden_group_size_z
      - .offset:         66
        .size:           2
        .value_kind:     hidden_remainder_x
      - .offset:         68
        .size:           2
        .value_kind:     hidden_remainder_y
      - .offset:         70
        .size:           2
        .value_kind:     hidden_remainder_z
      - .offset:         88
        .size:           8
        .value_kind:     hidden_global_offset_x
      - .offset:         96
        .size:           8
        .value_kind:     hidden_global_offset_y
      - .offset:         104
        .size:           8
        .value_kind:     hidden_global_offset_z
      - .offset:         112
        .size:           2
        .value_kind:     hidden_grid_dims
    .group_segment_fixed_size: 0
    .kernarg_segment_align: 8
    .kernarg_segment_size: 304
    .language:       OpenCL C
    .language_version:
      - 2
      - 0
    .max_flat_workgroup_size: 1024
    .name:           _ZL9moe_vec_qIN3c108BFloat16ELi32ELi8E10block_q8_0Li2EXadL_ZL17vec_dot_q8_0_q8_1PKvPK10block_q8_1RKiEEEvS4_S4_PT_PS8_iiii
    .private_segment_fixed_size: 0
    .sgpr_count:     24
    .sgpr_spill_count: 0
    .symbol:         _ZL9moe_vec_qIN3c108BFloat16ELi32ELi8E10block_q8_0Li2EXadL_ZL17vec_dot_q8_0_q8_1PKvPK10block_q8_1RKiEEEvS4_S4_PT_PS8_iiii.kd
    .uniform_work_group_size: 1
    .uses_dynamic_stack: false
    .vgpr_count:     18
    .vgpr_spill_count: 0
    .wavefront_size: 64
  - .args:
      - .actual_access:  read_only
        .address_space:  global
        .offset:         0
        .size:           8
        .value_kind:     global_buffer
      - .actual_access:  read_only
        .address_space:  global
        .offset:         8
        .size:           8
        .value_kind:     global_buffer
      - .actual_access:  write_only
        .address_space:  global
        .offset:         16
        .size:           8
        .value_kind:     global_buffer
      - .address_space:  global
        .offset:         24
        .size:           8
        .value_kind:     global_buffer
      - .offset:         32
        .size:           4
        .value_kind:     by_value
      - .offset:         36
        .size:           4
        .value_kind:     by_value
      - .offset:         40
        .size:           4
        .value_kind:     by_value
      - .offset:         44
        .size:           4
        .value_kind:     by_value
      - .offset:         48
        .size:           4
        .value_kind:     hidden_block_count_x
      - .offset:         52
        .size:           4
        .value_kind:     hidden_block_count_y
      - .offset:         56
        .size:           4
        .value_kind:     hidden_block_count_z
      - .offset:         60
        .size:           2
        .value_kind:     hidden_group_size_x
      - .offset:         62
        .size:           2
        .value_kind:     hidden_group_size_y
      - .offset:         64
        .size:           2
        .value_kind:     hidden_group_size_z
      - .offset:         66
        .size:           2
        .value_kind:     hidden_remainder_x
      - .offset:         68
        .size:           2
        .value_kind:     hidden_remainder_y
      - .offset:         70
        .size:           2
        .value_kind:     hidden_remainder_z
      - .offset:         88
        .size:           8
        .value_kind:     hidden_global_offset_x
      - .offset:         96
        .size:           8
        .value_kind:     hidden_global_offset_y
      - .offset:         104
        .size:           8
        .value_kind:     hidden_global_offset_z
      - .offset:         112
        .size:           2
        .value_kind:     hidden_grid_dims
    .group_segment_fixed_size: 0
    .kernarg_segment_align: 8
    .kernarg_segment_size: 304
    .language:       OpenCL C
    .language_version:
      - 2
      - 0
    .max_flat_workgroup_size: 1024
    .name:           _ZL9moe_vec_qIN3c108BFloat16ELi256ELi16E10block_q2_KLi1EXadL_ZL17vec_dot_q2_K_q8_1PKvPK10block_q8_1RKiEEEvS4_S4_PT_PS8_iiii
    .private_segment_fixed_size: 0
    .sgpr_count:     24
    .sgpr_spill_count: 0
    .symbol:         _ZL9moe_vec_qIN3c108BFloat16ELi256ELi16E10block_q2_KLi1EXadL_ZL17vec_dot_q2_K_q8_1PKvPK10block_q8_1RKiEEEvS4_S4_PT_PS8_iiii.kd
    .uniform_work_group_size: 1
    .uses_dynamic_stack: false
    .vgpr_count:     33
    .vgpr_spill_count: 0
    .wavefront_size: 64
  - .args:
      - .actual_access:  read_only
        .address_space:  global
        .offset:         0
        .size:           8
        .value_kind:     global_buffer
      - .actual_access:  read_only
        .address_space:  global
        .offset:         8
        .size:           8
        .value_kind:     global_buffer
      - .actual_access:  write_only
        .address_space:  global
        .offset:         16
        .size:           8
        .value_kind:     global_buffer
      - .address_space:  global
        .offset:         24
        .size:           8
        .value_kind:     global_buffer
      - .offset:         32
        .size:           4
        .value_kind:     by_value
      - .offset:         36
        .size:           4
        .value_kind:     by_value
      - .offset:         40
        .size:           4
        .value_kind:     by_value
      - .offset:         44
        .size:           4
        .value_kind:     by_value
      - .offset:         48
        .size:           4
        .value_kind:     hidden_block_count_x
      - .offset:         52
        .size:           4
        .value_kind:     hidden_block_count_y
      - .offset:         56
        .size:           4
        .value_kind:     hidden_block_count_z
      - .offset:         60
        .size:           2
        .value_kind:     hidden_group_size_x
      - .offset:         62
        .size:           2
        .value_kind:     hidden_group_size_y
      - .offset:         64
        .size:           2
        .value_kind:     hidden_group_size_z
      - .offset:         66
        .size:           2
        .value_kind:     hidden_remainder_x
      - .offset:         68
        .size:           2
        .value_kind:     hidden_remainder_y
      - .offset:         70
        .size:           2
        .value_kind:     hidden_remainder_z
      - .offset:         88
        .size:           8
        .value_kind:     hidden_global_offset_x
      - .offset:         96
        .size:           8
        .value_kind:     hidden_global_offset_y
      - .offset:         104
        .size:           8
        .value_kind:     hidden_global_offset_z
      - .offset:         112
        .size:           2
        .value_kind:     hidden_grid_dims
    .group_segment_fixed_size: 0
    .kernarg_segment_align: 8
    .kernarg_segment_size: 304
    .language:       OpenCL C
    .language_version:
      - 2
      - 0
    .max_flat_workgroup_size: 1024
    .name:           _ZL9moe_vec_qIN3c108BFloat16ELi256ELi16E10block_q3_KLi1EXadL_ZL17vec_dot_q3_K_q8_1PKvPK10block_q8_1RKiEEEvS4_S4_PT_PS8_iiii
    .private_segment_fixed_size: 0
    .sgpr_count:     26
    .sgpr_spill_count: 0
    .symbol:         _ZL9moe_vec_qIN3c108BFloat16ELi256ELi16E10block_q3_KLi1EXadL_ZL17vec_dot_q3_K_q8_1PKvPK10block_q8_1RKiEEEvS4_S4_PT_PS8_iiii.kd
    .uniform_work_group_size: 1
    .uses_dynamic_stack: false
    .vgpr_count:     63
    .vgpr_spill_count: 0
    .wavefront_size: 64
  - .args:
      - .actual_access:  read_only
        .address_space:  global
        .offset:         0
        .size:           8
        .value_kind:     global_buffer
      - .actual_access:  read_only
        .address_space:  global
        .offset:         8
        .size:           8
        .value_kind:     global_buffer
      - .actual_access:  write_only
        .address_space:  global
        .offset:         16
        .size:           8
        .value_kind:     global_buffer
      - .address_space:  global
        .offset:         24
        .size:           8
        .value_kind:     global_buffer
      - .offset:         32
        .size:           4
        .value_kind:     by_value
      - .offset:         36
        .size:           4
        .value_kind:     by_value
      - .offset:         40
        .size:           4
        .value_kind:     by_value
      - .offset:         44
        .size:           4
        .value_kind:     by_value
      - .offset:         48
        .size:           4
        .value_kind:     hidden_block_count_x
      - .offset:         52
        .size:           4
        .value_kind:     hidden_block_count_y
      - .offset:         56
        .size:           4
        .value_kind:     hidden_block_count_z
      - .offset:         60
        .size:           2
        .value_kind:     hidden_group_size_x
      - .offset:         62
        .size:           2
        .value_kind:     hidden_group_size_y
      - .offset:         64
        .size:           2
        .value_kind:     hidden_group_size_z
      - .offset:         66
        .size:           2
        .value_kind:     hidden_remainder_x
      - .offset:         68
        .size:           2
        .value_kind:     hidden_remainder_y
      - .offset:         70
        .size:           2
        .value_kind:     hidden_remainder_z
      - .offset:         88
        .size:           8
        .value_kind:     hidden_global_offset_x
      - .offset:         96
        .size:           8
        .value_kind:     hidden_global_offset_y
      - .offset:         104
        .size:           8
        .value_kind:     hidden_global_offset_z
      - .offset:         112
        .size:           2
        .value_kind:     hidden_grid_dims
    .group_segment_fixed_size: 0
    .kernarg_segment_align: 8
    .kernarg_segment_size: 304
    .language:       OpenCL C
    .language_version:
      - 2
      - 0
    .max_flat_workgroup_size: 1024
    .name:           _ZL9moe_vec_qIN3c108BFloat16ELi256ELi32E10block_q4_KLi2EXadL_ZL17vec_dot_q4_K_q8_1PKvPK10block_q8_1RKiEEEvS4_S4_PT_PS8_iiii
    .private_segment_fixed_size: 0
    .sgpr_count:     24
    .sgpr_spill_count: 0
    .symbol:         _ZL9moe_vec_qIN3c108BFloat16ELi256ELi32E10block_q4_KLi2EXadL_ZL17vec_dot_q4_K_q8_1PKvPK10block_q8_1RKiEEEvS4_S4_PT_PS8_iiii.kd
    .uniform_work_group_size: 1
    .uses_dynamic_stack: false
    .vgpr_count:     30
    .vgpr_spill_count: 0
    .wavefront_size: 64
  - .args:
      - .actual_access:  read_only
        .address_space:  global
        .offset:         0
        .size:           8
        .value_kind:     global_buffer
      - .actual_access:  read_only
        .address_space:  global
        .offset:         8
        .size:           8
        .value_kind:     global_buffer
      - .actual_access:  write_only
        .address_space:  global
        .offset:         16
        .size:           8
        .value_kind:     global_buffer
      - .address_space:  global
        .offset:         24
        .size:           8
        .value_kind:     global_buffer
      - .offset:         32
        .size:           4
        .value_kind:     by_value
      - .offset:         36
        .size:           4
        .value_kind:     by_value
      - .offset:         40
        .size:           4
        .value_kind:     by_value
      - .offset:         44
        .size:           4
        .value_kind:     by_value
      - .offset:         48
        .size:           4
        .value_kind:     hidden_block_count_x
      - .offset:         52
        .size:           4
        .value_kind:     hidden_block_count_y
      - .offset:         56
        .size:           4
        .value_kind:     hidden_block_count_z
      - .offset:         60
        .size:           2
        .value_kind:     hidden_group_size_x
      - .offset:         62
        .size:           2
        .value_kind:     hidden_group_size_y
      - .offset:         64
        .size:           2
        .value_kind:     hidden_group_size_z
      - .offset:         66
        .size:           2
        .value_kind:     hidden_remainder_x
      - .offset:         68
        .size:           2
        .value_kind:     hidden_remainder_y
      - .offset:         70
        .size:           2
        .value_kind:     hidden_remainder_z
      - .offset:         88
        .size:           8
        .value_kind:     hidden_global_offset_x
      - .offset:         96
        .size:           8
        .value_kind:     hidden_global_offset_y
      - .offset:         104
        .size:           8
        .value_kind:     hidden_global_offset_z
      - .offset:         112
        .size:           2
        .value_kind:     hidden_grid_dims
    .group_segment_fixed_size: 0
    .kernarg_segment_align: 8
    .kernarg_segment_size: 304
    .language:       OpenCL C
    .language_version:
      - 2
      - 0
    .max_flat_workgroup_size: 1024
    .name:           _ZL9moe_vec_qIN3c108BFloat16ELi256ELi32E10block_q5_KLi2EXadL_ZL17vec_dot_q5_K_q8_1PKvPK10block_q8_1RKiEEEvS4_S4_PT_PS8_iiii
    .private_segment_fixed_size: 0
    .sgpr_count:     24
    .sgpr_spill_count: 0
    .symbol:         _ZL9moe_vec_qIN3c108BFloat16ELi256ELi32E10block_q5_KLi2EXadL_ZL17vec_dot_q5_K_q8_1PKvPK10block_q8_1RKiEEEvS4_S4_PT_PS8_iiii.kd
    .uniform_work_group_size: 1
    .uses_dynamic_stack: false
    .vgpr_count:     34
    .vgpr_spill_count: 0
    .wavefront_size: 64
  - .args:
      - .actual_access:  read_only
        .address_space:  global
        .offset:         0
        .size:           8
        .value_kind:     global_buffer
      - .actual_access:  read_only
        .address_space:  global
        .offset:         8
        .size:           8
        .value_kind:     global_buffer
      - .actual_access:  write_only
        .address_space:  global
        .offset:         16
        .size:           8
        .value_kind:     global_buffer
      - .address_space:  global
        .offset:         24
        .size:           8
        .value_kind:     global_buffer
      - .offset:         32
        .size:           4
        .value_kind:     by_value
      - .offset:         36
        .size:           4
        .value_kind:     by_value
      - .offset:         40
        .size:           4
        .value_kind:     by_value
      - .offset:         44
        .size:           4
        .value_kind:     by_value
      - .offset:         48
        .size:           4
        .value_kind:     hidden_block_count_x
      - .offset:         52
        .size:           4
        .value_kind:     hidden_block_count_y
      - .offset:         56
        .size:           4
        .value_kind:     hidden_block_count_z
      - .offset:         60
        .size:           2
        .value_kind:     hidden_group_size_x
      - .offset:         62
        .size:           2
        .value_kind:     hidden_group_size_y
      - .offset:         64
        .size:           2
        .value_kind:     hidden_group_size_z
      - .offset:         66
        .size:           2
        .value_kind:     hidden_remainder_x
      - .offset:         68
        .size:           2
        .value_kind:     hidden_remainder_y
      - .offset:         70
        .size:           2
        .value_kind:     hidden_remainder_z
      - .offset:         88
        .size:           8
        .value_kind:     hidden_global_offset_x
      - .offset:         96
        .size:           8
        .value_kind:     hidden_global_offset_y
      - .offset:         104
        .size:           8
        .value_kind:     hidden_global_offset_z
      - .offset:         112
        .size:           2
        .value_kind:     hidden_grid_dims
    .group_segment_fixed_size: 0
    .kernarg_segment_align: 8
    .kernarg_segment_size: 304
    .language:       OpenCL C
    .language_version:
      - 2
      - 0
    .max_flat_workgroup_size: 1024
    .name:           _ZL9moe_vec_qIN3c108BFloat16ELi256ELi32E10block_q6_KLi1EXadL_ZL17vec_dot_q6_K_q8_1PKvPK10block_q8_1RKiEEEvS4_S4_PT_PS8_iiii
    .private_segment_fixed_size: 0
    .sgpr_count:     24
    .sgpr_spill_count: 0
    .symbol:         _ZL9moe_vec_qIN3c108BFloat16ELi256ELi32E10block_q6_KLi1EXadL_ZL17vec_dot_q6_K_q8_1PKvPK10block_q8_1RKiEEEvS4_S4_PT_PS8_iiii.kd
    .uniform_work_group_size: 1
    .uses_dynamic_stack: false
    .vgpr_count:     31
    .vgpr_spill_count: 0
    .wavefront_size: 64
  - .args:
      - .actual_access:  read_only
        .address_space:  global
        .offset:         0
        .size:           8
        .value_kind:     global_buffer
      - .actual_access:  read_only
        .address_space:  global
        .offset:         8
        .size:           8
        .value_kind:     global_buffer
      - .actual_access:  write_only
        .address_space:  global
        .offset:         16
        .size:           8
        .value_kind:     global_buffer
      - .address_space:  global
        .offset:         24
        .size:           8
        .value_kind:     global_buffer
      - .offset:         32
        .size:           4
        .value_kind:     by_value
      - .offset:         36
        .size:           4
        .value_kind:     by_value
      - .offset:         40
        .size:           4
        .value_kind:     by_value
      - .offset:         44
        .size:           4
        .value_kind:     by_value
      - .offset:         48
        .size:           4
        .value_kind:     hidden_block_count_x
      - .offset:         52
        .size:           4
        .value_kind:     hidden_block_count_y
      - .offset:         56
        .size:           4
        .value_kind:     hidden_block_count_z
      - .offset:         60
        .size:           2
        .value_kind:     hidden_group_size_x
      - .offset:         62
        .size:           2
        .value_kind:     hidden_group_size_y
      - .offset:         64
        .size:           2
        .value_kind:     hidden_group_size_z
      - .offset:         66
        .size:           2
        .value_kind:     hidden_remainder_x
      - .offset:         68
        .size:           2
        .value_kind:     hidden_remainder_y
      - .offset:         70
        .size:           2
        .value_kind:     hidden_remainder_z
      - .offset:         88
        .size:           8
        .value_kind:     hidden_global_offset_x
      - .offset:         96
        .size:           8
        .value_kind:     hidden_global_offset_y
      - .offset:         104
        .size:           8
        .value_kind:     hidden_global_offset_z
      - .offset:         112
        .size:           2
        .value_kind:     hidden_grid_dims
    .group_segment_fixed_size: 0
    .kernarg_segment_align: 8
    .kernarg_segment_size: 304
    .language:       OpenCL C
    .language_version:
      - 2
      - 0
    .max_flat_workgroup_size: 1024
    .name:           _ZL9moe_vec_qIN3c108BFloat16ELi256ELi8E13block_iq2_xxsLi1EXadL_ZL20vec_dot_iq2_xxs_q8_1PKvPK10block_q8_1RKiEEEvS4_S4_PT_PS8_iiii
    .private_segment_fixed_size: 0
    .sgpr_count:     59
    .sgpr_spill_count: 0
    .symbol:         _ZL9moe_vec_qIN3c108BFloat16ELi256ELi8E13block_iq2_xxsLi1EXadL_ZL20vec_dot_iq2_xxs_q8_1PKvPK10block_q8_1RKiEEEvS4_S4_PT_PS8_iiii.kd
    .uniform_work_group_size: 1
    .uses_dynamic_stack: false
    .vgpr_count:     55
    .vgpr_spill_count: 0
    .wavefront_size: 64
  - .args:
      - .actual_access:  read_only
        .address_space:  global
        .offset:         0
        .size:           8
        .value_kind:     global_buffer
      - .actual_access:  read_only
        .address_space:  global
        .offset:         8
        .size:           8
        .value_kind:     global_buffer
      - .actual_access:  write_only
        .address_space:  global
        .offset:         16
        .size:           8
        .value_kind:     global_buffer
      - .address_space:  global
        .offset:         24
        .size:           8
        .value_kind:     global_buffer
      - .offset:         32
        .size:           4
        .value_kind:     by_value
      - .offset:         36
        .size:           4
        .value_kind:     by_value
      - .offset:         40
        .size:           4
        .value_kind:     by_value
      - .offset:         44
        .size:           4
        .value_kind:     by_value
      - .offset:         48
        .size:           4
        .value_kind:     hidden_block_count_x
      - .offset:         52
        .size:           4
        .value_kind:     hidden_block_count_y
      - .offset:         56
        .size:           4
        .value_kind:     hidden_block_count_z
      - .offset:         60
        .size:           2
        .value_kind:     hidden_group_size_x
      - .offset:         62
        .size:           2
        .value_kind:     hidden_group_size_y
      - .offset:         64
        .size:           2
        .value_kind:     hidden_group_size_z
      - .offset:         66
        .size:           2
        .value_kind:     hidden_remainder_x
      - .offset:         68
        .size:           2
        .value_kind:     hidden_remainder_y
      - .offset:         70
        .size:           2
        .value_kind:     hidden_remainder_z
      - .offset:         88
        .size:           8
        .value_kind:     hidden_global_offset_x
      - .offset:         96
        .size:           8
        .value_kind:     hidden_global_offset_y
      - .offset:         104
        .size:           8
        .value_kind:     hidden_global_offset_z
      - .offset:         112
        .size:           2
        .value_kind:     hidden_grid_dims
    .group_segment_fixed_size: 0
    .kernarg_segment_align: 8
    .kernarg_segment_size: 304
    .language:       OpenCL C
    .language_version:
      - 2
      - 0
    .max_flat_workgroup_size: 1024
    .name:           _ZL9moe_vec_qIN3c108BFloat16ELi256ELi8E12block_iq2_xsLi1EXadL_ZL19vec_dot_iq2_xs_q8_1PKvPK10block_q8_1RKiEEEvS4_S4_PT_PS8_iiii
    .private_segment_fixed_size: 0
    .sgpr_count:     55
    .sgpr_spill_count: 0
    .symbol:         _ZL9moe_vec_qIN3c108BFloat16ELi256ELi8E12block_iq2_xsLi1EXadL_ZL19vec_dot_iq2_xs_q8_1PKvPK10block_q8_1RKiEEEvS4_S4_PT_PS8_iiii.kd
    .uniform_work_group_size: 1
    .uses_dynamic_stack: false
    .vgpr_count:     55
    .vgpr_spill_count: 0
    .wavefront_size: 64
  - .args:
      - .actual_access:  read_only
        .address_space:  global
        .offset:         0
        .size:           8
        .value_kind:     global_buffer
      - .actual_access:  read_only
        .address_space:  global
        .offset:         8
        .size:           8
        .value_kind:     global_buffer
      - .actual_access:  write_only
        .address_space:  global
        .offset:         16
        .size:           8
        .value_kind:     global_buffer
      - .address_space:  global
        .offset:         24
        .size:           8
        .value_kind:     global_buffer
      - .offset:         32
        .size:           4
        .value_kind:     by_value
      - .offset:         36
        .size:           4
        .value_kind:     by_value
      - .offset:         40
        .size:           4
        .value_kind:     by_value
      - .offset:         44
        .size:           4
        .value_kind:     by_value
      - .offset:         48
        .size:           4
        .value_kind:     hidden_block_count_x
      - .offset:         52
        .size:           4
        .value_kind:     hidden_block_count_y
      - .offset:         56
        .size:           4
        .value_kind:     hidden_block_count_z
      - .offset:         60
        .size:           2
        .value_kind:     hidden_group_size_x
      - .offset:         62
        .size:           2
        .value_kind:     hidden_group_size_y
      - .offset:         64
        .size:           2
        .value_kind:     hidden_group_size_z
      - .offset:         66
        .size:           2
        .value_kind:     hidden_remainder_x
      - .offset:         68
        .size:           2
        .value_kind:     hidden_remainder_y
      - .offset:         70
        .size:           2
        .value_kind:     hidden_remainder_z
      - .offset:         88
        .size:           8
        .value_kind:     hidden_global_offset_x
      - .offset:         96
        .size:           8
        .value_kind:     hidden_global_offset_y
      - .offset:         104
        .size:           8
        .value_kind:     hidden_global_offset_z
      - .offset:         112
        .size:           2
        .value_kind:     hidden_grid_dims
    .group_segment_fixed_size: 0
    .kernarg_segment_align: 8
    .kernarg_segment_size: 304
    .language:       OpenCL C
    .language_version:
      - 2
      - 0
    .max_flat_workgroup_size: 1024
    .name:           _ZL9moe_vec_qIN3c108BFloat16ELi256ELi8E13block_iq3_xxsLi1EXadL_ZL20vec_dot_iq3_xxs_q8_1PKvPK10block_q8_1RKiEEEvS4_S4_PT_PS8_iiii
    .private_segment_fixed_size: 0
    .sgpr_count:     24
    .sgpr_spill_count: 0
    .symbol:         _ZL9moe_vec_qIN3c108BFloat16ELi256ELi8E13block_iq3_xxsLi1EXadL_ZL20vec_dot_iq3_xxs_q8_1PKvPK10block_q8_1RKiEEEvS4_S4_PT_PS8_iiii.kd
    .uniform_work_group_size: 1
    .uses_dynamic_stack: false
    .vgpr_count:     33
    .vgpr_spill_count: 0
    .wavefront_size: 64
  - .args:
      - .actual_access:  read_only
        .address_space:  global
        .offset:         0
        .size:           8
        .value_kind:     global_buffer
      - .actual_access:  read_only
        .address_space:  global
        .offset:         8
        .size:           8
        .value_kind:     global_buffer
      - .actual_access:  write_only
        .address_space:  global
        .offset:         16
        .size:           8
        .value_kind:     global_buffer
      - .address_space:  global
        .offset:         24
        .size:           8
        .value_kind:     global_buffer
      - .offset:         32
        .size:           4
        .value_kind:     by_value
      - .offset:         36
        .size:           4
        .value_kind:     by_value
      - .offset:         40
        .size:           4
        .value_kind:     by_value
      - .offset:         44
        .size:           4
        .value_kind:     by_value
      - .offset:         48
        .size:           4
        .value_kind:     hidden_block_count_x
      - .offset:         52
        .size:           4
        .value_kind:     hidden_block_count_y
      - .offset:         56
        .size:           4
        .value_kind:     hidden_block_count_z
      - .offset:         60
        .size:           2
        .value_kind:     hidden_group_size_x
      - .offset:         62
        .size:           2
        .value_kind:     hidden_group_size_y
      - .offset:         64
        .size:           2
        .value_kind:     hidden_group_size_z
      - .offset:         66
        .size:           2
        .value_kind:     hidden_remainder_x
      - .offset:         68
        .size:           2
        .value_kind:     hidden_remainder_y
      - .offset:         70
        .size:           2
        .value_kind:     hidden_remainder_z
      - .offset:         88
        .size:           8
        .value_kind:     hidden_global_offset_x
      - .offset:         96
        .size:           8
        .value_kind:     hidden_global_offset_y
      - .offset:         104
        .size:           8
        .value_kind:     hidden_global_offset_z
      - .offset:         112
        .size:           2
        .value_kind:     hidden_grid_dims
    .group_segment_fixed_size: 0
    .kernarg_segment_align: 8
    .kernarg_segment_size: 304
    .language:       OpenCL C
    .language_version:
      - 2
      - 0
    .max_flat_workgroup_size: 1024
    .name:           _ZL9moe_vec_qIN3c108BFloat16ELi256ELi8E11block_iq1_sLi1EXadL_ZL18vec_dot_iq1_s_q8_1PKvPK10block_q8_1RKiEEEvS4_S4_PT_PS8_iiii
    .private_segment_fixed_size: 0
    .sgpr_count:     24
    .sgpr_spill_count: 0
    .symbol:         _ZL9moe_vec_qIN3c108BFloat16ELi256ELi8E11block_iq1_sLi1EXadL_ZL18vec_dot_iq1_s_q8_1PKvPK10block_q8_1RKiEEEvS4_S4_PT_PS8_iiii.kd
    .uniform_work_group_size: 1
    .uses_dynamic_stack: false
    .vgpr_count:     31
    .vgpr_spill_count: 0
    .wavefront_size: 64
  - .args:
      - .actual_access:  read_only
        .address_space:  global
        .offset:         0
        .size:           8
        .value_kind:     global_buffer
      - .actual_access:  read_only
        .address_space:  global
        .offset:         8
        .size:           8
        .value_kind:     global_buffer
      - .actual_access:  write_only
        .address_space:  global
        .offset:         16
        .size:           8
        .value_kind:     global_buffer
      - .address_space:  global
        .offset:         24
        .size:           8
        .value_kind:     global_buffer
      - .offset:         32
        .size:           4
        .value_kind:     by_value
      - .offset:         36
        .size:           4
        .value_kind:     by_value
      - .offset:         40
        .size:           4
        .value_kind:     by_value
      - .offset:         44
        .size:           4
        .value_kind:     by_value
      - .offset:         48
        .size:           4
        .value_kind:     hidden_block_count_x
      - .offset:         52
        .size:           4
        .value_kind:     hidden_block_count_y
      - .offset:         56
        .size:           4
        .value_kind:     hidden_block_count_z
      - .offset:         60
        .size:           2
        .value_kind:     hidden_group_size_x
      - .offset:         62
        .size:           2
        .value_kind:     hidden_group_size_y
      - .offset:         64
        .size:           2
        .value_kind:     hidden_group_size_z
      - .offset:         66
        .size:           2
        .value_kind:     hidden_remainder_x
      - .offset:         68
        .size:           2
        .value_kind:     hidden_remainder_y
      - .offset:         70
        .size:           2
        .value_kind:     hidden_remainder_z
      - .offset:         88
        .size:           8
        .value_kind:     hidden_global_offset_x
      - .offset:         96
        .size:           8
        .value_kind:     hidden_global_offset_y
      - .offset:         104
        .size:           8
        .value_kind:     hidden_global_offset_z
      - .offset:         112
        .size:           2
        .value_kind:     hidden_grid_dims
    .group_segment_fixed_size: 0
    .kernarg_segment_align: 8
    .kernarg_segment_size: 304
    .language:       OpenCL C
    .language_version:
      - 2
      - 0
    .max_flat_workgroup_size: 1024
    .name:           _ZL9moe_vec_qIN3c108BFloat16ELi32ELi4E12block_iq4_nlLi2EXadL_ZL19vec_dot_iq4_nl_q8_1PKvPK10block_q8_1RKiEEEvS4_S4_PT_PS8_iiii
    .private_segment_fixed_size: 0
    .sgpr_count:     24
    .sgpr_spill_count: 0
    .symbol:         _ZL9moe_vec_qIN3c108BFloat16ELi32ELi4E12block_iq4_nlLi2EXadL_ZL19vec_dot_iq4_nl_q8_1PKvPK10block_q8_1RKiEEEvS4_S4_PT_PS8_iiii.kd
    .uniform_work_group_size: 1
    .uses_dynamic_stack: false
    .vgpr_count:     21
    .vgpr_spill_count: 0
    .wavefront_size: 64
  - .args:
      - .actual_access:  read_only
        .address_space:  global
        .offset:         0
        .size:           8
        .value_kind:     global_buffer
      - .actual_access:  read_only
        .address_space:  global
        .offset:         8
        .size:           8
        .value_kind:     global_buffer
      - .actual_access:  write_only
        .address_space:  global
        .offset:         16
        .size:           8
        .value_kind:     global_buffer
      - .address_space:  global
        .offset:         24
        .size:           8
        .value_kind:     global_buffer
      - .offset:         32
        .size:           4
        .value_kind:     by_value
      - .offset:         36
        .size:           4
        .value_kind:     by_value
      - .offset:         40
        .size:           4
        .value_kind:     by_value
      - .offset:         44
        .size:           4
        .value_kind:     by_value
      - .offset:         48
        .size:           4
        .value_kind:     hidden_block_count_x
      - .offset:         52
        .size:           4
        .value_kind:     hidden_block_count_y
      - .offset:         56
        .size:           4
        .value_kind:     hidden_block_count_z
      - .offset:         60
        .size:           2
        .value_kind:     hidden_group_size_x
      - .offset:         62
        .size:           2
        .value_kind:     hidden_group_size_y
      - .offset:         64
        .size:           2
        .value_kind:     hidden_group_size_z
      - .offset:         66
        .size:           2
        .value_kind:     hidden_remainder_x
      - .offset:         68
        .size:           2
        .value_kind:     hidden_remainder_y
      - .offset:         70
        .size:           2
        .value_kind:     hidden_remainder_z
      - .offset:         88
        .size:           8
        .value_kind:     hidden_global_offset_x
      - .offset:         96
        .size:           8
        .value_kind:     hidden_global_offset_y
      - .offset:         104
        .size:           8
        .value_kind:     hidden_global_offset_z
      - .offset:         112
        .size:           2
        .value_kind:     hidden_grid_dims
    .group_segment_fixed_size: 0
    .kernarg_segment_align: 8
    .kernarg_segment_size: 304
    .language:       OpenCL C
    .language_version:
      - 2
      - 0
    .max_flat_workgroup_size: 1024
    .name:           _ZL9moe_vec_qIN3c108BFloat16ELi256ELi8E11block_iq3_sLi1EXadL_ZL18vec_dot_iq3_s_q8_1PKvPK10block_q8_1RKiEEEvS4_S4_PT_PS8_iiii
    .private_segment_fixed_size: 0
    .sgpr_count:     25
    .sgpr_spill_count: 0
    .symbol:         _ZL9moe_vec_qIN3c108BFloat16ELi256ELi8E11block_iq3_sLi1EXadL_ZL18vec_dot_iq3_s_q8_1PKvPK10block_q8_1RKiEEEvS4_S4_PT_PS8_iiii.kd
    .uniform_work_group_size: 1
    .uses_dynamic_stack: false
    .vgpr_count:     46
    .vgpr_spill_count: 0
    .wavefront_size: 64
  - .args:
      - .actual_access:  read_only
        .address_space:  global
        .offset:         0
        .size:           8
        .value_kind:     global_buffer
      - .actual_access:  read_only
        .address_space:  global
        .offset:         8
        .size:           8
        .value_kind:     global_buffer
      - .actual_access:  write_only
        .address_space:  global
        .offset:         16
        .size:           8
        .value_kind:     global_buffer
      - .address_space:  global
        .offset:         24
        .size:           8
        .value_kind:     global_buffer
      - .offset:         32
        .size:           4
        .value_kind:     by_value
      - .offset:         36
        .size:           4
        .value_kind:     by_value
      - .offset:         40
        .size:           4
        .value_kind:     by_value
      - .offset:         44
        .size:           4
        .value_kind:     by_value
      - .offset:         48
        .size:           4
        .value_kind:     hidden_block_count_x
      - .offset:         52
        .size:           4
        .value_kind:     hidden_block_count_y
      - .offset:         56
        .size:           4
        .value_kind:     hidden_block_count_z
      - .offset:         60
        .size:           2
        .value_kind:     hidden_group_size_x
      - .offset:         62
        .size:           2
        .value_kind:     hidden_group_size_y
      - .offset:         64
        .size:           2
        .value_kind:     hidden_group_size_z
      - .offset:         66
        .size:           2
        .value_kind:     hidden_remainder_x
      - .offset:         68
        .size:           2
        .value_kind:     hidden_remainder_y
      - .offset:         70
        .size:           2
        .value_kind:     hidden_remainder_z
      - .offset:         88
        .size:           8
        .value_kind:     hidden_global_offset_x
      - .offset:         96
        .size:           8
        .value_kind:     hidden_global_offset_y
      - .offset:         104
        .size:           8
        .value_kind:     hidden_global_offset_z
      - .offset:         112
        .size:           2
        .value_kind:     hidden_grid_dims
    .group_segment_fixed_size: 0
    .kernarg_segment_align: 8
    .kernarg_segment_size: 304
    .language:       OpenCL C
    .language_version:
      - 2
      - 0
    .max_flat_workgroup_size: 1024
    .name:           _ZL9moe_vec_qIN3c108BFloat16ELi256ELi8E11block_iq2_sLi1EXadL_ZL18vec_dot_iq2_s_q8_1PKvPK10block_q8_1RKiEEEvS4_S4_PT_PS8_iiii
    .private_segment_fixed_size: 0
    .sgpr_count:     24
    .sgpr_spill_count: 0
    .symbol:         _ZL9moe_vec_qIN3c108BFloat16ELi256ELi8E11block_iq2_sLi1EXadL_ZL18vec_dot_iq2_s_q8_1PKvPK10block_q8_1RKiEEEvS4_S4_PT_PS8_iiii.kd
    .uniform_work_group_size: 1
    .uses_dynamic_stack: false
    .vgpr_count:     64
    .vgpr_spill_count: 0
    .wavefront_size: 64
  - .args:
      - .actual_access:  read_only
        .address_space:  global
        .offset:         0
        .size:           8
        .value_kind:     global_buffer
      - .actual_access:  read_only
        .address_space:  global
        .offset:         8
        .size:           8
        .value_kind:     global_buffer
      - .actual_access:  write_only
        .address_space:  global
        .offset:         16
        .size:           8
        .value_kind:     global_buffer
      - .address_space:  global
        .offset:         24
        .size:           8
        .value_kind:     global_buffer
      - .offset:         32
        .size:           4
        .value_kind:     by_value
      - .offset:         36
        .size:           4
        .value_kind:     by_value
      - .offset:         40
        .size:           4
        .value_kind:     by_value
      - .offset:         44
        .size:           4
        .value_kind:     by_value
      - .offset:         48
        .size:           4
        .value_kind:     hidden_block_count_x
      - .offset:         52
        .size:           4
        .value_kind:     hidden_block_count_y
      - .offset:         56
        .size:           4
        .value_kind:     hidden_block_count_z
      - .offset:         60
        .size:           2
        .value_kind:     hidden_group_size_x
      - .offset:         62
        .size:           2
        .value_kind:     hidden_group_size_y
      - .offset:         64
        .size:           2
        .value_kind:     hidden_group_size_z
      - .offset:         66
        .size:           2
        .value_kind:     hidden_remainder_x
      - .offset:         68
        .size:           2
        .value_kind:     hidden_remainder_y
      - .offset:         70
        .size:           2
        .value_kind:     hidden_remainder_z
      - .offset:         88
        .size:           8
        .value_kind:     hidden_global_offset_x
      - .offset:         96
        .size:           8
        .value_kind:     hidden_global_offset_y
      - .offset:         104
        .size:           8
        .value_kind:     hidden_global_offset_z
      - .offset:         112
        .size:           2
        .value_kind:     hidden_grid_dims
    .group_segment_fixed_size: 0
    .kernarg_segment_align: 8
    .kernarg_segment_size: 304
    .language:       OpenCL C
    .language_version:
      - 2
      - 0
    .max_flat_workgroup_size: 1024
    .name:           _ZL9moe_vec_qIN3c108BFloat16ELi256ELi8E12block_iq4_xsLi1EXadL_ZL19vec_dot_iq4_xs_q8_1PKvPK10block_q8_1RKiEEEvS4_S4_PT_PS8_iiii
    .private_segment_fixed_size: 0
    .sgpr_count:     24
    .sgpr_spill_count: 0
    .symbol:         _ZL9moe_vec_qIN3c108BFloat16ELi256ELi8E12block_iq4_xsLi1EXadL_ZL19vec_dot_iq4_xs_q8_1PKvPK10block_q8_1RKiEEEvS4_S4_PT_PS8_iiii.kd
    .uniform_work_group_size: 1
    .uses_dynamic_stack: false
    .vgpr_count:     48
    .vgpr_spill_count: 0
    .wavefront_size: 64
  - .args:
      - .actual_access:  read_only
        .address_space:  global
        .offset:         0
        .size:           8
        .value_kind:     global_buffer
      - .actual_access:  read_only
        .address_space:  global
        .offset:         8
        .size:           8
        .value_kind:     global_buffer
      - .actual_access:  write_only
        .address_space:  global
        .offset:         16
        .size:           8
        .value_kind:     global_buffer
      - .address_space:  global
        .offset:         24
        .size:           8
        .value_kind:     global_buffer
      - .offset:         32
        .size:           4
        .value_kind:     by_value
      - .offset:         36
        .size:           4
        .value_kind:     by_value
      - .offset:         40
        .size:           4
        .value_kind:     by_value
      - .offset:         44
        .size:           4
        .value_kind:     by_value
      - .offset:         48
        .size:           4
        .value_kind:     hidden_block_count_x
      - .offset:         52
        .size:           4
        .value_kind:     hidden_block_count_y
      - .offset:         56
        .size:           4
        .value_kind:     hidden_block_count_z
      - .offset:         60
        .size:           2
        .value_kind:     hidden_group_size_x
      - .offset:         62
        .size:           2
        .value_kind:     hidden_group_size_y
      - .offset:         64
        .size:           2
        .value_kind:     hidden_group_size_z
      - .offset:         66
        .size:           2
        .value_kind:     hidden_remainder_x
      - .offset:         68
        .size:           2
        .value_kind:     hidden_remainder_y
      - .offset:         70
        .size:           2
        .value_kind:     hidden_remainder_z
      - .offset:         88
        .size:           8
        .value_kind:     hidden_global_offset_x
      - .offset:         96
        .size:           8
        .value_kind:     hidden_global_offset_y
      - .offset:         104
        .size:           8
        .value_kind:     hidden_global_offset_z
      - .offset:         112
        .size:           2
        .value_kind:     hidden_grid_dims
    .group_segment_fixed_size: 0
    .kernarg_segment_align: 8
    .kernarg_segment_size: 304
    .language:       OpenCL C
    .language_version:
      - 2
      - 0
    .max_flat_workgroup_size: 1024
    .name:           _ZL9moe_vec_qIN3c108BFloat16ELi256ELi8E11block_iq1_mLi1EXadL_ZL18vec_dot_iq1_m_q8_1PKvPK10block_q8_1RKiEEEvS4_S4_PT_PS8_iiii
    .private_segment_fixed_size: 0
    .sgpr_count:     24
    .sgpr_spill_count: 0
    .symbol:         _ZL9moe_vec_qIN3c108BFloat16ELi256ELi8E11block_iq1_mLi1EXadL_ZL18vec_dot_iq1_m_q8_1PKvPK10block_q8_1RKiEEEvS4_S4_PT_PS8_iiii.kd
    .uniform_work_group_size: 1
    .uses_dynamic_stack: false
    .vgpr_count:     34
    .vgpr_spill_count: 0
    .wavefront_size: 64
amdhsa.target:   amdgcn-amd-amdhsa--gfx906
amdhsa.version:
  - 1
  - 2
...

	.end_amdgpu_metadata
